;; amdgpu-corpus repo=pytorch/pytorch kind=compiled arch=gfx942 opt=O3
	.text
	.amdgcn_target "amdgcn-amd-amdhsa--gfx942"
	.amdhsa_code_object_version 6
	.section	.text._ZN2at6native12_GLOBAL__N_128vectorized_layer_norm_kernelIddLb0EEEviT0_PKT_S6_S6_PS3_S7_PS4_,"axG",@progbits,_ZN2at6native12_GLOBAL__N_128vectorized_layer_norm_kernelIddLb0EEEviT0_PKT_S6_S6_PS3_S7_PS4_,comdat
	.globl	_ZN2at6native12_GLOBAL__N_128vectorized_layer_norm_kernelIddLb0EEEviT0_PKT_S6_S6_PS3_S7_PS4_ ; -- Begin function _ZN2at6native12_GLOBAL__N_128vectorized_layer_norm_kernelIddLb0EEEviT0_PKT_S6_S6_PS3_S7_PS4_
	.p2align	8
	.type	_ZN2at6native12_GLOBAL__N_128vectorized_layer_norm_kernelIddLb0EEEviT0_PKT_S6_S6_PS3_S7_PS4_,@function
_ZN2at6native12_GLOBAL__N_128vectorized_layer_norm_kernelIddLb0EEEviT0_PKT_S6_S6_PS3_S7_PS4_: ; @_ZN2at6native12_GLOBAL__N_128vectorized_layer_norm_kernelIddLb0EEEviT0_PKT_S6_S6_PS3_S7_PS4_
; %bb.0:
	s_trap 2
	.section	.rodata,"a",@progbits
	.p2align	6, 0x0
	.amdhsa_kernel _ZN2at6native12_GLOBAL__N_128vectorized_layer_norm_kernelIddLb0EEEviT0_PKT_S6_S6_PS3_S7_PS4_
		.amdhsa_group_segment_fixed_size 0
		.amdhsa_private_segment_fixed_size 0
		.amdhsa_kernarg_size 64
		.amdhsa_user_sgpr_count 2
		.amdhsa_user_sgpr_dispatch_ptr 0
		.amdhsa_user_sgpr_queue_ptr 0
		.amdhsa_user_sgpr_kernarg_segment_ptr 1
		.amdhsa_user_sgpr_dispatch_id 0
		.amdhsa_user_sgpr_kernarg_preload_length 0
		.amdhsa_user_sgpr_kernarg_preload_offset 0
		.amdhsa_user_sgpr_private_segment_size 0
		.amdhsa_uses_dynamic_stack 0
		.amdhsa_enable_private_segment 0
		.amdhsa_system_sgpr_workgroup_id_x 1
		.amdhsa_system_sgpr_workgroup_id_y 0
		.amdhsa_system_sgpr_workgroup_id_z 0
		.amdhsa_system_sgpr_workgroup_info 0
		.amdhsa_system_vgpr_workitem_id 0
		.amdhsa_next_free_vgpr 1
		.amdhsa_next_free_sgpr 0
		.amdhsa_accum_offset 4
		.amdhsa_reserve_vcc 0
		.amdhsa_float_round_mode_32 0
		.amdhsa_float_round_mode_16_64 0
		.amdhsa_float_denorm_mode_32 3
		.amdhsa_float_denorm_mode_16_64 3
		.amdhsa_dx10_clamp 1
		.amdhsa_ieee_mode 1
		.amdhsa_fp16_overflow 0
		.amdhsa_tg_split 0
		.amdhsa_exception_fp_ieee_invalid_op 0
		.amdhsa_exception_fp_denorm_src 0
		.amdhsa_exception_fp_ieee_div_zero 0
		.amdhsa_exception_fp_ieee_overflow 0
		.amdhsa_exception_fp_ieee_underflow 0
		.amdhsa_exception_fp_ieee_inexact 0
		.amdhsa_exception_int_div_zero 0
	.end_amdhsa_kernel
	.section	.text._ZN2at6native12_GLOBAL__N_128vectorized_layer_norm_kernelIddLb0EEEviT0_PKT_S6_S6_PS3_S7_PS4_,"axG",@progbits,_ZN2at6native12_GLOBAL__N_128vectorized_layer_norm_kernelIddLb0EEEviT0_PKT_S6_S6_PS3_S7_PS4_,comdat
.Lfunc_end0:
	.size	_ZN2at6native12_GLOBAL__N_128vectorized_layer_norm_kernelIddLb0EEEviT0_PKT_S6_S6_PS3_S7_PS4_, .Lfunc_end0-_ZN2at6native12_GLOBAL__N_128vectorized_layer_norm_kernelIddLb0EEEviT0_PKT_S6_S6_PS3_S7_PS4_
                                        ; -- End function
	.section	.AMDGPU.csdata,"",@progbits
; Kernel info:
; codeLenInByte = 4
; NumSgprs: 6
; NumVgprs: 0
; NumAgprs: 0
; TotalNumVgprs: 0
; ScratchSize: 0
; MemoryBound: 0
; FloatMode: 240
; IeeeMode: 1
; LDSByteSize: 0 bytes/workgroup (compile time only)
; SGPRBlocks: 0
; VGPRBlocks: 0
; NumSGPRsForWavesPerEU: 6
; NumVGPRsForWavesPerEU: 1
; AccumOffset: 4
; Occupancy: 8
; WaveLimiterHint : 0
; COMPUTE_PGM_RSRC2:SCRATCH_EN: 0
; COMPUTE_PGM_RSRC2:USER_SGPR: 2
; COMPUTE_PGM_RSRC2:TRAP_HANDLER: 0
; COMPUTE_PGM_RSRC2:TGID_X_EN: 1
; COMPUTE_PGM_RSRC2:TGID_Y_EN: 0
; COMPUTE_PGM_RSRC2:TGID_Z_EN: 0
; COMPUTE_PGM_RSRC2:TIDIG_COMP_CNT: 0
; COMPUTE_PGM_RSRC3_GFX90A:ACCUM_OFFSET: 0
; COMPUTE_PGM_RSRC3_GFX90A:TG_SPLIT: 0
	.section	.text._ZN2at6native12_GLOBAL__N_124RowwiseMomentsCUDAKernelIddLb0EEEvlT0_PKT_PS3_S7_,"axG",@progbits,_ZN2at6native12_GLOBAL__N_124RowwiseMomentsCUDAKernelIddLb0EEEvlT0_PKT_PS3_S7_,comdat
	.globl	_ZN2at6native12_GLOBAL__N_124RowwiseMomentsCUDAKernelIddLb0EEEvlT0_PKT_PS3_S7_ ; -- Begin function _ZN2at6native12_GLOBAL__N_124RowwiseMomentsCUDAKernelIddLb0EEEvlT0_PKT_PS3_S7_
	.p2align	8
	.type	_ZN2at6native12_GLOBAL__N_124RowwiseMomentsCUDAKernelIddLb0EEEvlT0_PKT_PS3_S7_,@function
_ZN2at6native12_GLOBAL__N_124RowwiseMomentsCUDAKernelIddLb0EEEvlT0_PKT_PS3_S7_: ; @_ZN2at6native12_GLOBAL__N_124RowwiseMomentsCUDAKernelIddLb0EEEvlT0_PKT_PS3_S7_
; %bb.0:
	s_load_dwordx8 s[4:11], s[0:1], 0x0
	s_load_dwordx2 s[12:13], s[0:1], 0x20
	v_mov_b32_e32 v1, 0
	v_mov_b64_e32 v[10:11], 0
	s_mov_b32 s3, 0
	s_waitcnt lgkmcnt(0)
	v_cmp_gt_i64_e32 vcc, s[4:5], v[0:1]
	v_mov_b64_e32 v[14:15], 0
	v_mov_b64_e32 v[2:3], v[10:11]
	;; [unrolled: 1-line block ×3, first 2 shown]
	s_and_saveexec_b64 s[14:15], vcc
	s_cbranch_execz .LBB1_4
; %bb.1:
	s_load_dword s16, s[0:1], 0x34
	s_mul_i32 s18, s5, s2
	s_mul_hi_u32 s19, s4, s2
	s_add_i32 s19, s19, s18
	s_mul_i32 s18, s4, s2
	s_waitcnt lgkmcnt(0)
	s_and_b32 s16, s16, 0xffff
	s_lshl_b64 s[18:19], s[18:19], 3
	s_add_u32 s8, s8, s18
	v_lshlrev_b32_e32 v2, 3, v0
	v_mov_b32_e32 v3, v1
	s_addc_u32 s9, s9, s19
	v_lshl_add_u64 v[6:7], s[8:9], 0, v[2:3]
	v_mov_b64_e32 v[2:3], 0
	s_mov_b32 s17, s3
	s_lshl_b32 s8, s16, 3
	s_mov_b32 s9, s3
	s_mov_b64 s[18:19], 0
	v_mov_b64_e32 v[8:9], v[0:1]
	s_mov_b64 s[20:21], 0
	v_mov_b64_e32 v[4:5], v[2:3]
.LBB1_2:                                ; =>This Inner Loop Header: Depth=1
	global_load_dwordx2 v[12:13], v[6:7], off
	s_add_u32 s20, s20, 1
	s_addc_u32 s21, s21, 0
	v_cvt_f64_u32_e32 v[16:17], s21
	v_cvt_f64_u32_e32 v[10:11], s20
	v_ldexp_f64 v[16:17], v[16:17], 32
	v_add_f64 v[10:11], v[16:17], v[10:11]
	v_lshl_add_u64 v[8:9], v[8:9], 0, s[16:17]
	v_cmp_le_i64_e32 vcc, s[4:5], v[8:9]
	s_or_b64 s[18:19], vcc, s[18:19]
	v_lshl_add_u64 v[6:7], v[6:7], 0, s[8:9]
	v_mov_b64_e32 v[14:15], s[20:21]
	s_waitcnt vmcnt(0)
	v_add_f64 v[16:17], v[12:13], -v[4:5]
	v_div_scale_f64 v[18:19], s[22:23], v[10:11], v[10:11], v[16:17]
	v_rcp_f64_e32 v[20:21], v[18:19]
	v_div_scale_f64 v[22:23], vcc, v[16:17], v[10:11], v[16:17]
	v_fma_f64 v[24:25], -v[18:19], v[20:21], 1.0
	v_fmac_f64_e32 v[20:21], v[20:21], v[24:25]
	v_fma_f64 v[24:25], -v[18:19], v[20:21], 1.0
	v_fmac_f64_e32 v[20:21], v[20:21], v[24:25]
	v_mul_f64 v[24:25], v[22:23], v[20:21]
	v_fma_f64 v[18:19], -v[18:19], v[24:25], v[22:23]
	v_div_fmas_f64 v[18:19], v[18:19], v[20:21], v[24:25]
	v_div_fixup_f64 v[18:19], v[18:19], v[10:11], v[16:17]
	v_add_f64 v[4:5], v[4:5], v[18:19]
	v_add_f64 v[12:13], v[12:13], -v[4:5]
	v_fmac_f64_e32 v[2:3], v[16:17], v[12:13]
	s_andn2_b64 exec, exec, s[18:19]
	s_cbranch_execnz .LBB1_2
; %bb.3:
	s_or_b64 exec, exec, s[18:19]
.LBB1_4:
	s_or_b64 exec, exec, s[14:15]
	v_mbcnt_lo_u32_b32 v1, -1, 0
	v_mbcnt_hi_u32_b32 v22, -1, v1
	v_and_b32_e32 v23, 63, v22
	v_cmp_gt_u32_e32 vcc, 32, v23
	s_nop 1
	v_cndmask_b32_e64 v1, 0, 1, vcc
	v_lshlrev_b32_e32 v1, 5, v1
	v_add_lshl_u32 v1, v1, v22, 2
	ds_bpermute_b32 v8, v1, v4
	ds_bpermute_b32 v9, v1, v5
	;; [unrolled: 1-line block ×8, first 2 shown]
	v_cmp_neq_f64_e32 vcc, 0, v[10:11]
	s_and_saveexec_b64 s[4:5], vcc
	s_cbranch_execz .LBB1_8
; %bb.5:
	s_waitcnt lgkmcnt(0)
	v_cmp_neq_f64_e32 vcc, 0, v[12:13]
	s_and_saveexec_b64 s[8:9], vcc
	s_cbranch_execz .LBB1_7
; %bb.6:
	v_add_f64 v[16:17], v[10:11], v[12:13]
	v_div_scale_f64 v[14:15], s[14:15], v[16:17], v[16:17], v[12:13]
	v_rcp_f64_e32 v[18:19], v[14:15]
	v_add_f64 v[8:9], v[8:9], -v[4:5]
	v_add_f64 v[2:3], v[2:3], v[6:7]
	v_mul_f64 v[6:7], v[8:9], v[8:9]
	v_fma_f64 v[20:21], -v[14:15], v[18:19], 1.0
	v_fmac_f64_e32 v[18:19], v[18:19], v[20:21]
	v_fma_f64 v[20:21], -v[14:15], v[18:19], 1.0
	v_fmac_f64_e32 v[18:19], v[18:19], v[20:21]
	v_div_scale_f64 v[20:21], vcc, v[12:13], v[16:17], v[12:13]
	v_mul_f64 v[24:25], v[20:21], v[18:19]
	v_fma_f64 v[14:15], -v[14:15], v[24:25], v[20:21]
	v_mul_f64 v[6:7], v[10:11], v[6:7]
	s_nop 0
	v_div_fmas_f64 v[14:15], v[14:15], v[18:19], v[24:25]
	v_div_fixup_f64 v[12:13], v[14:15], v[16:17], v[12:13]
	v_fmac_f64_e32 v[4:5], v[8:9], v[12:13]
	v_fmac_f64_e32 v[2:3], v[6:7], v[12:13]
	v_mov_b64_e32 v[14:15], -1
	v_mov_b64_e32 v[10:11], v[16:17]
.LBB1_7:
	s_or_b64 exec, exec, s[8:9]
	v_mov_b64_e32 v[12:13], v[10:11]
	v_mov_b64_e32 v[16:17], v[14:15]
	v_mov_b64_e32 v[6:7], v[2:3]
	v_mov_b64_e32 v[8:9], v[4:5]
.LBB1_8:
	s_or_b64 exec, exec, s[4:5]
	v_cmp_gt_u32_e32 vcc, 48, v23
	s_nop 1
	v_cndmask_b32_e64 v2, 0, 1, vcc
	v_lshlrev_b32_e32 v2, 4, v2
	v_add_lshl_u32 v20, v2, v22, 2
	s_waitcnt lgkmcnt(7)
	ds_bpermute_b32 v10, v20, v8
	s_waitcnt lgkmcnt(7)
	ds_bpermute_b32 v11, v20, v9
	s_waitcnt lgkmcnt(7)
	ds_bpermute_b32 v2, v20, v6
	s_waitcnt lgkmcnt(7)
	ds_bpermute_b32 v3, v20, v7
	s_waitcnt lgkmcnt(7)
	ds_bpermute_b32 v18, v20, v16
	s_waitcnt lgkmcnt(7)
	ds_bpermute_b32 v19, v20, v17
	s_waitcnt lgkmcnt(7)
	ds_bpermute_b32 v14, v20, v12
	s_waitcnt lgkmcnt(7)
	ds_bpermute_b32 v15, v20, v13
	v_cmp_neq_f64_e32 vcc, 0, v[12:13]
	s_and_saveexec_b64 s[4:5], vcc
	s_cbranch_execz .LBB1_12
; %bb.9:
	s_waitcnt lgkmcnt(0)
	v_cmp_neq_f64_e32 vcc, 0, v[14:15]
	s_and_saveexec_b64 s[8:9], vcc
	s_cbranch_execz .LBB1_11
; %bb.10:
	v_add_f64 v[4:5], v[12:13], v[14:15]
	v_div_scale_f64 v[16:17], s[14:15], v[4:5], v[4:5], v[14:15]
	v_rcp_f64_e32 v[18:19], v[16:17]
	v_add_f64 v[10:11], v[10:11], -v[8:9]
	v_add_f64 v[6:7], v[6:7], v[2:3]
	v_mul_f64 v[2:3], v[10:11], v[10:11]
	v_fma_f64 v[24:25], -v[16:17], v[18:19], 1.0
	v_fmac_f64_e32 v[18:19], v[18:19], v[24:25]
	v_fma_f64 v[24:25], -v[16:17], v[18:19], 1.0
	v_fmac_f64_e32 v[18:19], v[18:19], v[24:25]
	v_div_scale_f64 v[24:25], vcc, v[14:15], v[4:5], v[14:15]
	v_mul_f64 v[26:27], v[24:25], v[18:19]
	v_fma_f64 v[16:17], -v[16:17], v[26:27], v[24:25]
	v_mul_f64 v[2:3], v[12:13], v[2:3]
	s_nop 0
	v_div_fmas_f64 v[16:17], v[16:17], v[18:19], v[26:27]
	v_div_fixup_f64 v[14:15], v[16:17], v[4:5], v[14:15]
	v_fmac_f64_e32 v[8:9], v[10:11], v[14:15]
	v_fmac_f64_e32 v[6:7], v[2:3], v[14:15]
	v_mov_b64_e32 v[16:17], -1
	v_mov_b64_e32 v[12:13], v[4:5]
.LBB1_11:
	s_or_b64 exec, exec, s[8:9]
	v_mov_b64_e32 v[14:15], v[12:13]
	v_mov_b64_e32 v[18:19], v[16:17]
	v_mov_b64_e32 v[2:3], v[6:7]
	v_mov_b64_e32 v[10:11], v[8:9]
.LBB1_12:
	s_or_b64 exec, exec, s[4:5]
	v_cmp_gt_u32_e32 vcc, 56, v23
	s_nop 1
	v_cndmask_b32_e64 v4, 0, 1, vcc
	v_lshlrev_b32_e32 v4, 3, v4
	v_add_lshl_u32 v21, v4, v22, 2
	s_waitcnt lgkmcnt(7)
	ds_bpermute_b32 v6, v21, v10
	s_waitcnt lgkmcnt(7)
	ds_bpermute_b32 v7, v21, v11
	s_waitcnt lgkmcnt(7)
	ds_bpermute_b32 v4, v21, v2
	s_waitcnt lgkmcnt(7)
	ds_bpermute_b32 v5, v21, v3
	s_waitcnt lgkmcnt(7)
	ds_bpermute_b32 v16, v21, v18
	s_waitcnt lgkmcnt(7)
	ds_bpermute_b32 v17, v21, v19
	s_waitcnt lgkmcnt(7)
	ds_bpermute_b32 v12, v21, v14
	s_waitcnt lgkmcnt(7)
	ds_bpermute_b32 v13, v21, v15
	;; [unrolled: 59-line block ×4, first 2 shown]
	v_cmp_neq_f64_e32 vcc, 0, v[10:11]
	s_and_saveexec_b64 s[4:5], vcc
	s_cbranch_execz .LBB1_24
; %bb.21:
	s_waitcnt lgkmcnt(0)
	v_cmp_neq_f64_e32 vcc, 0, v[12:13]
	s_and_saveexec_b64 s[8:9], vcc
	s_cbranch_execz .LBB1_23
; %bb.22:
	v_add_f64 v[16:17], v[10:11], v[12:13]
	v_div_scale_f64 v[14:15], s[14:15], v[16:17], v[16:17], v[12:13]
	v_rcp_f64_e32 v[24:25], v[14:15]
	v_add_f64 v[6:7], v[6:7], -v[8:9]
	v_add_f64 v[2:3], v[2:3], v[4:5]
	v_mul_f64 v[4:5], v[6:7], v[6:7]
	v_fma_f64 v[26:27], -v[14:15], v[24:25], 1.0
	v_fmac_f64_e32 v[24:25], v[24:25], v[26:27]
	v_fma_f64 v[26:27], -v[14:15], v[24:25], 1.0
	v_fmac_f64_e32 v[24:25], v[24:25], v[26:27]
	v_div_scale_f64 v[26:27], vcc, v[12:13], v[16:17], v[12:13]
	v_mul_f64 v[28:29], v[26:27], v[24:25]
	v_fma_f64 v[14:15], -v[14:15], v[28:29], v[26:27]
	v_mul_f64 v[4:5], v[10:11], v[4:5]
	s_nop 0
	v_div_fmas_f64 v[14:15], v[14:15], v[24:25], v[28:29]
	v_div_fixup_f64 v[12:13], v[14:15], v[16:17], v[12:13]
	v_fmac_f64_e32 v[8:9], v[6:7], v[12:13]
	v_fmac_f64_e32 v[2:3], v[4:5], v[12:13]
	v_mov_b64_e32 v[14:15], -1
	v_mov_b64_e32 v[10:11], v[16:17]
.LBB1_23:
	s_or_b64 exec, exec, s[8:9]
	v_mov_b64_e32 v[12:13], v[10:11]
	v_mov_b64_e32 v[16:17], v[14:15]
	;; [unrolled: 1-line block ×4, first 2 shown]
.LBB1_24:
	s_or_b64 exec, exec, s[4:5]
	v_cmp_ne_u32_e32 vcc, 63, v23
	s_nop 1
	v_addc_co_u32_e32 v2, vcc, 0, v22, vcc
	v_lshlrev_b32_e32 v22, 2, v2
	s_waitcnt lgkmcnt(7)
	ds_bpermute_b32 v10, v22, v6
	s_waitcnt lgkmcnt(7)
	ds_bpermute_b32 v11, v22, v7
	;; [unrolled: 2-line block ×8, first 2 shown]
	v_cmp_neq_f64_e32 vcc, 0, v[12:13]
	s_and_saveexec_b64 s[4:5], vcc
	s_cbranch_execz .LBB1_28
; %bb.25:
	s_waitcnt lgkmcnt(0)
	v_cmp_neq_f64_e32 vcc, 0, v[8:9]
	s_and_saveexec_b64 s[8:9], vcc
	s_cbranch_execz .LBB1_27
; %bb.26:
	v_add_f64 v[14:15], v[12:13], v[8:9]
	v_div_scale_f64 v[16:17], s[14:15], v[14:15], v[14:15], v[8:9]
	v_rcp_f64_e32 v[24:25], v[16:17]
	v_add_f64 v[10:11], v[10:11], -v[6:7]
	v_add_f64 v[4:5], v[4:5], v[2:3]
	v_mul_f64 v[2:3], v[10:11], v[10:11]
	v_fma_f64 v[26:27], -v[16:17], v[24:25], 1.0
	v_fmac_f64_e32 v[24:25], v[24:25], v[26:27]
	v_fma_f64 v[26:27], -v[16:17], v[24:25], 1.0
	v_fmac_f64_e32 v[24:25], v[24:25], v[26:27]
	v_div_scale_f64 v[26:27], vcc, v[8:9], v[14:15], v[8:9]
	v_mul_f64 v[28:29], v[26:27], v[24:25]
	v_fma_f64 v[16:17], -v[16:17], v[28:29], v[26:27]
	v_mul_f64 v[2:3], v[12:13], v[2:3]
	s_nop 0
	v_div_fmas_f64 v[16:17], v[16:17], v[24:25], v[28:29]
	v_div_fixup_f64 v[8:9], v[16:17], v[14:15], v[8:9]
	v_fmac_f64_e32 v[6:7], v[10:11], v[8:9]
	v_fmac_f64_e32 v[4:5], v[2:3], v[8:9]
	v_mov_b64_e32 v[16:17], -1
	v_mov_b64_e32 v[12:13], v[14:15]
.LBB1_27:
	s_or_b64 exec, exec, s[8:9]
	v_mov_b64_e32 v[8:9], v[12:13]
	v_mov_b64_e32 v[14:15], v[16:17]
	;; [unrolled: 1-line block ×4, first 2 shown]
.LBB1_28:
	s_or_b64 exec, exec, s[4:5]
	v_and_b32_e32 v4, 63, v0
	v_cmp_eq_u32_e32 vcc, 0, v4
	s_waitcnt lgkmcnt(0)
	s_barrier
	s_and_saveexec_b64 s[4:5], vcc
	s_cbranch_execz .LBB1_30
; %bb.29:
	v_lshrrev_b32_e32 v5, 1, v0
	ds_write2_b64 v5, v[10:11], v[2:3] offset1:1
	ds_write2_b64 v5, v[14:15], v[8:9] offset0:2 offset1:3
.LBB1_30:
	s_or_b64 exec, exec, s[4:5]
	s_waitcnt lgkmcnt(0)
	s_barrier
	s_load_dword s0, s[0:1], 0x34
	v_lshlrev_b32_e32 v8, 5, v4
	v_mov_b64_e32 v[4:5], 0
	v_mov_b64_e32 v[2:3], v[4:5]
	s_waitcnt lgkmcnt(0)
	s_bfe_u32 s0, s0, 0xa0006
	v_cmp_gt_u32_e32 vcc, s0, v0
	s_and_saveexec_b64 s[0:1], vcc
	s_cbranch_execnz .LBB1_36
; %bb.31:
	s_or_b64 exec, exec, s[0:1]
	s_and_saveexec_b64 s[0:1], vcc
	s_cbranch_execnz .LBB1_37
.LBB1_32:
	s_or_b64 exec, exec, s[0:1]
	v_mov_b64_e32 v[6:7], 0
	s_and_saveexec_b64 s[0:1], vcc
	s_cbranch_execnz .LBB1_38
.LBB1_33:
	s_or_b64 exec, exec, s[0:1]
	v_cmp_gt_u32_e32 vcc, 64, v0
	s_and_saveexec_b64 s[0:1], vcc
	s_cbranch_execnz .LBB1_39
.LBB1_34:
	s_or_b64 exec, exec, s[0:1]
	v_cmp_eq_u32_e32 vcc, 0, v0
	s_and_saveexec_b64 s[0:1], vcc
	s_cbranch_execnz .LBB1_64
.LBB1_35:
	s_endpgm
.LBB1_36:
	ds_read_b64 v[2:3], v8
	s_or_b64 exec, exec, s[0:1]
	s_and_saveexec_b64 s[0:1], vcc
	s_cbranch_execz .LBB1_32
.LBB1_37:
	ds_read_b64 v[4:5], v8 offset:8
	s_or_b64 exec, exec, s[0:1]
	v_mov_b64_e32 v[6:7], 0
	s_and_saveexec_b64 s[0:1], vcc
	s_cbranch_execz .LBB1_33
.LBB1_38:
	ds_read_b64 v[6:7], v8 offset:24
	s_or_b64 exec, exec, s[0:1]
	v_cmp_gt_u32_e32 vcc, 64, v0
	s_and_saveexec_b64 s[0:1], vcc
	s_cbranch_execz .LBB1_34
.LBB1_39:
	s_waitcnt lgkmcnt(0)
	ds_bpermute_b32 v10, v1, v2
	ds_bpermute_b32 v11, v1, v3
	;; [unrolled: 1-line block ×6, first 2 shown]
	v_cmp_neq_f64_e32 vcc, 0, v[6:7]
	s_and_saveexec_b64 s[4:5], vcc
	s_cbranch_execz .LBB1_43
; %bb.40:
	s_waitcnt lgkmcnt(0)
	v_cmp_neq_f64_e32 vcc, 0, v[12:13]
	s_and_saveexec_b64 s[8:9], vcc
	s_cbranch_execz .LBB1_42
; %bb.41:
	v_add_f64 v[14:15], v[6:7], v[12:13]
	v_div_scale_f64 v[16:17], s[14:15], v[14:15], v[14:15], v[12:13]
	v_rcp_f64_e32 v[24:25], v[16:17]
	v_add_f64 v[10:11], v[10:11], -v[2:3]
	v_add_f64 v[4:5], v[4:5], v[8:9]
	v_mul_f64 v[8:9], v[10:11], v[10:11]
	v_fma_f64 v[26:27], -v[16:17], v[24:25], 1.0
	v_fmac_f64_e32 v[24:25], v[24:25], v[26:27]
	v_fma_f64 v[26:27], -v[16:17], v[24:25], 1.0
	v_fmac_f64_e32 v[24:25], v[24:25], v[26:27]
	v_div_scale_f64 v[26:27], vcc, v[12:13], v[14:15], v[12:13]
	v_mul_f64 v[28:29], v[26:27], v[24:25]
	v_fma_f64 v[16:17], -v[16:17], v[28:29], v[26:27]
	v_mul_f64 v[6:7], v[6:7], v[8:9]
	s_nop 0
	v_div_fmas_f64 v[16:17], v[16:17], v[24:25], v[28:29]
	v_div_fixup_f64 v[12:13], v[16:17], v[14:15], v[12:13]
	v_fmac_f64_e32 v[2:3], v[10:11], v[12:13]
	v_fmac_f64_e32 v[4:5], v[6:7], v[12:13]
	v_mov_b64_e32 v[6:7], v[14:15]
.LBB1_42:
	s_or_b64 exec, exec, s[8:9]
	v_mov_b64_e32 v[12:13], v[6:7]
	v_mov_b64_e32 v[8:9], v[4:5]
	v_mov_b64_e32 v[10:11], v[2:3]
.LBB1_43:
	s_or_b64 exec, exec, s[4:5]
	s_waitcnt lgkmcnt(5)
	ds_bpermute_b32 v6, v20, v10
	s_waitcnt lgkmcnt(5)
	ds_bpermute_b32 v7, v20, v11
	s_waitcnt lgkmcnt(5)
	ds_bpermute_b32 v2, v20, v8
	s_waitcnt lgkmcnt(5)
	ds_bpermute_b32 v3, v20, v9
	s_waitcnt lgkmcnt(5)
	ds_bpermute_b32 v14, v20, v12
	s_waitcnt lgkmcnt(5)
	ds_bpermute_b32 v15, v20, v13
	v_cmp_neq_f64_e32 vcc, 0, v[12:13]
	s_and_saveexec_b64 s[4:5], vcc
	s_cbranch_execz .LBB1_47
; %bb.44:
	s_waitcnt lgkmcnt(0)
	v_cmp_neq_f64_e32 vcc, 0, v[14:15]
	s_and_saveexec_b64 s[8:9], vcc
	s_cbranch_execz .LBB1_46
; %bb.45:
	v_add_f64 v[4:5], v[12:13], v[14:15]
	v_div_scale_f64 v[16:17], s[14:15], v[4:5], v[4:5], v[14:15]
	v_rcp_f64_e32 v[24:25], v[16:17]
	v_add_f64 v[6:7], v[6:7], -v[10:11]
	v_add_f64 v[8:9], v[8:9], v[2:3]
	v_mul_f64 v[2:3], v[6:7], v[6:7]
	v_fma_f64 v[26:27], -v[16:17], v[24:25], 1.0
	v_fmac_f64_e32 v[24:25], v[24:25], v[26:27]
	v_fma_f64 v[26:27], -v[16:17], v[24:25], 1.0
	v_fmac_f64_e32 v[24:25], v[24:25], v[26:27]
	v_div_scale_f64 v[26:27], vcc, v[14:15], v[4:5], v[14:15]
	v_mul_f64 v[28:29], v[26:27], v[24:25]
	v_fma_f64 v[16:17], -v[16:17], v[28:29], v[26:27]
	v_mul_f64 v[2:3], v[12:13], v[2:3]
	s_nop 0
	v_div_fmas_f64 v[16:17], v[16:17], v[24:25], v[28:29]
	v_div_fixup_f64 v[14:15], v[16:17], v[4:5], v[14:15]
	v_fmac_f64_e32 v[10:11], v[6:7], v[14:15]
	v_fmac_f64_e32 v[8:9], v[2:3], v[14:15]
	v_mov_b64_e32 v[12:13], v[4:5]
.LBB1_46:
	s_or_b64 exec, exec, s[8:9]
	v_mov_b64_e32 v[14:15], v[12:13]
	v_mov_b64_e32 v[2:3], v[8:9]
	v_mov_b64_e32 v[6:7], v[10:11]
.LBB1_47:
	s_or_b64 exec, exec, s[4:5]
	s_waitcnt lgkmcnt(5)
	ds_bpermute_b32 v8, v21, v6
	s_waitcnt lgkmcnt(5)
	ds_bpermute_b32 v9, v21, v7
	s_waitcnt lgkmcnt(5)
	ds_bpermute_b32 v4, v21, v2
	s_waitcnt lgkmcnt(5)
	ds_bpermute_b32 v5, v21, v3
	s_waitcnt lgkmcnt(5)
	ds_bpermute_b32 v10, v21, v14
	s_waitcnt lgkmcnt(5)
	ds_bpermute_b32 v11, v21, v15
	;; [unrolled: 48-line block ×5, first 2 shown]
	v_cmp_neq_f64_e32 vcc, 0, v[12:13]
	s_and_saveexec_b64 s[4:5], vcc
	s_cbranch_execz .LBB1_63
; %bb.60:
	s_waitcnt lgkmcnt(0)
	v_cmp_neq_f64_e32 vcc, 0, v[6:7]
	s_and_saveexec_b64 s[8:9], vcc
	s_cbranch_execz .LBB1_62
; %bb.61:
	v_add_f64 v[14:15], v[12:13], v[6:7]
	v_div_scale_f64 v[16:17], s[14:15], v[14:15], v[14:15], v[6:7]
	v_rcp_f64_e32 v[18:19], v[16:17]
	v_add_f64 v[2:3], v[2:3], -v[10:11]
	v_add_f64 v[8:9], v[8:9], v[4:5]
	v_fma_f64 v[20:21], -v[16:17], v[18:19], 1.0
	v_fmac_f64_e32 v[18:19], v[18:19], v[20:21]
	v_fma_f64 v[20:21], -v[16:17], v[18:19], 1.0
	v_fmac_f64_e32 v[18:19], v[18:19], v[20:21]
	v_div_scale_f64 v[20:21], vcc, v[6:7], v[14:15], v[6:7]
	v_mul_f64 v[22:23], v[20:21], v[18:19]
	v_fma_f64 v[16:17], -v[16:17], v[22:23], v[20:21]
	s_nop 1
	v_div_fmas_f64 v[16:17], v[16:17], v[18:19], v[22:23]
	v_div_fixup_f64 v[6:7], v[16:17], v[14:15], v[6:7]
	v_fmac_f64_e32 v[10:11], v[2:3], v[6:7]
	v_mul_f64 v[2:3], v[2:3], v[2:3]
	v_mul_f64 v[2:3], v[12:13], v[2:3]
	v_fmac_f64_e32 v[8:9], v[2:3], v[6:7]
	v_mov_b64_e32 v[12:13], v[14:15]
.LBB1_62:
	s_or_b64 exec, exec, s[8:9]
	v_mov_b64_e32 v[6:7], v[12:13]
	v_mov_b64_e32 v[4:5], v[8:9]
	;; [unrolled: 1-line block ×3, first 2 shown]
.LBB1_63:
	s_or_b64 exec, exec, s[4:5]
	s_or_b64 exec, exec, s[0:1]
	v_cmp_eq_u32_e32 vcc, 0, v0
	s_and_saveexec_b64 s[0:1], vcc
	s_cbranch_execz .LBB1_35
.LBB1_64:
	s_waitcnt lgkmcnt(0)
	v_max_f64 v[0:1], v[6:7], v[6:7]
	v_max_f64 v[0:1], v[0:1], 0
	v_div_scale_f64 v[6:7], s[0:1], v[0:1], v[0:1], v[4:5]
	v_rcp_f64_e32 v[8:9], v[6:7]
	v_div_scale_f64 v[10:11], vcc, v[4:5], v[0:1], v[4:5]
	s_lshl_b64 s[0:1], s[2:3], 3
	v_fma_f64 v[12:13], -v[6:7], v[8:9], 1.0
	v_fmac_f64_e32 v[8:9], v[8:9], v[12:13]
	v_fma_f64 v[12:13], -v[6:7], v[8:9], 1.0
	v_fmac_f64_e32 v[8:9], v[8:9], v[12:13]
	v_mul_f64 v[12:13], v[10:11], v[8:9]
	v_fma_f64 v[6:7], -v[6:7], v[12:13], v[10:11]
	v_div_fmas_f64 v[6:7], v[6:7], v[8:9], v[12:13]
	v_div_fixup_f64 v[0:1], v[6:7], v[0:1], v[4:5]
	v_add_f64 v[0:1], v[0:1], s[6:7]
	v_rsq_f64_e32 v[4:5], v[0:1]
	s_add_u32 s2, s10, s0
	s_addc_u32 s3, s11, s1
	v_mov_b32_e32 v6, 0
	global_store_dwordx2 v6, v[2:3], s[2:3]
	v_mul_f64 v[0:1], v[4:5], -v[0:1]
	s_mov_b32 s2, 0
	v_fma_f64 v[0:1], v[0:1], v[4:5], 1.0
	s_mov_b32 s3, 0x3fd80000
	v_mul_f64 v[2:3], v[4:5], v[0:1]
	v_fma_f64 v[0:1], v[0:1], s[2:3], 0.5
	v_fma_f64 v[0:1], v[2:3], v[0:1], v[4:5]
	v_mov_b32_e32 v2, 0x180
	v_cmp_class_f64_e32 vcc, v[4:5], v2
	s_add_u32 s0, s12, s0
	s_addc_u32 s1, s13, s1
	v_cndmask_b32_e32 v1, v5, v1, vcc
	v_cndmask_b32_e32 v0, v4, v0, vcc
	global_store_dwordx2 v6, v[0:1], s[0:1]
	s_endpgm
	.section	.rodata,"a",@progbits
	.p2align	6, 0x0
	.amdhsa_kernel _ZN2at6native12_GLOBAL__N_124RowwiseMomentsCUDAKernelIddLb0EEEvlT0_PKT_PS3_S7_
		.amdhsa_group_segment_fixed_size 2048
		.amdhsa_private_segment_fixed_size 0
		.amdhsa_kernarg_size 296
		.amdhsa_user_sgpr_count 2
		.amdhsa_user_sgpr_dispatch_ptr 0
		.amdhsa_user_sgpr_queue_ptr 0
		.amdhsa_user_sgpr_kernarg_segment_ptr 1
		.amdhsa_user_sgpr_dispatch_id 0
		.amdhsa_user_sgpr_kernarg_preload_length 0
		.amdhsa_user_sgpr_kernarg_preload_offset 0
		.amdhsa_user_sgpr_private_segment_size 0
		.amdhsa_uses_dynamic_stack 0
		.amdhsa_enable_private_segment 0
		.amdhsa_system_sgpr_workgroup_id_x 1
		.amdhsa_system_sgpr_workgroup_id_y 0
		.amdhsa_system_sgpr_workgroup_id_z 0
		.amdhsa_system_sgpr_workgroup_info 0
		.amdhsa_system_vgpr_workitem_id 0
		.amdhsa_next_free_vgpr 30
		.amdhsa_next_free_sgpr 24
		.amdhsa_accum_offset 32
		.amdhsa_reserve_vcc 1
		.amdhsa_float_round_mode_32 0
		.amdhsa_float_round_mode_16_64 0
		.amdhsa_float_denorm_mode_32 3
		.amdhsa_float_denorm_mode_16_64 3
		.amdhsa_dx10_clamp 1
		.amdhsa_ieee_mode 1
		.amdhsa_fp16_overflow 0
		.amdhsa_tg_split 0
		.amdhsa_exception_fp_ieee_invalid_op 0
		.amdhsa_exception_fp_denorm_src 0
		.amdhsa_exception_fp_ieee_div_zero 0
		.amdhsa_exception_fp_ieee_overflow 0
		.amdhsa_exception_fp_ieee_underflow 0
		.amdhsa_exception_fp_ieee_inexact 0
		.amdhsa_exception_int_div_zero 0
	.end_amdhsa_kernel
	.section	.text._ZN2at6native12_GLOBAL__N_124RowwiseMomentsCUDAKernelIddLb0EEEvlT0_PKT_PS3_S7_,"axG",@progbits,_ZN2at6native12_GLOBAL__N_124RowwiseMomentsCUDAKernelIddLb0EEEvlT0_PKT_PS3_S7_,comdat
.Lfunc_end1:
	.size	_ZN2at6native12_GLOBAL__N_124RowwiseMomentsCUDAKernelIddLb0EEEvlT0_PKT_PS3_S7_, .Lfunc_end1-_ZN2at6native12_GLOBAL__N_124RowwiseMomentsCUDAKernelIddLb0EEEvlT0_PKT_PS3_S7_
                                        ; -- End function
	.section	.AMDGPU.csdata,"",@progbits
; Kernel info:
; codeLenInByte = 4156
; NumSgprs: 30
; NumVgprs: 30
; NumAgprs: 0
; TotalNumVgprs: 30
; ScratchSize: 0
; MemoryBound: 0
; FloatMode: 240
; IeeeMode: 1
; LDSByteSize: 2048 bytes/workgroup (compile time only)
; SGPRBlocks: 3
; VGPRBlocks: 3
; NumSGPRsForWavesPerEU: 30
; NumVGPRsForWavesPerEU: 30
; AccumOffset: 32
; Occupancy: 8
; WaveLimiterHint : 0
; COMPUTE_PGM_RSRC2:SCRATCH_EN: 0
; COMPUTE_PGM_RSRC2:USER_SGPR: 2
; COMPUTE_PGM_RSRC2:TRAP_HANDLER: 0
; COMPUTE_PGM_RSRC2:TGID_X_EN: 1
; COMPUTE_PGM_RSRC2:TGID_Y_EN: 0
; COMPUTE_PGM_RSRC2:TGID_Z_EN: 0
; COMPUTE_PGM_RSRC2:TIDIG_COMP_CNT: 0
; COMPUTE_PGM_RSRC3_GFX90A:ACCUM_OFFSET: 7
; COMPUTE_PGM_RSRC3_GFX90A:TG_SPLIT: 0
	.section	.text._ZN2at6native12_GLOBAL__N_126LayerNormForwardCUDAKernelIddLb0EEEvlPKT_PKT0_S8_S5_S5_PS3_,"axG",@progbits,_ZN2at6native12_GLOBAL__N_126LayerNormForwardCUDAKernelIddLb0EEEvlPKT_PKT0_S8_S5_S5_PS3_,comdat
	.globl	_ZN2at6native12_GLOBAL__N_126LayerNormForwardCUDAKernelIddLb0EEEvlPKT_PKT0_S8_S5_S5_PS3_ ; -- Begin function _ZN2at6native12_GLOBAL__N_126LayerNormForwardCUDAKernelIddLb0EEEvlPKT_PKT0_S8_S5_S5_PS3_
	.p2align	8
	.type	_ZN2at6native12_GLOBAL__N_126LayerNormForwardCUDAKernelIddLb0EEEvlPKT_PKT0_S8_S5_S5_PS3_,@function
_ZN2at6native12_GLOBAL__N_126LayerNormForwardCUDAKernelIddLb0EEEvlPKT_PKT0_S8_S5_S5_PS3_: ; @_ZN2at6native12_GLOBAL__N_126LayerNormForwardCUDAKernelIddLb0EEEvlPKT_PKT0_S8_S5_S5_PS3_
; %bb.0:
	s_load_dwordx8 s[8:15], s[0:1], 0x0
	v_mov_b32_e32 v1, 0
	s_waitcnt lgkmcnt(0)
	v_cmp_gt_i64_e32 vcc, s[8:9], v[0:1]
	s_and_saveexec_b64 s[4:5], vcc
	s_cbranch_execz .LBB2_8
; %bb.1:
	s_load_dwordx8 s[16:23], s[0:1], 0x20
	s_mov_b32 s3, 0
	s_load_dword s0, s[0:1], 0x44
	s_mul_hi_u32 s1, s8, s2
	s_mov_b64 s[6:7], 0
	s_waitcnt lgkmcnt(0)
	s_cmp_lg_u64 s[16:17], 0
	s_cselect_b64 s[4:5], -1, 0
	s_cmp_lg_u64 s[18:19], 0
	s_cselect_b64 s[24:25], -1, 0
	s_lshl_b64 s[22:23], s[2:3], 3
	s_add_u32 s12, s12, s22
	s_addc_u32 s13, s13, s23
	s_add_u32 s14, s14, s22
	s_addc_u32 s15, s15, s23
	s_and_b32 s22, s0, 0xffff
	s_mul_i32 s0, s9, s2
	s_add_i32 s1, s1, s0
	s_mul_i32 s0, s8, s2
	s_lshl_b64 s[0:1], s[0:1], 3
	s_add_u32 s10, s10, s0
	s_addc_u32 s11, s11, s1
	s_lshl_b32 s2, s22, 3
	s_add_u32 s20, s20, s0
	v_cndmask_b32_e64 v4, 0, 1, s[4:5]
	v_cndmask_b32_e64 v5, 0, 1, s[24:25]
	s_mov_b32 s23, s3
	v_lshlrev_b32_e32 v2, 3, v0
	v_mov_b32_e32 v3, v1
	s_addc_u32 s21, s21, s1
	v_cmp_ne_u32_e64 s[0:1], 1, v4
	v_cmp_ne_u32_e64 s[4:5], 1, v5
	v_mov_b64_e32 v[4:5], v[0:1]
	s_branch .LBB2_4
.LBB2_2:                                ;   in Loop: Header=BB2_4 Depth=1
	v_lshl_add_u64 v[8:9], s[18:19], 0, v[2:3]
	global_load_dwordx2 v[8:9], v[8:9], off
.LBB2_3:                                ;   in Loop: Header=BB2_4 Depth=1
	v_lshl_add_u64 v[10:11], s[10:11], 0, v[2:3]
	global_load_dwordx2 v[12:13], v[10:11], off
	global_load_dwordx2 v[14:15], v1, s[12:13]
	global_load_dwordx2 v[16:17], v1, s[14:15]
	v_lshl_add_u64 v[4:5], v[4:5], 0, s[22:23]
	v_cmp_le_i64_e32 vcc, s[8:9], v[4:5]
	v_lshl_add_u64 v[10:11], s[20:21], 0, v[2:3]
	s_or_b64 s[6:7], vcc, s[6:7]
	v_lshl_add_u64 v[2:3], v[2:3], 0, s[2:3]
	s_waitcnt vmcnt(1)
	v_add_f64 v[12:13], v[12:13], -v[14:15]
	s_waitcnt vmcnt(0)
	v_mul_f64 v[12:13], v[12:13], v[16:17]
	v_fmac_f64_e32 v[8:9], v[6:7], v[12:13]
	global_store_dwordx2 v[10:11], v[8:9], off
	s_andn2_b64 exec, exec, s[6:7]
	s_cbranch_execz .LBB2_8
.LBB2_4:                                ; =>This Inner Loop Header: Depth=1
	s_and_b64 vcc, exec, s[0:1]
	s_cbranch_vccnz .LBB2_6
; %bb.5:                                ;   in Loop: Header=BB2_4 Depth=1
	v_lshl_add_u64 v[6:7], s[16:17], 0, v[2:3]
	global_load_dwordx2 v[6:7], v[6:7], off
	s_and_b64 vcc, exec, s[4:5]
	s_cbranch_vccz .LBB2_2
	s_branch .LBB2_7
.LBB2_6:                                ;   in Loop: Header=BB2_4 Depth=1
	v_mov_b64_e32 v[6:7], 1.0
	s_and_b64 vcc, exec, s[4:5]
	s_cbranch_vccz .LBB2_2
.LBB2_7:                                ;   in Loop: Header=BB2_4 Depth=1
	v_mov_b64_e32 v[8:9], 0
	s_branch .LBB2_3
.LBB2_8:
	s_endpgm
	.section	.rodata,"a",@progbits
	.p2align	6, 0x0
	.amdhsa_kernel _ZN2at6native12_GLOBAL__N_126LayerNormForwardCUDAKernelIddLb0EEEvlPKT_PKT0_S8_S5_S5_PS3_
		.amdhsa_group_segment_fixed_size 0
		.amdhsa_private_segment_fixed_size 0
		.amdhsa_kernarg_size 312
		.amdhsa_user_sgpr_count 2
		.amdhsa_user_sgpr_dispatch_ptr 0
		.amdhsa_user_sgpr_queue_ptr 0
		.amdhsa_user_sgpr_kernarg_segment_ptr 1
		.amdhsa_user_sgpr_dispatch_id 0
		.amdhsa_user_sgpr_kernarg_preload_length 0
		.amdhsa_user_sgpr_kernarg_preload_offset 0
		.amdhsa_user_sgpr_private_segment_size 0
		.amdhsa_uses_dynamic_stack 0
		.amdhsa_enable_private_segment 0
		.amdhsa_system_sgpr_workgroup_id_x 1
		.amdhsa_system_sgpr_workgroup_id_y 0
		.amdhsa_system_sgpr_workgroup_id_z 0
		.amdhsa_system_sgpr_workgroup_info 0
		.amdhsa_system_vgpr_workitem_id 0
		.amdhsa_next_free_vgpr 18
		.amdhsa_next_free_sgpr 26
		.amdhsa_accum_offset 20
		.amdhsa_reserve_vcc 1
		.amdhsa_float_round_mode_32 0
		.amdhsa_float_round_mode_16_64 0
		.amdhsa_float_denorm_mode_32 3
		.amdhsa_float_denorm_mode_16_64 3
		.amdhsa_dx10_clamp 1
		.amdhsa_ieee_mode 1
		.amdhsa_fp16_overflow 0
		.amdhsa_tg_split 0
		.amdhsa_exception_fp_ieee_invalid_op 0
		.amdhsa_exception_fp_denorm_src 0
		.amdhsa_exception_fp_ieee_div_zero 0
		.amdhsa_exception_fp_ieee_overflow 0
		.amdhsa_exception_fp_ieee_underflow 0
		.amdhsa_exception_fp_ieee_inexact 0
		.amdhsa_exception_int_div_zero 0
	.end_amdhsa_kernel
	.section	.text._ZN2at6native12_GLOBAL__N_126LayerNormForwardCUDAKernelIddLb0EEEvlPKT_PKT0_S8_S5_S5_PS3_,"axG",@progbits,_ZN2at6native12_GLOBAL__N_126LayerNormForwardCUDAKernelIddLb0EEEvlPKT_PKT0_S8_S5_S5_PS3_,comdat
.Lfunc_end2:
	.size	_ZN2at6native12_GLOBAL__N_126LayerNormForwardCUDAKernelIddLb0EEEvlPKT_PKT0_S8_S5_S5_PS3_, .Lfunc_end2-_ZN2at6native12_GLOBAL__N_126LayerNormForwardCUDAKernelIddLb0EEEvlPKT_PKT0_S8_S5_S5_PS3_
                                        ; -- End function
	.section	.AMDGPU.csdata,"",@progbits
; Kernel info:
; codeLenInByte = 376
; NumSgprs: 32
; NumVgprs: 18
; NumAgprs: 0
; TotalNumVgprs: 18
; ScratchSize: 0
; MemoryBound: 0
; FloatMode: 240
; IeeeMode: 1
; LDSByteSize: 0 bytes/workgroup (compile time only)
; SGPRBlocks: 3
; VGPRBlocks: 2
; NumSGPRsForWavesPerEU: 32
; NumVGPRsForWavesPerEU: 18
; AccumOffset: 20
; Occupancy: 8
; WaveLimiterHint : 0
; COMPUTE_PGM_RSRC2:SCRATCH_EN: 0
; COMPUTE_PGM_RSRC2:USER_SGPR: 2
; COMPUTE_PGM_RSRC2:TRAP_HANDLER: 0
; COMPUTE_PGM_RSRC2:TGID_X_EN: 1
; COMPUTE_PGM_RSRC2:TGID_Y_EN: 0
; COMPUTE_PGM_RSRC2:TGID_Z_EN: 0
; COMPUTE_PGM_RSRC2:TIDIG_COMP_CNT: 0
; COMPUTE_PGM_RSRC3_GFX90A:ACCUM_OFFSET: 4
; COMPUTE_PGM_RSRC3_GFX90A:TG_SPLIT: 0
	.section	.text._ZN2at6native12_GLOBAL__N_128vectorized_layer_norm_kernelIffLb0EEEviT0_PKT_S6_S6_PS3_S7_PS4_,"axG",@progbits,_ZN2at6native12_GLOBAL__N_128vectorized_layer_norm_kernelIffLb0EEEviT0_PKT_S6_S6_PS3_S7_PS4_,comdat
	.globl	_ZN2at6native12_GLOBAL__N_128vectorized_layer_norm_kernelIffLb0EEEviT0_PKT_S6_S6_PS3_S7_PS4_ ; -- Begin function _ZN2at6native12_GLOBAL__N_128vectorized_layer_norm_kernelIffLb0EEEviT0_PKT_S6_S6_PS3_S7_PS4_
	.p2align	8
	.type	_ZN2at6native12_GLOBAL__N_128vectorized_layer_norm_kernelIffLb0EEEviT0_PKT_S6_S6_PS3_S7_PS4_,@function
_ZN2at6native12_GLOBAL__N_128vectorized_layer_norm_kernelIffLb0EEEviT0_PKT_S6_S6_PS3_S7_PS4_: ; @_ZN2at6native12_GLOBAL__N_128vectorized_layer_norm_kernelIffLb0EEEviT0_PKT_S6_S6_PS3_S7_PS4_
; %bb.0:
	s_load_dwordx4 s[16:19], s[0:1], 0x0
	s_load_dword s4, s[0:1], 0x44
	v_and_b32_e32 v15, 0x3ff, v0
	v_bfe_u32 v16, v0, 10, 10
	s_mov_b32 s3, 0
	s_waitcnt lgkmcnt(0)
	s_ashr_i32 s5, s16, 31
	s_lshr_b32 s26, s4, 16
	s_and_b32 s4, s4, 0xffff
	s_mul_i32 s20, s26, s4
	v_mul_u32_u24_e32 v0, s4, v16
	v_mad_u32_u24 v14, v16, s4, v15
	s_lshr_b32 s4, s5, 30
	s_add_i32 s4, s16, s4
	s_mul_hi_u32 s6, s16, s2
	s_mul_i32 s7, s5, s2
	s_ashr_i32 s30, s4, 2
	s_add_i32 s23, s6, s7
	s_mul_i32 s22, s16, s2
	v_cmp_gt_i32_e64 s[4:5], s30, v14
	v_mov_b32_e32 v9, 0
	v_add_lshl_u32 v8, v0, v15, 4
	v_mov_b32_e32 v5, 0
	v_mov_b32_e32 v4, 0
	s_and_saveexec_b64 s[12:13], s[4:5]
	s_cbranch_execz .LBB3_4
; %bb.1:
	s_lshl_b64 s[6:7], s[22:23], 2
	s_add_u32 s6, s18, s6
	v_mov_b32_e32 v9, 0
	s_addc_u32 s7, s19, s7
	v_lshl_add_u64 v[0:1], s[6:7], 0, v[8:9]
	s_ashr_i32 s21, s20, 31
	v_lshl_add_u64 v[6:7], v[0:1], 0, 8
	s_lshl_b64 s[24:25], s[20:21], 4
	s_mov_b64 s[14:15], 0
	v_mov_b32_e32 v10, v14
	v_mov_b32_e32 v5, v9
	;; [unrolled: 1-line block ×3, first 2 shown]
.LBB3_2:                                ; =>This Inner Loop Header: Depth=1
	global_load_dwordx4 v[0:3], v[6:7], off offset:-8
	v_add_f32_e32 v11, 1.0, v9
	v_add_u32_e32 v10, s20, v10
	v_div_scale_f32 v12, s[6:7], v11, v11, 1.0
	v_add_f32_e32 v17, 1.0, v11
	v_cmp_le_i32_e64 s[6:7], s30, v10
	v_rcp_f32_e32 v18, v12
	v_div_scale_f32 v19, s[8:9], v17, v17, 1.0
	v_add_f32_e32 v21, 1.0, v17
	s_or_b64 s[14:15], s[6:7], s[14:15]
	v_rcp_f32_e32 v22, v19
	v_div_scale_f32 v23, s[6:7], v21, v21, 1.0
	v_add_f32_e32 v9, 1.0, v21
	v_rcp_f32_e32 v25, v23
	v_div_scale_f32 v26, s[10:11], v9, v9, 1.0
	v_rcp_f32_e32 v28, v26
	v_fma_f32 v29, -v12, v18, 1.0
	v_div_scale_f32 v13, vcc, 1.0, v11, 1.0
	v_fmac_f32_e32 v18, v29, v18
	v_fma_f32 v29, -v19, v22, 1.0
	v_div_scale_f32 v20, s[8:9], 1.0, v17, 1.0
	v_mul_f32_e32 v30, v13, v18
	v_fmac_f32_e32 v22, v29, v22
	v_fma_f32 v29, -v23, v25, 1.0
	v_div_scale_f32 v24, s[6:7], 1.0, v21, 1.0
	v_fma_f32 v31, -v12, v30, v13
	v_mul_f32_e32 v32, v20, v22
	v_fmac_f32_e32 v25, v29, v25
	v_fma_f32 v29, -v26, v28, 1.0
	v_div_scale_f32 v27, s[10:11], 1.0, v9, 1.0
	v_fmac_f32_e32 v30, v31, v18
	v_fma_f32 v31, -v19, v32, v20
	v_mul_f32_e32 v33, v24, v25
	v_fmac_f32_e32 v28, v29, v28
	v_fma_f32 v12, -v12, v30, v13
	v_fmac_f32_e32 v32, v31, v22
	v_fma_f32 v13, -v23, v33, v24
	v_mul_f32_e32 v29, v27, v28
	v_div_fmas_f32 v12, v12, v18, v30
	v_fma_f32 v18, -v19, v32, v20
	v_fmac_f32_e32 v33, v13, v25
	v_fma_f32 v13, -v26, v29, v27
	s_mov_b64 vcc, s[8:9]
	v_div_fixup_f32 v11, v12, v11, 1.0
	v_div_fmas_f32 v12, v18, v22, v32
	v_fma_f32 v18, -v23, v33, v24
	v_fmac_f32_e32 v29, v13, v28
	s_mov_b64 vcc, s[6:7]
	v_div_fixup_f32 v13, v12, v17, 1.0
	v_div_fmas_f32 v12, v18, v25, v33
	v_fma_f32 v17, -v26, v29, v27
	s_mov_b64 vcc, s[10:11]
	v_div_fixup_f32 v21, v12, v21, 1.0
	v_div_fmas_f32 v12, v17, v28, v29
	v_div_fixup_f32 v17, v12, v9, 1.0
	v_lshl_add_u64 v[6:7], v[6:7], 0, s[24:25]
	s_waitcnt vmcnt(0)
	v_sub_f32_e32 v12, v0, v4
	v_fmac_f32_e32 v4, v11, v12
	v_pk_add_f32 v[18:19], v[0:1], v[4:5] op_sel_hi:[1,0] neg_lo:[0,1] neg_hi:[0,1]
	s_nop 0
	v_fmac_f32_e32 v4, v13, v19
	v_sub_f32_e32 v13, v1, v4
	v_sub_f32_e32 v0, v2, v4
	v_mov_b32_e32 v20, v4
	v_pk_mul_f32 v[12:13], v[18:19], v[12:13]
	v_fmac_f32_e32 v20, v21, v0
	v_add_f32_e32 v4, v5, v12
	v_sub_f32_e32 v1, v3, v20
	v_add_f32_e32 v5, v4, v13
	v_fma_f32 v4, v17, v1, v20
	v_mov_b32_e32 v21, v4
	v_pk_add_f32 v[2:3], v[2:3], v[20:21] neg_lo:[0,1] neg_hi:[0,1]
	s_nop 0
	v_pk_mul_f32 v[0:1], v[0:1], v[2:3]
	s_nop 0
	v_add_f32_e32 v0, v5, v0
	v_add_f32_e32 v5, v0, v1
	s_andn2_b64 exec, exec, s[14:15]
	s_cbranch_execnz .LBB3_2
; %bb.3:
	s_or_b64 exec, exec, s[14:15]
.LBB3_4:
	s_or_b64 exec, exec, s[12:13]
	v_mbcnt_lo_u32_b32 v0, -1, 0
	v_mbcnt_hi_u32_b32 v17, -1, v0
	v_and_b32_e32 v18, 63, v17
	v_cmp_gt_u32_e32 vcc, 32, v18
	v_mov_b32_e32 v2, 0
	v_mov_b32_e32 v3, 0
	v_cndmask_b32_e64 v0, 0, 1, vcc
	v_lshlrev_b32_e32 v0, 5, v0
	v_add_lshl_u32 v1, v0, v17, 2
	ds_bpermute_b32 v10, v1, v9
	ds_bpermute_b32 v6, v1, v4
	;; [unrolled: 1-line block ×3, first 2 shown]
	v_mov_b32_e32 v0, 0
	s_waitcnt lgkmcnt(2)
	v_add_f32_e32 v12, v9, v10
	v_cmp_lt_f32_e32 vcc, 0, v12
	s_and_saveexec_b64 s[6:7], vcc
	s_cbranch_execz .LBB3_6
; %bb.5:
	v_div_scale_f32 v2, s[8:9], v12, v12, 1.0
	v_rcp_f32_e32 v3, v2
	s_waitcnt lgkmcnt(1)
	v_sub_f32_e32 v11, v4, v6
	s_waitcnt lgkmcnt(0)
	v_add_f32_e32 v5, v5, v1
	v_fma_f32 v7, -v2, v3, 1.0
	v_fmac_f32_e32 v3, v7, v3
	v_div_scale_f32 v7, vcc, 1.0, v12, 1.0
	v_mul_f32_e32 v13, v7, v3
	v_fma_f32 v19, -v2, v13, v7
	v_fmac_f32_e32 v13, v19, v3
	v_fma_f32 v2, -v2, v13, v7
	v_div_fmas_f32 v2, v2, v3, v13
	v_div_fixup_f32 v2, v2, v12, 1.0
	v_mul_f32_e32 v7, v9, v2
	v_mul_f32_e32 v3, v11, v11
	;; [unrolled: 1-line block ×3, first 2 shown]
	v_pk_mul_f32 v[2:3], v[2:3], v[10:11] op_sel_hi:[1,0]
	s_nop 0
	v_pk_fma_f32 v[2:3], v[2:3], v[6:7], v[4:5]
.LBB3_6:
	s_or_b64 exec, exec, s[6:7]
	v_cmp_gt_u32_e32 vcc, 48, v18
	s_waitcnt lgkmcnt(0)
	s_nop 0
	v_cndmask_b32_e64 v1, 0, 1, vcc
	v_lshlrev_b32_e32 v1, 4, v1
	v_add_lshl_u32 v1, v1, v17, 2
	ds_bpermute_b32 v6, v1, v12
	ds_bpermute_b32 v4, v1, v2
	;; [unrolled: 1-line block ×3, first 2 shown]
	v_mov_b32_e32 v1, 0
	s_waitcnt lgkmcnt(2)
	v_add_f32_e32 v7, v12, v6
	v_cmp_lt_f32_e32 vcc, 0, v7
	s_and_saveexec_b64 s[6:7], vcc
	s_cbranch_execz .LBB3_8
; %bb.7:
	v_div_scale_f32 v0, s[8:9], v7, v7, 1.0
	v_rcp_f32_e32 v1, v0
	s_waitcnt lgkmcnt(1)
	v_sub_f32_e32 v5, v2, v4
	v_fma_f32 v9, -v0, v1, 1.0
	v_fmac_f32_e32 v1, v9, v1
	v_div_scale_f32 v9, vcc, 1.0, v7, 1.0
	v_mul_f32_e32 v10, v9, v1
	v_fma_f32 v13, -v0, v10, v9
	v_fmac_f32_e32 v10, v13, v1
	v_fma_f32 v0, -v0, v10, v9
	v_div_fmas_f32 v0, v0, v1, v10
	v_div_fixup_f32 v0, v0, v7, 1.0
	v_mul_f32_e32 v10, v12, v0
	s_waitcnt lgkmcnt(0)
	v_pk_mul_f32 v[12:13], v[2:3], v[10:11]
	v_pk_add_f32 v[2:3], v[2:3], v[10:11]
	v_mul_f32_e32 v1, v5, v5
	v_mov_b32_e32 v13, v3
	v_pk_mul_f32 v[0:1], v[0:1], v[6:7] op_sel_hi:[1,0]
	v_mov_b32_e32 v5, v10
	v_pk_fma_f32 v[0:1], v[0:1], v[4:5], v[12:13]
.LBB3_8:
	s_or_b64 exec, exec, s[6:7]
	v_cmp_gt_u32_e32 vcc, 56, v18
	s_waitcnt lgkmcnt(1)
	v_mov_b32_e32 v4, 0
	v_mov_b32_e32 v5, 0
	v_cndmask_b32_e64 v2, 0, 1, vcc
	v_lshlrev_b32_e32 v2, 3, v2
	v_add_lshl_u32 v3, v2, v17, 2
	ds_bpermute_b32 v6, v3, v7
	ds_bpermute_b32 v10, v3, v0
	;; [unrolled: 1-line block ×3, first 2 shown]
	v_mov_b32_e32 v2, 0
	s_waitcnt lgkmcnt(2)
	v_add_f32_e32 v9, v7, v6
	v_cmp_lt_f32_e32 vcc, 0, v9
	s_and_saveexec_b64 s[6:7], vcc
	s_cbranch_execz .LBB3_10
; %bb.9:
	v_div_scale_f32 v3, s[8:9], v9, v9, 1.0
	v_rcp_f32_e32 v4, v3
	s_waitcnt lgkmcnt(1)
	v_sub_f32_e32 v5, v0, v10
	v_mul_f32_e32 v5, v5, v5
	v_fma_f32 v11, -v3, v4, 1.0
	v_fmac_f32_e32 v4, v11, v4
	v_div_scale_f32 v11, vcc, 1.0, v9, 1.0
	v_mul_f32_e32 v12, v11, v4
	v_fma_f32 v19, -v3, v12, v11
	v_fmac_f32_e32 v12, v19, v4
	v_fma_f32 v3, -v3, v12, v11
	v_div_fmas_f32 v3, v3, v4, v12
	v_div_fixup_f32 v4, v3, v9, 1.0
	v_mul_f32_e32 v12, v7, v4
	s_waitcnt lgkmcnt(0)
	v_pk_mul_f32 v[20:21], v[0:1], v[12:13]
	v_pk_add_f32 v[0:1], v[0:1], v[12:13]
	v_mov_b32_e32 v11, v12
	v_mov_b32_e32 v21, v1
	v_pk_mul_f32 v[0:1], v[4:5], v[6:7] op_sel_hi:[1,0]
	s_nop 0
	v_pk_fma_f32 v[4:5], v[0:1], v[10:11], v[20:21]
.LBB3_10:
	s_or_b64 exec, exec, s[6:7]
	v_cmp_gt_u32_e32 vcc, 60, v18
	v_mov_b32_e32 v3, 0
	s_nop 0
	v_cndmask_b32_e64 v0, 0, 1, vcc
	v_lshlrev_b32_e32 v0, 2, v0
	v_add_lshl_u32 v1, v0, v17, 2
	ds_bpermute_b32 v6, v1, v9
	ds_bpermute_b32 v0, v1, v4
	;; [unrolled: 1-line block ×3, first 2 shown]
	s_waitcnt lgkmcnt(2)
	v_add_f32_e32 v7, v9, v6
	v_cmp_lt_f32_e32 vcc, 0, v7
	s_and_saveexec_b64 s[6:7], vcc
	s_cbranch_execz .LBB3_12
; %bb.11:
	v_div_scale_f32 v1, s[8:9], v7, v7, 1.0
	v_rcp_f32_e32 v2, v1
	s_waitcnt lgkmcnt(1)
	v_sub_f32_e32 v3, v4, v0
	v_mul_f32_e32 v3, v3, v3
	v_fma_f32 v10, -v1, v2, 1.0
	v_fmac_f32_e32 v2, v10, v2
	v_div_scale_f32 v10, vcc, 1.0, v7, 1.0
	v_mul_f32_e32 v12, v10, v2
	v_fma_f32 v13, -v1, v12, v10
	v_fmac_f32_e32 v12, v13, v2
	v_fma_f32 v1, -v1, v12, v10
	v_div_fmas_f32 v1, v1, v2, v12
	v_div_fixup_f32 v2, v1, v7, 1.0
	v_mul_f32_e32 v10, v9, v2
	s_waitcnt lgkmcnt(0)
	v_pk_mul_f32 v[12:13], v[4:5], v[10:11]
	v_pk_add_f32 v[4:5], v[4:5], v[10:11]
	v_pk_mul_f32 v[2:3], v[2:3], v[6:7] op_sel_hi:[1,0]
	v_mov_b32_e32 v13, v5
	v_mov_b32_e32 v1, v10
	v_pk_fma_f32 v[2:3], v[2:3], v[0:1], v[12:13]
.LBB3_12:
	s_or_b64 exec, exec, s[6:7]
	v_cmp_gt_u32_e32 vcc, 62, v18
	v_mov_b32_e32 v4, 0
	v_mov_b32_e32 v5, 0
	s_waitcnt lgkmcnt(1)
	v_cndmask_b32_e64 v0, 0, 1, vcc
	v_lshlrev_b32_e32 v0, 1, v0
	v_add_lshl_u32 v1, v0, v17, 2
	ds_bpermute_b32 v6, v1, v7
	ds_bpermute_b32 v10, v1, v2
	;; [unrolled: 1-line block ×3, first 2 shown]
	v_mov_b32_e32 v0, 0
	s_waitcnt lgkmcnt(2)
	v_add_f32_e32 v9, v7, v6
	v_cmp_lt_f32_e32 vcc, 0, v9
	s_and_saveexec_b64 s[6:7], vcc
	s_cbranch_execz .LBB3_14
; %bb.13:
	v_div_scale_f32 v1, s[8:9], v9, v9, 1.0
	v_rcp_f32_e32 v4, v1
	s_waitcnt lgkmcnt(1)
	v_sub_f32_e32 v5, v2, v10
	v_mul_f32_e32 v5, v5, v5
	v_fma_f32 v11, -v1, v4, 1.0
	v_fmac_f32_e32 v4, v11, v4
	v_div_scale_f32 v11, vcc, 1.0, v9, 1.0
	v_mul_f32_e32 v12, v11, v4
	v_fma_f32 v19, -v1, v12, v11
	v_fmac_f32_e32 v12, v19, v4
	v_fma_f32 v1, -v1, v12, v11
	v_div_fmas_f32 v1, v1, v4, v12
	v_div_fixup_f32 v4, v1, v9, 1.0
	v_mul_f32_e32 v12, v7, v4
	s_waitcnt lgkmcnt(0)
	v_pk_mul_f32 v[20:21], v[2:3], v[12:13]
	v_pk_add_f32 v[2:3], v[2:3], v[12:13]
	v_mov_b32_e32 v11, v12
	v_mov_b32_e32 v21, v3
	v_pk_mul_f32 v[2:3], v[4:5], v[6:7] op_sel_hi:[1,0]
	s_nop 0
	v_pk_fma_f32 v[4:5], v[2:3], v[10:11], v[20:21]
.LBB3_14:
	s_or_b64 exec, exec, s[6:7]
	v_cmp_ne_u32_e32 vcc, 63, v18
	s_nop 1
	v_addc_co_u32_e32 v1, vcc, 0, v17, vcc
	v_lshlrev_b32_e32 v1, 2, v1
	ds_bpermute_b32 v6, v1, v9
	ds_bpermute_b32 v2, v1, v4
	ds_bpermute_b32 v11, v1, v5
	v_mov_b32_e32 v1, 0
	s_waitcnt lgkmcnt(2)
	v_add_f32_e32 v7, v9, v6
	v_cmp_lt_f32_e32 vcc, 0, v7
	s_and_saveexec_b64 s[6:7], vcc
	s_cbranch_execz .LBB3_16
; %bb.15:
	v_div_scale_f32 v0, s[8:9], v7, v7, 1.0
	v_rcp_f32_e32 v1, v0
	s_waitcnt lgkmcnt(1)
	v_sub_f32_e32 v3, v4, v2
	v_fma_f32 v10, -v0, v1, 1.0
	v_fmac_f32_e32 v1, v10, v1
	v_div_scale_f32 v10, vcc, 1.0, v7, 1.0
	v_mul_f32_e32 v12, v10, v1
	v_fma_f32 v13, -v0, v12, v10
	v_fmac_f32_e32 v12, v13, v1
	v_fma_f32 v0, -v0, v12, v10
	v_div_fmas_f32 v0, v0, v1, v12
	v_div_fixup_f32 v0, v0, v7, 1.0
	v_mul_f32_e32 v10, v9, v0
	s_waitcnt lgkmcnt(0)
	v_pk_mul_f32 v[12:13], v[4:5], v[10:11]
	v_pk_add_f32 v[4:5], v[4:5], v[10:11]
	v_mul_f32_e32 v1, v3, v3
	v_mov_b32_e32 v13, v5
	v_pk_mul_f32 v[0:1], v[0:1], v[6:7] op_sel_hi:[1,0]
	v_mov_b32_e32 v3, v10
	v_pk_fma_f32 v[0:1], v[0:1], v[2:3], v[12:13]
.LBB3_16:
	s_or_b64 exec, exec, s[6:7]
	s_cmp_lt_u32 s26, 2
	s_cbranch_scc0 .LBB3_18
; %bb.17:
	s_waitcnt lgkmcnt(1)
	v_lshlrev_b32_e32 v2, 2, v17
	v_and_b32_e32 v2, 0x100, v2
	ds_bpermute_b32 v3, v2, v1
	v_cvt_f32_i32_e32 v4, s16
	ds_bpermute_b32 v10, v2, v0
	s_waitcnt lgkmcnt(1)
	v_div_scale_f32 v5, s[6:7], v4, v4, v3
	v_rcp_f32_e32 v6, v5
	v_div_scale_f32 v2, vcc, v3, v4, v3
	v_fma_f32 v9, -v5, v6, 1.0
	v_fmac_f32_e32 v6, v9, v6
	v_mul_f32_e32 v9, v2, v6
	v_fma_f32 v11, -v5, v9, v2
	v_fmac_f32_e32 v9, v11, v6
	v_fma_f32 v2, -v5, v9, v2
	v_div_fmas_f32 v2, v2, v6, v9
	v_div_fixup_f32 v11, v2, v4, v3
	s_cbranch_execz .LBB3_19
	s_branch .LBB3_31
.LBB3_18:
                                        ; implicit-def: $vgpr10_vgpr11
.LBB3_19:
	s_lshl_b32 s6, s26, 2
	s_add_i32 s12, s6, 0
	v_cmp_eq_u32_e64 s[6:7], 0, v15
	v_lshl_add_u32 v4, v16, 2, s12
	v_lshl_add_u32 v5, v16, 3, 0
.LBB3_20:                               ; =>This Inner Loop Header: Depth=1
	s_lshr_b32 s13, s26, 1
	s_and_b32 s8, s26, 0xfffe
	v_cmp_le_u32_e32 vcc, s13, v16
	v_cmp_gt_u32_e64 s[8:9], s8, v16
	s_and_b64 s[8:9], vcc, s[8:9]
	s_and_b64 s[10:11], s[6:7], s[8:9]
	s_and_saveexec_b64 s[8:9], s[10:11]
	s_cbranch_execz .LBB3_22
; %bb.21:                               ;   in Loop: Header=BB3_20 Depth=1
	s_waitcnt lgkmcnt(1)
	v_subrev_u32_e32 v2, s13, v16
	v_lshl_add_u32 v3, v2, 3, 0
	v_lshl_add_u32 v2, v2, 2, s12
	ds_write2_b32 v3, v0, v1 offset1:1
	ds_write_b32 v2, v7
.LBB3_22:                               ;   in Loop: Header=BB3_20 Depth=1
	s_or_b64 exec, exec, s[8:9]
	v_cmp_gt_u32_e32 vcc, s13, v16
	s_and_b64 s[10:11], s[6:7], vcc
	s_waitcnt lgkmcnt(0)
	s_barrier
	s_and_saveexec_b64 s[8:9], s[10:11]
	s_cbranch_execz .LBB3_26
; %bb.23:                               ;   in Loop: Header=BB3_20 Depth=1
	ds_read_b32 v9, v4
	v_mov_b32_e32 v3, 0
	v_mov_b32_e32 v2, 0
	s_waitcnt lgkmcnt(0)
	v_add_f32_e32 v6, v7, v9
	v_cmp_lt_f32_e32 vcc, 0, v6
	s_and_saveexec_b64 s[10:11], vcc
	s_cbranch_execz .LBB3_25
; %bb.24:                               ;   in Loop: Header=BB3_20 Depth=1
	v_div_scale_f32 v10, s[14:15], v6, v6, 1.0
	v_rcp_f32_e32 v11, v10
	ds_read2_b32 v[2:3], v5 offset1:1
	v_fma_f32 v13, -v10, v11, 1.0
	v_fmac_f32_e32 v11, v13, v11
	v_div_scale_f32 v13, vcc, 1.0, v6, 1.0
	v_mul_f32_e32 v17, v13, v11
	v_fma_f32 v18, -v10, v17, v13
	v_fmac_f32_e32 v17, v18, v11
	v_fma_f32 v10, -v10, v17, v13
	v_div_fmas_f32 v10, v10, v11, v17
	s_waitcnt lgkmcnt(0)
	v_sub_f32_e32 v12, v0, v2
	v_div_fixup_f32 v10, v10, v6, 1.0
	v_mul_f32_e32 v11, v9, v10
	v_add_f32_e32 v3, v1, v3
	v_mul_f32_e32 v1, v12, v12
	v_mul_f32_e32 v10, v7, v10
	;; [unrolled: 1-line block ×4, first 2 shown]
	v_pk_fma_f32 v[2:3], v[0:1], v[10:11], v[2:3] op_sel_hi:[1,0,1]
.LBB3_25:                               ;   in Loop: Header=BB3_20 Depth=1
	s_or_b64 exec, exec, s[10:11]
	v_mov_b32_e32 v7, v6
	v_mov_b32_e32 v0, v2
	;; [unrolled: 1-line block ×3, first 2 shown]
.LBB3_26:                               ;   in Loop: Header=BB3_20 Depth=1
	s_or_b64 exec, exec, s[8:9]
	s_cmp_lt_u32 s26, 4
	s_barrier
	s_cbranch_scc1 .LBB3_28
; %bb.27:                               ;   in Loop: Header=BB3_20 Depth=1
	s_mov_b32 s26, s13
	s_branch .LBB3_20
.LBB3_28:
	v_or_b32_e32 v2, v15, v16
	v_cmp_eq_u32_e32 vcc, 0, v2
	s_and_saveexec_b64 s[6:7], vcc
	s_cbranch_execz .LBB3_30
; %bb.29:
	v_cvt_f32_i32_e32 v2, s16
	v_div_scale_f32 v3, s[8:9], v2, v2, v1
	v_rcp_f32_e32 v4, v3
	v_div_scale_f32 v5, vcc, v1, v2, v1
	v_fma_f32 v6, -v3, v4, 1.0
	v_fmac_f32_e32 v4, v6, v4
	v_mul_f32_e32 v6, v5, v4
	v_fma_f32 v7, -v3, v6, v5
	v_fmac_f32_e32 v6, v7, v4
	v_fma_f32 v3, -v3, v6, v5
	v_div_fmas_f32 v3, v3, v4, v6
	v_div_fixup_f32 v1, v3, v2, v1
	v_mov_b32_e32 v2, 0
	ds_write2_b32 v2, v0, v1 offset1:1
.LBB3_30:
	s_or_b64 exec, exec, s[6:7]
	v_mov_b32_e32 v0, 0
	s_waitcnt lgkmcnt(0)
	s_barrier
	ds_read2_b32 v[10:11], v0 offset1:1
.LBB3_31:
	s_waitcnt lgkmcnt(0)
	v_add_f32_e32 v0, s17, v11
	s_mov_b32 s6, 0x800000
	v_mul_f32_e32 v1, 0x4b800000, v0
	v_cmp_gt_f32_e32 vcc, s6, v0
	s_load_dwordx8 s[8:15], s[0:1], 0x10
	s_nop 0
	v_cndmask_b32_e32 v0, v0, v1, vcc
	v_rsq_f32_e32 v0, v0
	s_load_dwordx2 s[0:1], s[0:1], 0x30
	v_mul_f32_e32 v1, 0x45800000, v0
	v_cndmask_b32_e32 v12, v0, v1, vcc
	s_and_saveexec_b64 s[6:7], s[4:5]
	s_cbranch_execz .LBB3_46
; %bb.32:
	s_waitcnt lgkmcnt(0)
	s_cmp_eq_u64 s[8:9], 0
	s_cselect_b64 s[16:17], -1, 0
	s_cmp_eq_u64 s[10:11], 0
	s_cselect_b64 s[24:25], -1, 0
	s_lshl_b64 s[28:29], s[22:23], 2
	s_add_u32 s22, s0, s28
	s_addc_u32 s23, s1, s29
	s_ashr_i32 s21, s20, 31
	v_cndmask_b32_e64 v0, 0, 1, s[24:25]
	s_or_b64 s[24:25], s[16:17], s[24:25]
	s_lshl_b64 s[26:27], s[20:21], 4
	s_add_u32 s0, s28, s18
	s_addc_u32 s1, s29, s19
	s_add_u32 s18, s0, 8
	s_addc_u32 s19, s1, 0
	s_add_u32 s8, s8, 8
	s_mov_b64 s[4:5], 0
	v_mov_b32_e32 v13, v12
	v_mov_b32_e32 v11, v10
	;; [unrolled: 1-line block ×3, first 2 shown]
	s_addc_u32 s9, s9, 0
	v_cmp_ne_u32_e64 s[0:1], 1, v0
	v_mov_b32_e32 v15, v14
	s_branch .LBB3_34
.LBB3_33:                               ;   in Loop: Header=BB3_34 Depth=1
	v_add_u32_e32 v15, s20, v15
	v_cmp_le_i32_e32 vcc, s30, v15
	s_waitcnt vmcnt(0)
	v_lshl_add_u64 v[0:1], s[22:23], 0, v[8:9]
	s_or_b64 s[4:5], vcc, s[4:5]
	v_lshl_add_u64 v[8:9], v[8:9], 0, s[26:27]
	global_store_dwordx4 v[0:1], v[4:7], off
	s_andn2_b64 exec, exec, s[4:5]
	s_cbranch_execz .LBB3_46
.LBB3_34:                               ; =>This Inner Loop Header: Depth=1
	v_lshl_add_u64 v[0:1], s[18:19], 0, v[8:9]
	global_load_dwordx4 v[0:3], v[0:1], off offset:-8
	s_and_b64 vcc, exec, s[24:25]
	s_cbranch_vccz .LBB3_38
; %bb.35:                               ;   in Loop: Header=BB3_34 Depth=1
	s_and_b64 vcc, exec, s[16:17]
	s_cbranch_vccz .LBB3_39
; %bb.36:                               ;   in Loop: Header=BB3_34 Depth=1
	s_and_b64 vcc, exec, s[0:1]
	s_cbranch_vccnz .LBB3_40
; %bb.37:                               ;   in Loop: Header=BB3_34 Depth=1
	s_waitcnt vmcnt(0)
	v_pk_add_f32 v[4:5], v[0:1], v[10:11] neg_lo:[0,1] neg_hi:[0,1]
	v_pk_add_f32 v[6:7], v[2:3], v[10:11] neg_lo:[0,1] neg_hi:[0,1]
	v_pk_mul_f32 v[4:5], v[12:13], v[4:5]
	v_pk_mul_f32 v[6:7], v[12:13], v[6:7]
	s_cbranch_execz .LBB3_41
	s_branch .LBB3_42
.LBB3_38:                               ;   in Loop: Header=BB3_34 Depth=1
                                        ; implicit-def: $vgpr6_vgpr7
	s_branch .LBB3_45
.LBB3_39:                               ;   in Loop: Header=BB3_34 Depth=1
                                        ; implicit-def: $vgpr6_vgpr7
	s_branch .LBB3_43
.LBB3_40:                               ;   in Loop: Header=BB3_34 Depth=1
                                        ; implicit-def: $vgpr6_vgpr7
.LBB3_41:                               ;   in Loop: Header=BB3_34 Depth=1
	v_lshl_add_u64 v[4:5], s[10:11], 0, v[8:9]
	global_load_dwordx4 v[4:7], v[4:5], off
	s_waitcnt vmcnt(1)
	v_pk_add_f32 v[16:17], v[0:1], v[10:11] neg_lo:[0,1] neg_hi:[0,1]
	v_pk_add_f32 v[18:19], v[2:3], v[10:11] neg_lo:[0,1] neg_hi:[0,1]
	s_waitcnt vmcnt(0)
	v_pk_fma_f32 v[4:5], v[12:13], v[16:17], v[4:5]
	v_pk_fma_f32 v[6:7], v[12:13], v[18:19], v[6:7]
.LBB3_42:                               ;   in Loop: Header=BB3_34 Depth=1
	s_cbranch_execnz .LBB3_44
.LBB3_43:                               ;   in Loop: Header=BB3_34 Depth=1
	v_lshl_add_u64 v[4:5], s[8:9], 0, v[8:9]
	global_load_dwordx4 v[4:7], v[4:5], off offset:-8
	s_waitcnt vmcnt(1)
	v_pk_add_f32 v[16:17], v[0:1], v[10:11] neg_lo:[0,1] neg_hi:[0,1]
	v_pk_add_f32 v[18:19], v[2:3], v[10:11] neg_lo:[0,1] neg_hi:[0,1]
	v_pk_mul_f32 v[16:17], v[12:13], v[16:17]
	v_pk_mul_f32 v[18:19], v[12:13], v[18:19]
	s_waitcnt vmcnt(0)
	v_pk_mul_f32 v[4:5], v[16:17], v[4:5]
	v_pk_mul_f32 v[6:7], v[18:19], v[6:7]
.LBB3_44:                               ;   in Loop: Header=BB3_34 Depth=1
	s_cbranch_execnz .LBB3_33
.LBB3_45:                               ;   in Loop: Header=BB3_34 Depth=1
	v_lshl_add_u64 v[20:21], s[8:9], 0, v[8:9]
	v_lshl_add_u64 v[22:23], s[10:11], 0, v[8:9]
	global_load_dwordx4 v[4:7], v[20:21], off offset:-8
	global_load_dwordx4 v[16:19], v[22:23], off
	s_waitcnt vmcnt(2)
	v_pk_add_f32 v[0:1], v[0:1], v[10:11] neg_lo:[0,1] neg_hi:[0,1]
	v_pk_add_f32 v[2:3], v[2:3], v[10:11] neg_lo:[0,1] neg_hi:[0,1]
	v_pk_mul_f32 v[0:1], v[12:13], v[0:1]
	v_pk_mul_f32 v[2:3], v[12:13], v[2:3]
	s_waitcnt vmcnt(0)
	v_pk_fma_f32 v[4:5], v[0:1], v[4:5], v[16:17]
	v_pk_fma_f32 v[6:7], v[2:3], v[6:7], v[18:19]
	s_branch .LBB3_33
.LBB3_46:
	s_or_b64 exec, exec, s[6:7]
	v_cmp_eq_u32_e32 vcc, 0, v14
	s_waitcnt lgkmcnt(0)
	s_and_saveexec_b64 s[0:1], vcc
	s_cbranch_execz .LBB3_48
; %bb.47:
	s_lshl_b64 s[0:1], s[2:3], 2
	s_add_u32 s2, s12, s0
	s_addc_u32 s3, s13, s1
	v_mov_b32_e32 v0, 0
	s_add_u32 s0, s14, s0
	s_addc_u32 s1, s15, s1
	global_store_dword v0, v10, s[2:3]
	global_store_dword v0, v12, s[0:1]
.LBB3_48:
	s_endpgm
	.section	.rodata,"a",@progbits
	.p2align	6, 0x0
	.amdhsa_kernel _ZN2at6native12_GLOBAL__N_128vectorized_layer_norm_kernelIffLb0EEEviT0_PKT_S6_S6_PS3_S7_PS4_
		.amdhsa_group_segment_fixed_size 0
		.amdhsa_private_segment_fixed_size 0
		.amdhsa_kernarg_size 312
		.amdhsa_user_sgpr_count 2
		.amdhsa_user_sgpr_dispatch_ptr 0
		.amdhsa_user_sgpr_queue_ptr 0
		.amdhsa_user_sgpr_kernarg_segment_ptr 1
		.amdhsa_user_sgpr_dispatch_id 0
		.amdhsa_user_sgpr_kernarg_preload_length 0
		.amdhsa_user_sgpr_kernarg_preload_offset 0
		.amdhsa_user_sgpr_private_segment_size 0
		.amdhsa_uses_dynamic_stack 0
		.amdhsa_enable_private_segment 0
		.amdhsa_system_sgpr_workgroup_id_x 1
		.amdhsa_system_sgpr_workgroup_id_y 0
		.amdhsa_system_sgpr_workgroup_id_z 0
		.amdhsa_system_sgpr_workgroup_info 0
		.amdhsa_system_vgpr_workitem_id 1
		.amdhsa_next_free_vgpr 34
		.amdhsa_next_free_sgpr 31
		.amdhsa_accum_offset 36
		.amdhsa_reserve_vcc 1
		.amdhsa_float_round_mode_32 0
		.amdhsa_float_round_mode_16_64 0
		.amdhsa_float_denorm_mode_32 3
		.amdhsa_float_denorm_mode_16_64 3
		.amdhsa_dx10_clamp 1
		.amdhsa_ieee_mode 1
		.amdhsa_fp16_overflow 0
		.amdhsa_tg_split 0
		.amdhsa_exception_fp_ieee_invalid_op 0
		.amdhsa_exception_fp_denorm_src 0
		.amdhsa_exception_fp_ieee_div_zero 0
		.amdhsa_exception_fp_ieee_overflow 0
		.amdhsa_exception_fp_ieee_underflow 0
		.amdhsa_exception_fp_ieee_inexact 0
		.amdhsa_exception_int_div_zero 0
	.end_amdhsa_kernel
	.section	.text._ZN2at6native12_GLOBAL__N_128vectorized_layer_norm_kernelIffLb0EEEviT0_PKT_S6_S6_PS3_S7_PS4_,"axG",@progbits,_ZN2at6native12_GLOBAL__N_128vectorized_layer_norm_kernelIffLb0EEEviT0_PKT_S6_S6_PS3_S7_PS4_,comdat
.Lfunc_end3:
	.size	_ZN2at6native12_GLOBAL__N_128vectorized_layer_norm_kernelIffLb0EEEviT0_PKT_S6_S6_PS3_S7_PS4_, .Lfunc_end3-_ZN2at6native12_GLOBAL__N_128vectorized_layer_norm_kernelIffLb0EEEviT0_PKT_S6_S6_PS3_S7_PS4_
                                        ; -- End function
	.section	.AMDGPU.csdata,"",@progbits
; Kernel info:
; codeLenInByte = 3172
; NumSgprs: 37
; NumVgprs: 34
; NumAgprs: 0
; TotalNumVgprs: 34
; ScratchSize: 0
; MemoryBound: 0
; FloatMode: 240
; IeeeMode: 1
; LDSByteSize: 0 bytes/workgroup (compile time only)
; SGPRBlocks: 4
; VGPRBlocks: 4
; NumSGPRsForWavesPerEU: 37
; NumVGPRsForWavesPerEU: 34
; AccumOffset: 36
; Occupancy: 8
; WaveLimiterHint : 0
; COMPUTE_PGM_RSRC2:SCRATCH_EN: 0
; COMPUTE_PGM_RSRC2:USER_SGPR: 2
; COMPUTE_PGM_RSRC2:TRAP_HANDLER: 0
; COMPUTE_PGM_RSRC2:TGID_X_EN: 1
; COMPUTE_PGM_RSRC2:TGID_Y_EN: 0
; COMPUTE_PGM_RSRC2:TGID_Z_EN: 0
; COMPUTE_PGM_RSRC2:TIDIG_COMP_CNT: 1
; COMPUTE_PGM_RSRC3_GFX90A:ACCUM_OFFSET: 8
; COMPUTE_PGM_RSRC3_GFX90A:TG_SPLIT: 0
	.section	.text._ZN2at6native12_GLOBAL__N_124RowwiseMomentsCUDAKernelIffLb0EEEvlT0_PKT_PS3_S7_,"axG",@progbits,_ZN2at6native12_GLOBAL__N_124RowwiseMomentsCUDAKernelIffLb0EEEvlT0_PKT_PS3_S7_,comdat
	.globl	_ZN2at6native12_GLOBAL__N_124RowwiseMomentsCUDAKernelIffLb0EEEvlT0_PKT_PS3_S7_ ; -- Begin function _ZN2at6native12_GLOBAL__N_124RowwiseMomentsCUDAKernelIffLb0EEEvlT0_PKT_PS3_S7_
	.p2align	8
	.type	_ZN2at6native12_GLOBAL__N_124RowwiseMomentsCUDAKernelIffLb0EEEvlT0_PKT_PS3_S7_,@function
_ZN2at6native12_GLOBAL__N_124RowwiseMomentsCUDAKernelIffLb0EEEvlT0_PKT_PS3_S7_: ; @_ZN2at6native12_GLOBAL__N_124RowwiseMomentsCUDAKernelIffLb0EEEvlT0_PKT_PS3_S7_
; %bb.0:
	s_load_dwordx2 s[10:11], s[0:1], 0x0
	s_load_dwordx4 s[4:7], s[0:1], 0x10
	s_load_dwordx2 s[8:9], s[0:1], 0x20
	s_mov_b32 s3, 0
	v_mov_b32_e32 v1, 0
	s_mov_b32 s12, s3
	s_mov_b32 s13, s3
	s_waitcnt lgkmcnt(0)
	v_cmp_gt_i64_e32 vcc, s[10:11], v[0:1]
	v_mov_b64_e32 v[2:3], s[12:13]
	v_mov_b64_e32 v[4:5], 0
	s_and_saveexec_b64 s[12:13], vcc
	s_cbranch_execz .LBB4_4
; %bb.1:
	s_load_dword s14, s[0:1], 0x34
	s_mul_i32 s16, s11, s2
	s_mul_hi_u32 s17, s10, s2
	s_add_i32 s17, s17, s16
	s_mul_i32 s16, s10, s2
	s_waitcnt lgkmcnt(0)
	s_and_b32 s14, s14, 0xffff
	s_lshl_b64 s[16:17], s[16:17], 2
	s_add_u32 s4, s4, s16
	v_lshlrev_b32_e32 v6, 2, v0
	v_mov_b32_e32 v7, 0
	s_addc_u32 s5, s5, s17
	s_mov_b32 s15, s3
	v_lshl_add_u64 v[8:9], s[4:5], 0, v[6:7]
	s_lshl_b32 s4, s14, 2
	s_mov_b32 s5, s3
	s_mov_b64 s[16:17], 0
	v_mov_b64_e32 v[10:11], v[0:1]
	s_mov_b64 s[18:19], 0
	v_mov_b32_e32 v3, v7
.LBB4_2:                                ; =>This Inner Loop Header: Depth=1
	global_load_dword v2, v[8:9], off
	s_add_u32 s18, s18, 1
	s_addc_u32 s19, s19, 0
	s_flbit_i32_b32 s20, s19
	s_min_u32 s22, s20, 32
	s_lshl_b64 s[20:21], s[18:19], s22
	s_min_u32 s20, s20, 1
	s_or_b32 s20, s21, s20
	v_cvt_f32_u32_e32 v1, s20
	s_sub_i32 s22, 32, s22
	v_lshl_add_u64 v[10:11], v[10:11], 0, s[14:15]
	v_cmp_le_i64_e32 vcc, s[10:11], v[10:11]
	v_ldexp_f32 v1, v1, s22
	s_or_b64 s[16:17], vcc, s[16:17]
	v_lshl_add_u64 v[8:9], v[8:9], 0, s[4:5]
	v_mov_b64_e32 v[4:5], s[18:19]
	s_waitcnt vmcnt(0)
	v_sub_f32_e32 v6, v2, v3
	v_div_scale_f32 v12, s[20:21], v1, v1, v6
	v_rcp_f32_e32 v13, v12
	v_div_scale_f32 v14, vcc, v6, v1, v6
	v_fma_f32 v15, -v12, v13, 1.0
	v_fmac_f32_e32 v13, v15, v13
	v_mul_f32_e32 v15, v14, v13
	v_fma_f32 v16, -v12, v15, v14
	v_fmac_f32_e32 v15, v16, v13
	v_fma_f32 v12, -v12, v15, v14
	v_div_fmas_f32 v12, v12, v13, v15
	v_div_fixup_f32 v12, v12, v1, v6
	v_add_f32_e32 v3, v3, v12
	v_sub_f32_e32 v2, v2, v3
	v_fmac_f32_e32 v7, v6, v2
	s_andn2_b64 exec, exec, s[16:17]
	s_cbranch_execnz .LBB4_2
; %bb.3:
	s_or_b64 exec, exec, s[16:17]
	v_mov_b32_e32 v2, v7
.LBB4_4:
	s_or_b64 exec, exec, s[12:13]
	v_mbcnt_lo_u32_b32 v6, -1, 0
	v_mbcnt_hi_u32_b32 v14, -1, v6
	v_and_b32_e32 v15, 63, v14
	v_cmp_gt_u32_e32 vcc, 32, v15
	s_nop 1
	v_cndmask_b32_e64 v6, 0, 1, vcc
	v_lshlrev_b32_e32 v6, 5, v6
	v_add_lshl_u32 v10, v6, v14, 2
	ds_bpermute_b32 v7, v10, v3
	ds_bpermute_b32 v6, v10, v2
	ds_bpermute_b32 v8, v10, v4
	ds_bpermute_b32 v9, v10, v5
	ds_bpermute_b32 v11, v10, v1
	v_cmp_neq_f32_e32 vcc, 0, v1
	s_and_saveexec_b64 s[4:5], vcc
	s_xor_b64 s[4:5], exec, s[4:5]
	s_cbranch_execz .LBB4_8
; %bb.5:
	s_waitcnt lgkmcnt(0)
	v_cmp_neq_f32_e32 vcc, 0, v11
	s_and_saveexec_b64 s[10:11], vcc
	s_cbranch_execz .LBB4_7
; %bb.6:
	v_add_f32_e32 v9, v1, v11
	v_div_scale_f32 v8, s[12:13], v9, v9, v11
	v_rcp_f32_e32 v12, v8
	v_pk_add_f32 v[4:5], v[6:7], v[2:3] neg_lo:[0,1] neg_hi:[0,1]
	v_pk_add_f32 v[6:7], v[2:3], v[6:7]
	v_mul_f32_e32 v2, v5, v5
	v_fma_f32 v4, -v8, v12, 1.0
	v_fmac_f32_e32 v12, v4, v12
	v_div_scale_f32 v4, vcc, v11, v9, v11
	v_mul_f32_e32 v13, v4, v12
	v_fma_f32 v16, -v8, v13, v4
	v_fmac_f32_e32 v13, v16, v12
	v_fma_f32 v4, -v8, v13, v4
	v_div_fmas_f32 v4, v4, v12, v13
	v_div_fixup_f32 v8, v4, v9, v11
	v_mul_f32_e32 v4, v1, v2
	v_mov_b32_e32 v7, v3
	v_pk_fma_f32 v[2:3], v[4:5], v[8:9], v[6:7] op_sel_hi:[1,0,1]
	v_mov_b64_e32 v[4:5], -1
	v_mov_b32_e32 v1, v9
.LBB4_7:
	s_or_b64 exec, exec, s[10:11]
                                        ; implicit-def: $vgpr6_vgpr7
                                        ; implicit-def: $vgpr8
                                        ; implicit-def: $vgpr11
.LBB4_8:
	s_andn2_saveexec_b64 s[4:5], s[4:5]
	s_cbranch_execz .LBB4_10
; %bb.9:
	s_waitcnt lgkmcnt(0)
	v_mov_b32_e32 v1, v11
	v_mov_b64_e32 v[4:5], v[8:9]
	v_mov_b64_e32 v[2:3], v[6:7]
.LBB4_10:
	s_or_b64 exec, exec, s[4:5]
	v_cmp_gt_u32_e32 vcc, 48, v15
	s_waitcnt lgkmcnt(3)
	s_nop 0
	v_cndmask_b32_e64 v6, 0, 1, vcc
	v_lshlrev_b32_e32 v6, 4, v6
	s_waitcnt lgkmcnt(0)
	v_add_lshl_u32 v11, v6, v14, 2
	ds_bpermute_b32 v7, v11, v3
	ds_bpermute_b32 v6, v11, v2
	;; [unrolled: 1-line block ×5, first 2 shown]
	v_cmp_neq_f32_e32 vcc, 0, v1
	s_and_saveexec_b64 s[4:5], vcc
	s_xor_b64 s[4:5], exec, s[4:5]
	s_cbranch_execz .LBB4_14
; %bb.11:
	s_waitcnt lgkmcnt(0)
	v_cmp_neq_f32_e32 vcc, 0, v12
	s_and_saveexec_b64 s[10:11], vcc
	s_cbranch_execz .LBB4_13
; %bb.12:
	v_add_f32_e32 v9, v1, v12
	v_div_scale_f32 v8, s[12:13], v9, v9, v12
	v_rcp_f32_e32 v13, v8
	v_pk_add_f32 v[4:5], v[6:7], v[2:3] neg_lo:[0,1] neg_hi:[0,1]
	v_pk_add_f32 v[6:7], v[2:3], v[6:7]
	v_mul_f32_e32 v2, v5, v5
	v_fma_f32 v4, -v8, v13, 1.0
	v_fmac_f32_e32 v13, v4, v13
	v_div_scale_f32 v4, vcc, v12, v9, v12
	v_mul_f32_e32 v16, v4, v13
	v_fma_f32 v17, -v8, v16, v4
	v_fmac_f32_e32 v16, v17, v13
	v_fma_f32 v4, -v8, v16, v4
	v_div_fmas_f32 v4, v4, v13, v16
	v_div_fixup_f32 v8, v4, v9, v12
	v_mul_f32_e32 v4, v1, v2
	v_mov_b32_e32 v7, v3
	v_pk_fma_f32 v[2:3], v[4:5], v[8:9], v[6:7] op_sel_hi:[1,0,1]
	v_mov_b64_e32 v[4:5], -1
	v_mov_b32_e32 v1, v9
.LBB4_13:
	s_or_b64 exec, exec, s[10:11]
                                        ; implicit-def: $vgpr6_vgpr7
                                        ; implicit-def: $vgpr8
                                        ; implicit-def: $vgpr12
.LBB4_14:
	s_andn2_saveexec_b64 s[4:5], s[4:5]
	s_cbranch_execz .LBB4_16
; %bb.15:
	s_waitcnt lgkmcnt(0)
	v_mov_b32_e32 v1, v12
	v_mov_b64_e32 v[4:5], v[8:9]
	v_mov_b64_e32 v[2:3], v[6:7]
.LBB4_16:
	s_or_b64 exec, exec, s[4:5]
	v_cmp_gt_u32_e32 vcc, 56, v15
	s_waitcnt lgkmcnt(3)
	s_nop 0
	v_cndmask_b32_e64 v6, 0, 1, vcc
	v_lshlrev_b32_e32 v6, 3, v6
	s_waitcnt lgkmcnt(0)
	v_add_lshl_u32 v12, v6, v14, 2
	ds_bpermute_b32 v7, v12, v3
	ds_bpermute_b32 v6, v12, v2
	;; [unrolled: 1-line block ×5, first 2 shown]
	v_cmp_neq_f32_e32 vcc, 0, v1
	s_and_saveexec_b64 s[4:5], vcc
	s_xor_b64 s[4:5], exec, s[4:5]
	s_cbranch_execz .LBB4_20
; %bb.17:
	s_waitcnt lgkmcnt(0)
	v_cmp_neq_f32_e32 vcc, 0, v13
	s_and_saveexec_b64 s[10:11], vcc
	s_cbranch_execz .LBB4_19
; %bb.18:
	v_add_f32_e32 v9, v1, v13
	v_div_scale_f32 v8, s[12:13], v9, v9, v13
	v_rcp_f32_e32 v16, v8
	v_pk_add_f32 v[4:5], v[6:7], v[2:3] neg_lo:[0,1] neg_hi:[0,1]
	v_pk_add_f32 v[6:7], v[2:3], v[6:7]
	v_mul_f32_e32 v2, v5, v5
	v_fma_f32 v4, -v8, v16, 1.0
	v_fmac_f32_e32 v16, v4, v16
	v_div_scale_f32 v4, vcc, v13, v9, v13
	v_mul_f32_e32 v17, v4, v16
	v_fma_f32 v18, -v8, v17, v4
	v_fmac_f32_e32 v17, v18, v16
	v_fma_f32 v4, -v8, v17, v4
	v_div_fmas_f32 v4, v4, v16, v17
	v_div_fixup_f32 v8, v4, v9, v13
	v_mul_f32_e32 v4, v1, v2
	v_mov_b32_e32 v7, v3
	v_pk_fma_f32 v[2:3], v[4:5], v[8:9], v[6:7] op_sel_hi:[1,0,1]
	v_mov_b64_e32 v[4:5], -1
	v_mov_b32_e32 v1, v9
.LBB4_19:
	s_or_b64 exec, exec, s[10:11]
                                        ; implicit-def: $vgpr6_vgpr7
                                        ; implicit-def: $vgpr8
                                        ; implicit-def: $vgpr13
.LBB4_20:
	s_andn2_saveexec_b64 s[4:5], s[4:5]
	s_cbranch_execz .LBB4_22
; %bb.21:
	s_waitcnt lgkmcnt(0)
	v_mov_b32_e32 v1, v13
	v_mov_b64_e32 v[4:5], v[8:9]
	v_mov_b64_e32 v[2:3], v[6:7]
.LBB4_22:
	s_or_b64 exec, exec, s[4:5]
	v_cmp_gt_u32_e32 vcc, 60, v15
	s_waitcnt lgkmcnt(3)
	s_nop 0
	v_cndmask_b32_e64 v6, 0, 1, vcc
	v_lshlrev_b32_e32 v6, 2, v6
	s_waitcnt lgkmcnt(0)
	v_add_lshl_u32 v13, v6, v14, 2
	ds_bpermute_b32 v7, v13, v3
	ds_bpermute_b32 v6, v13, v2
	;; [unrolled: 1-line block ×5, first 2 shown]
	v_cmp_neq_f32_e32 vcc, 0, v1
	s_and_saveexec_b64 s[4:5], vcc
	s_xor_b64 s[4:5], exec, s[4:5]
	s_cbranch_execz .LBB4_26
; %bb.23:
	s_waitcnt lgkmcnt(0)
	v_cmp_neq_f32_e32 vcc, 0, v16
	s_and_saveexec_b64 s[10:11], vcc
	s_cbranch_execz .LBB4_25
; %bb.24:
	v_add_f32_e32 v9, v1, v16
	v_div_scale_f32 v8, s[12:13], v9, v9, v16
	v_rcp_f32_e32 v17, v8
	v_pk_add_f32 v[4:5], v[6:7], v[2:3] neg_lo:[0,1] neg_hi:[0,1]
	v_pk_add_f32 v[6:7], v[2:3], v[6:7]
	v_mul_f32_e32 v2, v5, v5
	v_fma_f32 v4, -v8, v17, 1.0
	v_fmac_f32_e32 v17, v4, v17
	v_div_scale_f32 v4, vcc, v16, v9, v16
	v_mul_f32_e32 v18, v4, v17
	v_fma_f32 v19, -v8, v18, v4
	v_fmac_f32_e32 v18, v19, v17
	v_fma_f32 v4, -v8, v18, v4
	v_div_fmas_f32 v4, v4, v17, v18
	v_div_fixup_f32 v8, v4, v9, v16
	v_mul_f32_e32 v4, v1, v2
	v_mov_b32_e32 v7, v3
	v_pk_fma_f32 v[2:3], v[4:5], v[8:9], v[6:7] op_sel_hi:[1,0,1]
	v_mov_b64_e32 v[4:5], -1
	v_mov_b32_e32 v1, v9
.LBB4_25:
	s_or_b64 exec, exec, s[10:11]
                                        ; implicit-def: $vgpr6_vgpr7
                                        ; implicit-def: $vgpr8
                                        ; implicit-def: $vgpr16
.LBB4_26:
	s_andn2_saveexec_b64 s[4:5], s[4:5]
	s_cbranch_execz .LBB4_28
; %bb.27:
	s_waitcnt lgkmcnt(0)
	v_mov_b32_e32 v1, v16
	v_mov_b64_e32 v[4:5], v[8:9]
	v_mov_b64_e32 v[2:3], v[6:7]
.LBB4_28:
	s_or_b64 exec, exec, s[4:5]
	v_cmp_gt_u32_e32 vcc, 62, v15
	s_waitcnt lgkmcnt(3)
	s_nop 0
	v_cndmask_b32_e64 v6, 0, 1, vcc
	v_lshlrev_b32_e32 v6, 1, v6
	s_waitcnt lgkmcnt(0)
	v_add_lshl_u32 v16, v6, v14, 2
	ds_bpermute_b32 v7, v16, v3
	ds_bpermute_b32 v6, v16, v2
	;; [unrolled: 1-line block ×5, first 2 shown]
	v_cmp_neq_f32_e32 vcc, 0, v1
	s_and_saveexec_b64 s[4:5], vcc
	s_xor_b64 s[4:5], exec, s[4:5]
	s_cbranch_execz .LBB4_32
; %bb.29:
	s_waitcnt lgkmcnt(0)
	v_cmp_neq_f32_e32 vcc, 0, v17
	s_and_saveexec_b64 s[10:11], vcc
	s_cbranch_execz .LBB4_31
; %bb.30:
	v_add_f32_e32 v9, v1, v17
	v_div_scale_f32 v8, s[12:13], v9, v9, v17
	v_rcp_f32_e32 v18, v8
	v_pk_add_f32 v[4:5], v[6:7], v[2:3] neg_lo:[0,1] neg_hi:[0,1]
	v_pk_add_f32 v[6:7], v[2:3], v[6:7]
	v_mul_f32_e32 v2, v5, v5
	v_fma_f32 v4, -v8, v18, 1.0
	v_fmac_f32_e32 v18, v4, v18
	v_div_scale_f32 v4, vcc, v17, v9, v17
	v_mul_f32_e32 v19, v4, v18
	v_fma_f32 v20, -v8, v19, v4
	v_fmac_f32_e32 v19, v20, v18
	v_fma_f32 v4, -v8, v19, v4
	v_div_fmas_f32 v4, v4, v18, v19
	v_div_fixup_f32 v8, v4, v9, v17
	v_mul_f32_e32 v4, v1, v2
	v_mov_b32_e32 v7, v3
	v_pk_fma_f32 v[2:3], v[4:5], v[8:9], v[6:7] op_sel_hi:[1,0,1]
	v_mov_b64_e32 v[4:5], -1
	v_mov_b32_e32 v1, v9
.LBB4_31:
	s_or_b64 exec, exec, s[10:11]
                                        ; implicit-def: $vgpr6_vgpr7
                                        ; implicit-def: $vgpr8
                                        ; implicit-def: $vgpr17
.LBB4_32:
	s_andn2_saveexec_b64 s[4:5], s[4:5]
	s_cbranch_execz .LBB4_34
; %bb.33:
	s_waitcnt lgkmcnt(0)
	v_mov_b32_e32 v1, v17
	v_mov_b64_e32 v[4:5], v[8:9]
	v_mov_b64_e32 v[2:3], v[6:7]
.LBB4_34:
	s_or_b64 exec, exec, s[4:5]
	v_cmp_ne_u32_e32 vcc, 63, v15
	s_waitcnt lgkmcnt(3)
	s_nop 0
	v_addc_co_u32_e32 v6, vcc, 0, v14, vcc
	v_lshlrev_b32_e32 v14, 2, v6
	ds_bpermute_b32 v7, v14, v3
	ds_bpermute_b32 v6, v14, v2
	s_waitcnt lgkmcnt(4)
	ds_bpermute_b32 v8, v14, v4
	s_waitcnt lgkmcnt(4)
	ds_bpermute_b32 v9, v14, v5
	ds_bpermute_b32 v15, v14, v1
	v_cmp_neq_f32_e32 vcc, 0, v1
	s_and_saveexec_b64 s[4:5], vcc
	s_xor_b64 s[4:5], exec, s[4:5]
	s_cbranch_execz .LBB4_38
; %bb.35:
	s_waitcnt lgkmcnt(0)
	v_cmp_neq_f32_e32 vcc, 0, v15
	s_and_saveexec_b64 s[10:11], vcc
	s_cbranch_execz .LBB4_37
; %bb.36:
	v_add_f32_e32 v9, v1, v15
	v_div_scale_f32 v8, s[12:13], v9, v9, v15
	v_rcp_f32_e32 v17, v8
	v_pk_add_f32 v[4:5], v[6:7], v[2:3] neg_lo:[0,1] neg_hi:[0,1]
	v_pk_add_f32 v[6:7], v[2:3], v[6:7]
	v_mul_f32_e32 v2, v5, v5
	v_fma_f32 v4, -v8, v17, 1.0
	v_fmac_f32_e32 v17, v4, v17
	v_div_scale_f32 v4, vcc, v15, v9, v15
	v_mul_f32_e32 v18, v4, v17
	v_fma_f32 v19, -v8, v18, v4
	v_fmac_f32_e32 v18, v19, v17
	v_fma_f32 v4, -v8, v18, v4
	v_div_fmas_f32 v4, v4, v17, v18
	v_div_fixup_f32 v8, v4, v9, v15
	v_mul_f32_e32 v4, v1, v2
	v_mov_b32_e32 v7, v3
	v_pk_fma_f32 v[2:3], v[4:5], v[8:9], v[6:7] op_sel_hi:[1,0,1]
	v_mov_b64_e32 v[4:5], -1
	v_mov_b32_e32 v1, v9
.LBB4_37:
	s_or_b64 exec, exec, s[10:11]
                                        ; implicit-def: $vgpr6_vgpr7
                                        ; implicit-def: $vgpr8
                                        ; implicit-def: $vgpr15
.LBB4_38:
	s_andn2_saveexec_b64 s[4:5], s[4:5]
	s_cbranch_execz .LBB4_40
; %bb.39:
	s_waitcnt lgkmcnt(0)
	v_mov_b32_e32 v1, v15
	v_mov_b64_e32 v[4:5], v[8:9]
	v_mov_b64_e32 v[2:3], v[6:7]
.LBB4_40:
	s_or_b64 exec, exec, s[4:5]
	s_waitcnt lgkmcnt(3)
	v_and_b32_e32 v6, 63, v0
	v_cmp_eq_u32_e32 vcc, 0, v6
	s_waitcnt lgkmcnt(0)
	s_barrier
	s_and_saveexec_b64 s[4:5], vcc
	s_cbranch_execz .LBB4_42
; %bb.41:
	v_lshrrev_b32_e32 v7, 6, v0
	v_mul_u32_u24_e32 v7, 24, v7
	v_mov_b32_e32 v8, v3
	v_mov_b32_e32 v9, v2
	ds_write2_b64 v7, v[8:9], v[4:5] offset1:1
	ds_write_b32 v7, v1 offset:16
.LBB4_42:
	s_or_b64 exec, exec, s[4:5]
	s_waitcnt lgkmcnt(0)
	s_barrier
	s_load_dword s4, s[0:1], 0x34
	v_mul_u32_u24_e32 v4, 24, v6
	v_mov_b32_e32 v2, 0
	v_mov_b32_e32 v1, 0
	s_waitcnt lgkmcnt(0)
	s_bfe_u32 s4, s4, 0xa0006
	v_cmp_gt_u32_e32 vcc, s4, v0
	s_and_saveexec_b64 s[4:5], vcc
	s_cbranch_execnz .LBB4_48
; %bb.43:
	s_or_b64 exec, exec, s[4:5]
	s_and_saveexec_b64 s[4:5], vcc
	s_cbranch_execnz .LBB4_49
.LBB4_44:
	s_or_b64 exec, exec, s[4:5]
	v_mov_b32_e32 v3, 0
	s_and_saveexec_b64 s[4:5], vcc
	s_cbranch_execnz .LBB4_50
.LBB4_45:
	s_or_b64 exec, exec, s[4:5]
	v_cmp_gt_u32_e32 vcc, 64, v0
	s_and_saveexec_b64 s[4:5], vcc
	s_cbranch_execnz .LBB4_51
.LBB4_46:
	s_or_b64 exec, exec, s[4:5]
	v_cmp_eq_u32_e32 vcc, 0, v0
	s_and_saveexec_b64 s[4:5], vcc
	s_cbranch_execnz .LBB4_76
.LBB4_47:
	s_endpgm
.LBB4_48:
	ds_read_b32 v1, v4
	s_or_b64 exec, exec, s[4:5]
	s_and_saveexec_b64 s[4:5], vcc
	s_cbranch_execz .LBB4_44
.LBB4_49:
	ds_read_b32 v2, v4 offset:4
	s_or_b64 exec, exec, s[4:5]
	v_mov_b32_e32 v3, 0
	s_and_saveexec_b64 s[4:5], vcc
	s_cbranch_execz .LBB4_45
.LBB4_50:
	ds_read_b32 v3, v4 offset:16
	s_or_b64 exec, exec, s[4:5]
	v_cmp_gt_u32_e32 vcc, 64, v0
	s_and_saveexec_b64 s[4:5], vcc
	s_cbranch_execz .LBB4_46
.LBB4_51:
	s_waitcnt lgkmcnt(0)
	ds_bpermute_b32 v6, v10, v1
	ds_bpermute_b32 v4, v10, v2
	;; [unrolled: 1-line block ×3, first 2 shown]
	v_cmp_neq_f32_e32 vcc, 0, v3
	s_and_saveexec_b64 s[10:11], vcc
	s_cbranch_execz .LBB4_55
; %bb.52:
	s_waitcnt lgkmcnt(0)
	v_cmp_neq_f32_e32 vcc, 0, v5
	s_and_saveexec_b64 s[12:13], vcc
	s_cbranch_execz .LBB4_54
; %bb.53:
	v_sub_f32_e32 v6, v6, v1
	v_mul_f32_e32 v7, v6, v6
	v_mul_f32_e32 v7, v3, v7
	v_add_f32_e32 v3, v3, v5
	v_div_scale_f32 v8, s[14:15], v3, v3, v5
	v_rcp_f32_e32 v9, v8
	v_add_f32_e32 v2, v2, v4
	v_fma_f32 v4, -v8, v9, 1.0
	v_fmac_f32_e32 v9, v4, v9
	v_div_scale_f32 v4, vcc, v5, v3, v5
	v_mul_f32_e32 v10, v4, v9
	v_fma_f32 v15, -v8, v10, v4
	v_fmac_f32_e32 v10, v15, v9
	v_fma_f32 v4, -v8, v10, v4
	v_div_fmas_f32 v4, v4, v9, v10
	v_div_fixup_f32 v4, v4, v3, v5
	v_fmac_f32_e32 v1, v6, v4
	v_fmac_f32_e32 v2, v7, v4
.LBB4_54:
	s_or_b64 exec, exec, s[12:13]
	v_mov_b32_e32 v6, v1
	v_mov_b64_e32 v[4:5], v[2:3]
.LBB4_55:
	s_or_b64 exec, exec, s[10:11]
	s_waitcnt lgkmcnt(2)
	ds_bpermute_b32 v1, v11, v6
	s_waitcnt lgkmcnt(2)
	ds_bpermute_b32 v2, v11, v4
	s_waitcnt lgkmcnt(2)
	ds_bpermute_b32 v3, v11, v5
	v_cmp_neq_f32_e32 vcc, 0, v5
	s_and_saveexec_b64 s[10:11], vcc
	s_cbranch_execz .LBB4_59
; %bb.56:
	s_waitcnt lgkmcnt(0)
	v_cmp_neq_f32_e32 vcc, 0, v3
	s_and_saveexec_b64 s[12:13], vcc
	s_cbranch_execz .LBB4_58
; %bb.57:
	v_pk_add_f32 v[8:9], v[4:5], v[2:3]
	v_sub_f32_e32 v1, v1, v6
	v_div_scale_f32 v2, s[14:15], v9, v9, v3
	v_rcp_f32_e32 v4, v2
	v_mul_f32_e32 v7, v1, v1
	v_mul_f32_e32 v5, v5, v7
	v_fma_f32 v7, -v2, v4, 1.0
	v_fmac_f32_e32 v4, v7, v4
	v_div_scale_f32 v7, vcc, v3, v9, v3
	v_mul_f32_e32 v10, v7, v4
	v_fma_f32 v11, -v2, v10, v7
	v_fmac_f32_e32 v10, v11, v4
	v_fma_f32 v2, -v2, v10, v7
	v_div_fmas_f32 v2, v2, v4, v10
	v_div_fixup_f32 v2, v2, v9, v3
	v_fma_f32 v8, v5, v2, v8
	v_fmac_f32_e32 v6, v1, v2
	v_mov_b64_e32 v[4:5], v[8:9]
.LBB4_58:
	s_or_b64 exec, exec, s[12:13]
	v_mov_b32_e32 v1, v6
	v_mov_b64_e32 v[2:3], v[4:5]
.LBB4_59:
	s_or_b64 exec, exec, s[10:11]
	s_waitcnt lgkmcnt(2)
	ds_bpermute_b32 v6, v12, v1
	s_waitcnt lgkmcnt(2)
	ds_bpermute_b32 v4, v12, v2
	s_waitcnt lgkmcnt(2)
	ds_bpermute_b32 v5, v12, v3
	v_cmp_neq_f32_e32 vcc, 0, v3
	s_and_saveexec_b64 s[10:11], vcc
	s_cbranch_execz .LBB4_63
; %bb.60:
	s_waitcnt lgkmcnt(0)
	v_cmp_neq_f32_e32 vcc, 0, v5
	s_and_saveexec_b64 s[12:13], vcc
	s_cbranch_execz .LBB4_62
; %bb.61:
	v_pk_add_f32 v[8:9], v[2:3], v[4:5]
	v_sub_f32_e32 v6, v6, v1
	v_div_scale_f32 v2, s[14:15], v9, v9, v5
	v_rcp_f32_e32 v4, v2
	v_mul_f32_e32 v7, v6, v6
	v_mul_f32_e32 v3, v3, v7
	v_fma_f32 v7, -v2, v4, 1.0
	v_fmac_f32_e32 v4, v7, v4
	v_div_scale_f32 v7, vcc, v5, v9, v5
	v_mul_f32_e32 v10, v7, v4
	v_fma_f32 v11, -v2, v10, v7
	v_fmac_f32_e32 v10, v11, v4
	v_fma_f32 v2, -v2, v10, v7
	v_div_fmas_f32 v2, v2, v4, v10
	v_div_fixup_f32 v2, v2, v9, v5
	v_fma_f32 v8, v3, v2, v8
	v_fmac_f32_e32 v1, v6, v2
	v_mov_b64_e32 v[2:3], v[8:9]
.LBB4_62:
	s_or_b64 exec, exec, s[12:13]
	v_mov_b32_e32 v6, v1
	v_mov_b64_e32 v[4:5], v[2:3]
.LBB4_63:
	;; [unrolled: 39-line block ×4, first 2 shown]
	s_or_b64 exec, exec, s[10:11]
	s_waitcnt lgkmcnt(2)
	ds_bpermute_b32 v1, v14, v6
	s_waitcnt lgkmcnt(2)
	ds_bpermute_b32 v2, v14, v4
	;; [unrolled: 2-line block ×3, first 2 shown]
	v_cmp_neq_f32_e32 vcc, 0, v5
	s_and_saveexec_b64 s[10:11], vcc
	s_cbranch_execz .LBB4_75
; %bb.72:
	s_waitcnt lgkmcnt(0)
	v_cmp_neq_f32_e32 vcc, 0, v3
	s_and_saveexec_b64 s[12:13], vcc
	s_cbranch_execz .LBB4_74
; %bb.73:
	v_pk_add_f32 v[8:9], v[4:5], v[2:3]
	v_sub_f32_e32 v1, v1, v6
	v_div_scale_f32 v2, s[14:15], v9, v9, v3
	v_rcp_f32_e32 v4, v2
	v_mul_f32_e32 v7, v1, v1
	v_mul_f32_e32 v5, v5, v7
	v_fma_f32 v7, -v2, v4, 1.0
	v_fmac_f32_e32 v4, v7, v4
	v_div_scale_f32 v7, vcc, v3, v9, v3
	v_mul_f32_e32 v10, v7, v4
	v_fma_f32 v11, -v2, v10, v7
	v_fmac_f32_e32 v10, v11, v4
	v_fma_f32 v2, -v2, v10, v7
	v_div_fmas_f32 v2, v2, v4, v10
	v_div_fixup_f32 v2, v2, v9, v3
	v_fma_f32 v8, v5, v2, v8
	v_fmac_f32_e32 v6, v1, v2
	v_mov_b64_e32 v[4:5], v[8:9]
.LBB4_74:
	s_or_b64 exec, exec, s[12:13]
	v_mov_b64_e32 v[2:3], v[4:5]
	v_mov_b32_e32 v1, v6
.LBB4_75:
	s_or_b64 exec, exec, s[10:11]
	s_or_b64 exec, exec, s[4:5]
	v_cmp_eq_u32_e32 vcc, 0, v0
	s_and_saveexec_b64 s[4:5], vcc
	s_cbranch_execz .LBB4_47
.LBB4_76:
	s_waitcnt lgkmcnt(0)
	v_max_f32_e32 v0, v3, v3
	v_max_f32_e32 v0, 0, v0
	v_div_scale_f32 v3, s[4:5], v0, v0, v2
	v_rcp_f32_e32 v4, v3
	s_load_dword s4, s[0:1], 0x8
	s_lshl_b64 s[0:1], s[2:3], 2
	s_mov_b32 s3, 0x800000
	v_fma_f32 v5, -v3, v4, 1.0
	v_fmac_f32_e32 v4, v5, v4
	v_div_scale_f32 v5, vcc, v2, v0, v2
	v_mul_f32_e32 v6, v5, v4
	v_fma_f32 v7, -v3, v6, v5
	v_fmac_f32_e32 v6, v7, v4
	v_fma_f32 v3, -v3, v6, v5
	v_div_fmas_f32 v3, v3, v4, v6
	v_div_fixup_f32 v0, v3, v0, v2
	s_waitcnt lgkmcnt(0)
	v_add_f32_e32 v0, s4, v0
	v_mul_f32_e32 v2, 0x4b800000, v0
	v_cmp_gt_f32_e32 vcc, s3, v0
	s_add_u32 s2, s6, s0
	s_addc_u32 s3, s7, s1
	v_cndmask_b32_e32 v0, v0, v2, vcc
	v_rsq_f32_e32 v0, v0
	v_mov_b32_e32 v2, 0
	global_store_dword v2, v1, s[2:3]
	s_add_u32 s0, s8, s0
	v_mul_f32_e32 v1, 0x45800000, v0
	v_cndmask_b32_e32 v0, v0, v1, vcc
	s_addc_u32 s1, s9, s1
	global_store_dword v2, v0, s[0:1]
	s_endpgm
	.section	.rodata,"a",@progbits
	.p2align	6, 0x0
	.amdhsa_kernel _ZN2at6native12_GLOBAL__N_124RowwiseMomentsCUDAKernelIffLb0EEEvlT0_PKT_PS3_S7_
		.amdhsa_group_segment_fixed_size 1536
		.amdhsa_private_segment_fixed_size 0
		.amdhsa_kernarg_size 296
		.amdhsa_user_sgpr_count 2
		.amdhsa_user_sgpr_dispatch_ptr 0
		.amdhsa_user_sgpr_queue_ptr 0
		.amdhsa_user_sgpr_kernarg_segment_ptr 1
		.amdhsa_user_sgpr_dispatch_id 0
		.amdhsa_user_sgpr_kernarg_preload_length 0
		.amdhsa_user_sgpr_kernarg_preload_offset 0
		.amdhsa_user_sgpr_private_segment_size 0
		.amdhsa_uses_dynamic_stack 0
		.amdhsa_enable_private_segment 0
		.amdhsa_system_sgpr_workgroup_id_x 1
		.amdhsa_system_sgpr_workgroup_id_y 0
		.amdhsa_system_sgpr_workgroup_id_z 0
		.amdhsa_system_sgpr_workgroup_info 0
		.amdhsa_system_vgpr_workitem_id 0
		.amdhsa_next_free_vgpr 21
		.amdhsa_next_free_sgpr 23
		.amdhsa_accum_offset 24
		.amdhsa_reserve_vcc 1
		.amdhsa_float_round_mode_32 0
		.amdhsa_float_round_mode_16_64 0
		.amdhsa_float_denorm_mode_32 3
		.amdhsa_float_denorm_mode_16_64 3
		.amdhsa_dx10_clamp 1
		.amdhsa_ieee_mode 1
		.amdhsa_fp16_overflow 0
		.amdhsa_tg_split 0
		.amdhsa_exception_fp_ieee_invalid_op 0
		.amdhsa_exception_fp_denorm_src 0
		.amdhsa_exception_fp_ieee_div_zero 0
		.amdhsa_exception_fp_ieee_overflow 0
		.amdhsa_exception_fp_ieee_underflow 0
		.amdhsa_exception_fp_ieee_inexact 0
		.amdhsa_exception_int_div_zero 0
	.end_amdhsa_kernel
	.section	.text._ZN2at6native12_GLOBAL__N_124RowwiseMomentsCUDAKernelIffLb0EEEvlT0_PKT_PS3_S7_,"axG",@progbits,_ZN2at6native12_GLOBAL__N_124RowwiseMomentsCUDAKernelIffLb0EEEvlT0_PKT_PS3_S7_,comdat
.Lfunc_end4:
	.size	_ZN2at6native12_GLOBAL__N_124RowwiseMomentsCUDAKernelIffLb0EEEvlT0_PKT_PS3_S7_, .Lfunc_end4-_ZN2at6native12_GLOBAL__N_124RowwiseMomentsCUDAKernelIffLb0EEEvlT0_PKT_PS3_S7_
                                        ; -- End function
	.section	.AMDGPU.csdata,"",@progbits
; Kernel info:
; codeLenInByte = 3472
; NumSgprs: 29
; NumVgprs: 21
; NumAgprs: 0
; TotalNumVgprs: 21
; ScratchSize: 0
; MemoryBound: 0
; FloatMode: 240
; IeeeMode: 1
; LDSByteSize: 1536 bytes/workgroup (compile time only)
; SGPRBlocks: 3
; VGPRBlocks: 2
; NumSGPRsForWavesPerEU: 29
; NumVGPRsForWavesPerEU: 21
; AccumOffset: 24
; Occupancy: 8
; WaveLimiterHint : 0
; COMPUTE_PGM_RSRC2:SCRATCH_EN: 0
; COMPUTE_PGM_RSRC2:USER_SGPR: 2
; COMPUTE_PGM_RSRC2:TRAP_HANDLER: 0
; COMPUTE_PGM_RSRC2:TGID_X_EN: 1
; COMPUTE_PGM_RSRC2:TGID_Y_EN: 0
; COMPUTE_PGM_RSRC2:TGID_Z_EN: 0
; COMPUTE_PGM_RSRC2:TIDIG_COMP_CNT: 0
; COMPUTE_PGM_RSRC3_GFX90A:ACCUM_OFFSET: 5
; COMPUTE_PGM_RSRC3_GFX90A:TG_SPLIT: 0
	.section	.text._ZN2at6native12_GLOBAL__N_126LayerNormForwardCUDAKernelIffLb0EEEvlPKT_PKT0_S8_S5_S5_PS3_,"axG",@progbits,_ZN2at6native12_GLOBAL__N_126LayerNormForwardCUDAKernelIffLb0EEEvlPKT_PKT0_S8_S5_S5_PS3_,comdat
	.globl	_ZN2at6native12_GLOBAL__N_126LayerNormForwardCUDAKernelIffLb0EEEvlPKT_PKT0_S8_S5_S5_PS3_ ; -- Begin function _ZN2at6native12_GLOBAL__N_126LayerNormForwardCUDAKernelIffLb0EEEvlPKT_PKT0_S8_S5_S5_PS3_
	.p2align	8
	.type	_ZN2at6native12_GLOBAL__N_126LayerNormForwardCUDAKernelIffLb0EEEvlPKT_PKT0_S8_S5_S5_PS3_,@function
_ZN2at6native12_GLOBAL__N_126LayerNormForwardCUDAKernelIffLb0EEEvlPKT_PKT0_S8_S5_S5_PS3_: ; @_ZN2at6native12_GLOBAL__N_126LayerNormForwardCUDAKernelIffLb0EEEvlPKT_PKT0_S8_S5_S5_PS3_
; %bb.0:
	s_load_dwordx8 s[8:15], s[0:1], 0x0
	v_mov_b32_e32 v1, 0
	s_waitcnt lgkmcnt(0)
	v_cmp_gt_i64_e32 vcc, s[8:9], v[0:1]
	s_and_saveexec_b64 s[4:5], vcc
	s_cbranch_execz .LBB5_8
; %bb.1:
	s_load_dwordx8 s[16:23], s[0:1], 0x20
	s_mov_b32 s3, 0
	s_load_dword s0, s[0:1], 0x44
	s_mul_hi_u32 s1, s8, s2
	s_mov_b64 s[6:7], 0
	s_waitcnt lgkmcnt(0)
	s_cmp_lg_u64 s[16:17], 0
	s_cselect_b64 s[4:5], -1, 0
	s_cmp_lg_u64 s[18:19], 0
	s_cselect_b64 s[24:25], -1, 0
	s_lshl_b64 s[22:23], s[2:3], 2
	s_add_u32 s12, s12, s22
	s_addc_u32 s13, s13, s23
	s_add_u32 s14, s14, s22
	s_addc_u32 s15, s15, s23
	s_and_b32 s22, s0, 0xffff
	s_mul_i32 s0, s9, s2
	s_add_i32 s1, s1, s0
	s_mul_i32 s0, s8, s2
	s_lshl_b64 s[0:1], s[0:1], 2
	s_add_u32 s10, s10, s0
	s_addc_u32 s11, s11, s1
	s_lshl_b32 s2, s22, 2
	s_add_u32 s20, s20, s0
	v_cndmask_b32_e64 v4, 0, 1, s[4:5]
	v_cndmask_b32_e64 v5, 0, 1, s[24:25]
	s_mov_b32 s23, s3
	v_lshlrev_b32_e32 v2, 2, v0
	v_mov_b32_e32 v3, v1
	s_addc_u32 s21, s21, s1
	v_cmp_ne_u32_e64 s[0:1], 1, v4
	v_cmp_ne_u32_e64 s[4:5], 1, v5
	v_mov_b64_e32 v[4:5], v[0:1]
	s_branch .LBB5_4
.LBB5_2:                                ;   in Loop: Header=BB5_4 Depth=1
	v_lshl_add_u64 v[6:7], s[18:19], 0, v[2:3]
	global_load_dword v6, v[6:7], off
.LBB5_3:                                ;   in Loop: Header=BB5_4 Depth=1
	v_lshl_add_u64 v[8:9], s[10:11], 0, v[2:3]
	global_load_dword v7, v[8:9], off
	global_load_dword v10, v1, s[12:13]
	global_load_dword v11, v1, s[14:15]
	v_lshl_add_u64 v[4:5], v[4:5], 0, s[22:23]
	v_cmp_le_i64_e32 vcc, s[8:9], v[4:5]
	v_lshl_add_u64 v[8:9], s[20:21], 0, v[2:3]
	s_or_b64 s[6:7], vcc, s[6:7]
	v_lshl_add_u64 v[2:3], v[2:3], 0, s[2:3]
	s_waitcnt vmcnt(1)
	v_sub_f32_e32 v7, v7, v10
	s_waitcnt vmcnt(0)
	v_mul_f32_e32 v7, v7, v11
	v_fmac_f32_e32 v6, v0, v7
	global_store_dword v[8:9], v6, off
	s_andn2_b64 exec, exec, s[6:7]
	s_cbranch_execz .LBB5_8
.LBB5_4:                                ; =>This Inner Loop Header: Depth=1
	s_and_b64 vcc, exec, s[0:1]
	s_cbranch_vccnz .LBB5_6
; %bb.5:                                ;   in Loop: Header=BB5_4 Depth=1
	v_lshl_add_u64 v[6:7], s[16:17], 0, v[2:3]
	global_load_dword v0, v[6:7], off
	s_and_b64 vcc, exec, s[4:5]
	s_cbranch_vccz .LBB5_2
	s_branch .LBB5_7
.LBB5_6:                                ;   in Loop: Header=BB5_4 Depth=1
	v_mov_b32_e32 v0, 1.0
	s_and_b64 vcc, exec, s[4:5]
	s_cbranch_vccz .LBB5_2
.LBB5_7:                                ;   in Loop: Header=BB5_4 Depth=1
	v_mov_b32_e32 v6, 0
	s_branch .LBB5_3
.LBB5_8:
	s_endpgm
	.section	.rodata,"a",@progbits
	.p2align	6, 0x0
	.amdhsa_kernel _ZN2at6native12_GLOBAL__N_126LayerNormForwardCUDAKernelIffLb0EEEvlPKT_PKT0_S8_S5_S5_PS3_
		.amdhsa_group_segment_fixed_size 0
		.amdhsa_private_segment_fixed_size 0
		.amdhsa_kernarg_size 312
		.amdhsa_user_sgpr_count 2
		.amdhsa_user_sgpr_dispatch_ptr 0
		.amdhsa_user_sgpr_queue_ptr 0
		.amdhsa_user_sgpr_kernarg_segment_ptr 1
		.amdhsa_user_sgpr_dispatch_id 0
		.amdhsa_user_sgpr_kernarg_preload_length 0
		.amdhsa_user_sgpr_kernarg_preload_offset 0
		.amdhsa_user_sgpr_private_segment_size 0
		.amdhsa_uses_dynamic_stack 0
		.amdhsa_enable_private_segment 0
		.amdhsa_system_sgpr_workgroup_id_x 1
		.amdhsa_system_sgpr_workgroup_id_y 0
		.amdhsa_system_sgpr_workgroup_id_z 0
		.amdhsa_system_sgpr_workgroup_info 0
		.amdhsa_system_vgpr_workitem_id 0
		.amdhsa_next_free_vgpr 12
		.amdhsa_next_free_sgpr 26
		.amdhsa_accum_offset 12
		.amdhsa_reserve_vcc 1
		.amdhsa_float_round_mode_32 0
		.amdhsa_float_round_mode_16_64 0
		.amdhsa_float_denorm_mode_32 3
		.amdhsa_float_denorm_mode_16_64 3
		.amdhsa_dx10_clamp 1
		.amdhsa_ieee_mode 1
		.amdhsa_fp16_overflow 0
		.amdhsa_tg_split 0
		.amdhsa_exception_fp_ieee_invalid_op 0
		.amdhsa_exception_fp_denorm_src 0
		.amdhsa_exception_fp_ieee_div_zero 0
		.amdhsa_exception_fp_ieee_overflow 0
		.amdhsa_exception_fp_ieee_underflow 0
		.amdhsa_exception_fp_ieee_inexact 0
		.amdhsa_exception_int_div_zero 0
	.end_amdhsa_kernel
	.section	.text._ZN2at6native12_GLOBAL__N_126LayerNormForwardCUDAKernelIffLb0EEEvlPKT_PKT0_S8_S5_S5_PS3_,"axG",@progbits,_ZN2at6native12_GLOBAL__N_126LayerNormForwardCUDAKernelIffLb0EEEvlPKT_PKT0_S8_S5_S5_PS3_,comdat
.Lfunc_end5:
	.size	_ZN2at6native12_GLOBAL__N_126LayerNormForwardCUDAKernelIffLb0EEEvlPKT_PKT0_S8_S5_S5_PS3_, .Lfunc_end5-_ZN2at6native12_GLOBAL__N_126LayerNormForwardCUDAKernelIffLb0EEEvlPKT_PKT0_S8_S5_S5_PS3_
                                        ; -- End function
	.section	.AMDGPU.csdata,"",@progbits
; Kernel info:
; codeLenInByte = 368
; NumSgprs: 32
; NumVgprs: 12
; NumAgprs: 0
; TotalNumVgprs: 12
; ScratchSize: 0
; MemoryBound: 0
; FloatMode: 240
; IeeeMode: 1
; LDSByteSize: 0 bytes/workgroup (compile time only)
; SGPRBlocks: 3
; VGPRBlocks: 1
; NumSGPRsForWavesPerEU: 32
; NumVGPRsForWavesPerEU: 12
; AccumOffset: 12
; Occupancy: 8
; WaveLimiterHint : 0
; COMPUTE_PGM_RSRC2:SCRATCH_EN: 0
; COMPUTE_PGM_RSRC2:USER_SGPR: 2
; COMPUTE_PGM_RSRC2:TRAP_HANDLER: 0
; COMPUTE_PGM_RSRC2:TGID_X_EN: 1
; COMPUTE_PGM_RSRC2:TGID_Y_EN: 0
; COMPUTE_PGM_RSRC2:TGID_Z_EN: 0
; COMPUTE_PGM_RSRC2:TIDIG_COMP_CNT: 0
; COMPUTE_PGM_RSRC3_GFX90A:ACCUM_OFFSET: 2
; COMPUTE_PGM_RSRC3_GFX90A:TG_SPLIT: 0
	.section	.text._ZN2at6native12_GLOBAL__N_128vectorized_layer_norm_kernelIN3c104HalfEfLb0EEEviT0_PKT_S8_S8_PS5_S9_PS6_,"axG",@progbits,_ZN2at6native12_GLOBAL__N_128vectorized_layer_norm_kernelIN3c104HalfEfLb0EEEviT0_PKT_S8_S8_PS5_S9_PS6_,comdat
	.globl	_ZN2at6native12_GLOBAL__N_128vectorized_layer_norm_kernelIN3c104HalfEfLb0EEEviT0_PKT_S8_S8_PS5_S9_PS6_ ; -- Begin function _ZN2at6native12_GLOBAL__N_128vectorized_layer_norm_kernelIN3c104HalfEfLb0EEEviT0_PKT_S8_S8_PS5_S9_PS6_
	.p2align	8
	.type	_ZN2at6native12_GLOBAL__N_128vectorized_layer_norm_kernelIN3c104HalfEfLb0EEEviT0_PKT_S8_S8_PS5_S9_PS6_,@function
_ZN2at6native12_GLOBAL__N_128vectorized_layer_norm_kernelIN3c104HalfEfLb0EEEviT0_PKT_S8_S8_PS5_S9_PS6_: ; @_ZN2at6native12_GLOBAL__N_128vectorized_layer_norm_kernelIN3c104HalfEfLb0EEEviT0_PKT_S8_S8_PS5_S9_PS6_
; %bb.0:
	s_load_dwordx4 s[16:19], s[0:1], 0x0
	s_load_dword s4, s[0:1], 0x44
	v_and_b32_e32 v14, 0x3ff, v0
	v_bfe_u32 v15, v0, 10, 10
	s_mov_b32 s3, 0
	s_waitcnt lgkmcnt(0)
	s_ashr_i32 s5, s16, 31
	s_lshr_b32 s26, s4, 16
	s_and_b32 s4, s4, 0xffff
	s_mul_i32 s20, s26, s4
	v_mul_u32_u24_e32 v0, s4, v15
	v_mad_u32_u24 v16, v15, s4, v14
	s_lshr_b32 s4, s5, 30
	s_add_i32 s4, s16, s4
	s_mul_hi_u32 s6, s16, s2
	s_mul_i32 s7, s5, s2
	s_ashr_i32 s30, s4, 2
	s_add_i32 s23, s6, s7
	s_mul_i32 s22, s16, s2
	v_cmp_gt_i32_e64 s[4:5], s30, v16
	v_mov_b32_e32 v9, 0
	v_add_lshl_u32 v8, v0, v14, 3
	v_mov_b32_e32 v1, 0
	v_mov_b32_e32 v0, 0
	s_and_saveexec_b64 s[12:13], s[4:5]
	s_cbranch_execz .LBB6_4
; %bb.1:
	s_lshl_b64 s[6:7], s[22:23], 1
	s_add_u32 s6, s18, s6
	v_mov_b32_e32 v9, 0
	s_addc_u32 s7, s19, s7
	v_lshl_add_u64 v[0:1], s[6:7], 0, v[8:9]
	s_ashr_i32 s21, s20, 31
	v_lshl_add_u64 v[2:3], v[0:1], 0, 4
	s_lshl_b64 s[24:25], s[20:21], 3
	s_mov_b64 s[14:15], 0
	v_mov_b32_e32 v4, v16
	v_mov_b32_e32 v1, v9
	;; [unrolled: 1-line block ×3, first 2 shown]
.LBB6_2:                                ; =>This Inner Loop Header: Depth=1
	global_load_dwordx2 v[6:7], v[2:3], off offset:-4
	v_add_f32_e32 v5, 1.0, v9
	v_add_u32_e32 v4, s20, v4
	v_div_scale_f32 v10, s[6:7], v5, v5, 1.0
	v_add_f32_e32 v12, 1.0, v5
	v_cmp_le_i32_e64 s[6:7], s30, v4
	v_rcp_f32_e32 v13, v10
	v_div_scale_f32 v17, s[8:9], v12, v12, 1.0
	v_add_f32_e32 v19, 1.0, v12
	s_or_b64 s[14:15], s[6:7], s[14:15]
	v_rcp_f32_e32 v20, v17
	v_div_scale_f32 v21, s[6:7], v19, v19, 1.0
	v_add_f32_e32 v9, 1.0, v19
	v_rcp_f32_e32 v23, v21
	v_div_scale_f32 v24, s[10:11], v9, v9, 1.0
	v_rcp_f32_e32 v26, v24
	v_fma_f32 v27, -v10, v13, 1.0
	v_div_scale_f32 v11, vcc, 1.0, v5, 1.0
	v_fmac_f32_e32 v13, v27, v13
	v_fma_f32 v27, -v17, v20, 1.0
	v_div_scale_f32 v18, s[8:9], 1.0, v12, 1.0
	v_mul_f32_e32 v28, v11, v13
	v_fmac_f32_e32 v20, v27, v20
	v_fma_f32 v27, -v21, v23, 1.0
	v_div_scale_f32 v22, s[6:7], 1.0, v19, 1.0
	v_fma_f32 v29, -v10, v28, v11
	v_mul_f32_e32 v30, v18, v20
	v_fmac_f32_e32 v23, v27, v23
	v_fma_f32 v27, -v24, v26, 1.0
	v_div_scale_f32 v25, s[10:11], 1.0, v9, 1.0
	v_fmac_f32_e32 v28, v29, v13
	v_fma_f32 v29, -v17, v30, v18
	v_mul_f32_e32 v31, v22, v23
	v_fmac_f32_e32 v26, v27, v26
	v_fma_f32 v10, -v10, v28, v11
	v_fmac_f32_e32 v30, v29, v20
	v_fma_f32 v11, -v21, v31, v22
	v_mul_f32_e32 v27, v25, v26
	v_div_fmas_f32 v10, v10, v13, v28
	v_fma_f32 v13, -v17, v30, v18
	v_fmac_f32_e32 v31, v11, v23
	v_fma_f32 v11, -v24, v27, v25
	s_mov_b64 vcc, s[8:9]
	v_div_fixup_f32 v5, v10, v5, 1.0
	v_div_fmas_f32 v10, v13, v20, v30
	v_fma_f32 v13, -v21, v31, v22
	v_fmac_f32_e32 v27, v11, v26
	s_mov_b64 vcc, s[6:7]
	v_div_fixup_f32 v17, v10, v12, 1.0
	v_div_fmas_f32 v10, v13, v23, v31
	v_fma_f32 v11, -v24, v27, v25
	s_mov_b64 vcc, s[10:11]
	v_div_fixup_f32 v21, v10, v19, 1.0
	v_div_fmas_f32 v10, v11, v26, v27
	v_div_fixup_f32 v22, v10, v9, 1.0
	v_lshl_add_u64 v[2:3], v[2:3], 0, s[24:25]
	s_waitcnt vmcnt(0)
	v_cvt_f32_f16_e32 v10, v6
	v_cvt_f32_f16_sdwa v11, v6 dst_sel:DWORD dst_unused:UNUSED_PAD src0_sel:WORD_1
	v_cvt_f32_f16_e32 v12, v7
	v_cvt_f32_f16_sdwa v13, v7 dst_sel:DWORD dst_unused:UNUSED_PAD src0_sel:WORD_1
	v_sub_f32_e32 v6, v10, v0
	v_fmac_f32_e32 v0, v5, v6
	v_pk_add_f32 v[18:19], v[10:11], v[0:1] op_sel_hi:[1,0] neg_lo:[0,1] neg_hi:[0,1]
	s_nop 0
	v_fmac_f32_e32 v0, v17, v19
	v_sub_f32_e32 v7, v11, v0
	v_sub_f32_e32 v10, v12, v0
	v_mov_b32_e32 v20, v0
	v_pk_mul_f32 v[6:7], v[18:19], v[6:7]
	v_fmac_f32_e32 v20, v21, v10
	v_add_f32_e32 v0, v1, v6
	v_sub_f32_e32 v11, v13, v20
	v_add_f32_e32 v1, v0, v7
	v_fma_f32 v0, v22, v11, v20
	v_mov_b32_e32 v21, v0
	v_pk_add_f32 v[6:7], v[12:13], v[20:21] neg_lo:[0,1] neg_hi:[0,1]
	s_nop 0
	v_pk_mul_f32 v[6:7], v[10:11], v[6:7]
	s_nop 0
	v_add_f32_e32 v1, v1, v6
	v_add_f32_e32 v1, v1, v7
	s_andn2_b64 exec, exec, s[14:15]
	s_cbranch_execnz .LBB6_2
; %bb.3:
	s_or_b64 exec, exec, s[14:15]
.LBB6_4:
	s_or_b64 exec, exec, s[12:13]
	v_mbcnt_lo_u32_b32 v2, -1, 0
	v_mbcnt_hi_u32_b32 v17, -1, v2
	v_and_b32_e32 v18, 63, v17
	v_cmp_gt_u32_e32 vcc, 32, v18
	v_mov_b32_e32 v4, 0
	v_mov_b32_e32 v5, 0
	v_cndmask_b32_e64 v2, 0, 1, vcc
	v_lshlrev_b32_e32 v2, 5, v2
	v_add_lshl_u32 v3, v2, v17, 2
	ds_bpermute_b32 v10, v3, v9
	ds_bpermute_b32 v6, v3, v0
	ds_bpermute_b32 v3, v3, v1
	v_mov_b32_e32 v2, 0
	s_waitcnt lgkmcnt(2)
	v_add_f32_e32 v12, v9, v10
	v_cmp_lt_f32_e32 vcc, 0, v12
	s_and_saveexec_b64 s[6:7], vcc
	s_cbranch_execz .LBB6_6
; %bb.5:
	v_div_scale_f32 v4, s[8:9], v12, v12, 1.0
	v_rcp_f32_e32 v5, v4
	s_waitcnt lgkmcnt(1)
	v_sub_f32_e32 v11, v0, v6
	s_waitcnt lgkmcnt(0)
	v_add_f32_e32 v1, v1, v3
	v_fma_f32 v7, -v4, v5, 1.0
	v_fmac_f32_e32 v5, v7, v5
	v_div_scale_f32 v7, vcc, 1.0, v12, 1.0
	v_mul_f32_e32 v13, v7, v5
	v_fma_f32 v19, -v4, v13, v7
	v_fmac_f32_e32 v13, v19, v5
	v_fma_f32 v4, -v4, v13, v7
	v_div_fmas_f32 v4, v4, v5, v13
	v_div_fixup_f32 v4, v4, v12, 1.0
	v_mul_f32_e32 v7, v9, v4
	v_mul_f32_e32 v5, v11, v11
	;; [unrolled: 1-line block ×3, first 2 shown]
	v_pk_mul_f32 v[4:5], v[4:5], v[10:11] op_sel_hi:[1,0]
	s_nop 0
	v_pk_fma_f32 v[4:5], v[4:5], v[6:7], v[0:1]
.LBB6_6:
	s_or_b64 exec, exec, s[6:7]
	v_cmp_gt_u32_e32 vcc, 48, v18
	s_waitcnt lgkmcnt(0)
	v_mov_b32_e32 v3, 0
	v_cndmask_b32_e64 v0, 0, 1, vcc
	v_lshlrev_b32_e32 v0, 4, v0
	v_add_lshl_u32 v1, v0, v17, 2
	ds_bpermute_b32 v6, v1, v12
	ds_bpermute_b32 v0, v1, v4
	;; [unrolled: 1-line block ×3, first 2 shown]
	s_waitcnt lgkmcnt(2)
	v_add_f32_e32 v7, v12, v6
	v_cmp_lt_f32_e32 vcc, 0, v7
	s_and_saveexec_b64 s[6:7], vcc
	s_cbranch_execz .LBB6_8
; %bb.7:
	v_div_scale_f32 v1, s[8:9], v7, v7, 1.0
	v_rcp_f32_e32 v2, v1
	s_waitcnt lgkmcnt(1)
	v_sub_f32_e32 v3, v4, v0
	v_mul_f32_e32 v3, v3, v3
	v_fma_f32 v9, -v1, v2, 1.0
	v_fmac_f32_e32 v2, v9, v2
	v_div_scale_f32 v9, vcc, 1.0, v7, 1.0
	v_mul_f32_e32 v10, v9, v2
	v_fma_f32 v13, -v1, v10, v9
	v_fmac_f32_e32 v10, v13, v2
	v_fma_f32 v1, -v1, v10, v9
	v_div_fmas_f32 v1, v1, v2, v10
	v_div_fixup_f32 v2, v1, v7, 1.0
	v_mul_f32_e32 v10, v12, v2
	s_waitcnt lgkmcnt(0)
	v_pk_mul_f32 v[12:13], v[4:5], v[10:11]
	v_pk_add_f32 v[4:5], v[4:5], v[10:11]
	v_pk_mul_f32 v[2:3], v[2:3], v[6:7] op_sel_hi:[1,0]
	v_mov_b32_e32 v13, v5
	v_mov_b32_e32 v1, v10
	v_pk_fma_f32 v[2:3], v[2:3], v[0:1], v[12:13]
.LBB6_8:
	s_or_b64 exec, exec, s[6:7]
	v_cmp_gt_u32_e32 vcc, 56, v18
	v_mov_b32_e32 v4, 0
	v_mov_b32_e32 v5, 0
	s_waitcnt lgkmcnt(1)
	v_cndmask_b32_e64 v0, 0, 1, vcc
	v_lshlrev_b32_e32 v0, 3, v0
	v_add_lshl_u32 v1, v0, v17, 2
	ds_bpermute_b32 v6, v1, v7
	ds_bpermute_b32 v10, v1, v2
	;; [unrolled: 1-line block ×3, first 2 shown]
	v_mov_b32_e32 v0, 0
	s_waitcnt lgkmcnt(2)
	v_add_f32_e32 v9, v7, v6
	v_cmp_lt_f32_e32 vcc, 0, v9
	s_and_saveexec_b64 s[6:7], vcc
	s_cbranch_execz .LBB6_10
; %bb.9:
	v_div_scale_f32 v1, s[8:9], v9, v9, 1.0
	v_rcp_f32_e32 v4, v1
	s_waitcnt lgkmcnt(1)
	v_sub_f32_e32 v5, v2, v10
	v_mul_f32_e32 v5, v5, v5
	v_fma_f32 v11, -v1, v4, 1.0
	v_fmac_f32_e32 v4, v11, v4
	v_div_scale_f32 v11, vcc, 1.0, v9, 1.0
	v_mul_f32_e32 v12, v11, v4
	v_fma_f32 v19, -v1, v12, v11
	v_fmac_f32_e32 v12, v19, v4
	v_fma_f32 v1, -v1, v12, v11
	v_div_fmas_f32 v1, v1, v4, v12
	v_div_fixup_f32 v4, v1, v9, 1.0
	v_mul_f32_e32 v12, v7, v4
	s_waitcnt lgkmcnt(0)
	v_pk_mul_f32 v[20:21], v[2:3], v[12:13]
	v_pk_add_f32 v[2:3], v[2:3], v[12:13]
	v_mov_b32_e32 v11, v12
	v_mov_b32_e32 v21, v3
	v_pk_mul_f32 v[2:3], v[4:5], v[6:7] op_sel_hi:[1,0]
	s_nop 0
	v_pk_fma_f32 v[4:5], v[2:3], v[10:11], v[20:21]
.LBB6_10:
	s_or_b64 exec, exec, s[6:7]
	v_cmp_gt_u32_e32 vcc, 60, v18
	s_nop 1
	v_cndmask_b32_e64 v1, 0, 1, vcc
	v_lshlrev_b32_e32 v1, 2, v1
	v_add_lshl_u32 v1, v1, v17, 2
	ds_bpermute_b32 v6, v1, v9
	ds_bpermute_b32 v2, v1, v4
	;; [unrolled: 1-line block ×3, first 2 shown]
	v_mov_b32_e32 v1, 0
	s_waitcnt lgkmcnt(2)
	v_add_f32_e32 v7, v9, v6
	v_cmp_lt_f32_e32 vcc, 0, v7
	s_and_saveexec_b64 s[6:7], vcc
	s_cbranch_execz .LBB6_12
; %bb.11:
	v_div_scale_f32 v0, s[8:9], v7, v7, 1.0
	v_rcp_f32_e32 v1, v0
	s_waitcnt lgkmcnt(1)
	v_sub_f32_e32 v3, v4, v2
	v_fma_f32 v10, -v0, v1, 1.0
	v_fmac_f32_e32 v1, v10, v1
	v_div_scale_f32 v10, vcc, 1.0, v7, 1.0
	v_mul_f32_e32 v12, v10, v1
	v_fma_f32 v13, -v0, v12, v10
	v_fmac_f32_e32 v12, v13, v1
	v_fma_f32 v0, -v0, v12, v10
	v_div_fmas_f32 v0, v0, v1, v12
	v_div_fixup_f32 v0, v0, v7, 1.0
	v_mul_f32_e32 v10, v9, v0
	s_waitcnt lgkmcnt(0)
	v_pk_mul_f32 v[12:13], v[4:5], v[10:11]
	v_pk_add_f32 v[4:5], v[4:5], v[10:11]
	v_mul_f32_e32 v1, v3, v3
	v_mov_b32_e32 v13, v5
	v_pk_mul_f32 v[0:1], v[0:1], v[6:7] op_sel_hi:[1,0]
	v_mov_b32_e32 v3, v10
	v_pk_fma_f32 v[0:1], v[0:1], v[2:3], v[12:13]
.LBB6_12:
	s_or_b64 exec, exec, s[6:7]
	v_cmp_gt_u32_e32 vcc, 62, v18
	v_mov_b32_e32 v4, 0
	v_mov_b32_e32 v5, 0
	s_waitcnt lgkmcnt(1)
	v_cndmask_b32_e64 v2, 0, 1, vcc
	v_lshlrev_b32_e32 v2, 1, v2
	v_add_lshl_u32 v3, v2, v17, 2
	ds_bpermute_b32 v6, v3, v7
	ds_bpermute_b32 v10, v3, v0
	ds_bpermute_b32 v13, v3, v1
	v_mov_b32_e32 v2, 0
	s_waitcnt lgkmcnt(2)
	v_add_f32_e32 v9, v7, v6
	v_cmp_lt_f32_e32 vcc, 0, v9
	s_and_saveexec_b64 s[6:7], vcc
	s_cbranch_execz .LBB6_14
; %bb.13:
	v_div_scale_f32 v3, s[8:9], v9, v9, 1.0
	v_rcp_f32_e32 v4, v3
	s_waitcnt lgkmcnt(1)
	v_sub_f32_e32 v5, v0, v10
	v_mul_f32_e32 v5, v5, v5
	v_fma_f32 v11, -v3, v4, 1.0
	v_fmac_f32_e32 v4, v11, v4
	v_div_scale_f32 v11, vcc, 1.0, v9, 1.0
	v_mul_f32_e32 v12, v11, v4
	v_fma_f32 v19, -v3, v12, v11
	v_fmac_f32_e32 v12, v19, v4
	v_fma_f32 v3, -v3, v12, v11
	v_div_fmas_f32 v3, v3, v4, v12
	v_div_fixup_f32 v4, v3, v9, 1.0
	v_mul_f32_e32 v12, v7, v4
	s_waitcnt lgkmcnt(0)
	v_pk_mul_f32 v[20:21], v[0:1], v[12:13]
	v_pk_add_f32 v[0:1], v[0:1], v[12:13]
	v_mov_b32_e32 v11, v12
	v_mov_b32_e32 v21, v1
	v_pk_mul_f32 v[0:1], v[4:5], v[6:7] op_sel_hi:[1,0]
	s_nop 0
	v_pk_fma_f32 v[4:5], v[0:1], v[10:11], v[20:21]
.LBB6_14:
	s_or_b64 exec, exec, s[6:7]
	v_cmp_ne_u32_e32 vcc, 63, v18
	v_mov_b32_e32 v3, 0
	s_nop 0
	v_addc_co_u32_e32 v0, vcc, 0, v17, vcc
	v_lshlrev_b32_e32 v1, 2, v0
	ds_bpermute_b32 v6, v1, v9
	ds_bpermute_b32 v0, v1, v4
	;; [unrolled: 1-line block ×3, first 2 shown]
	s_waitcnt lgkmcnt(2)
	v_add_f32_e32 v7, v9, v6
	v_cmp_lt_f32_e32 vcc, 0, v7
	s_and_saveexec_b64 s[6:7], vcc
	s_cbranch_execz .LBB6_16
; %bb.15:
	v_div_scale_f32 v1, s[8:9], v7, v7, 1.0
	v_rcp_f32_e32 v2, v1
	s_waitcnt lgkmcnt(1)
	v_sub_f32_e32 v3, v4, v0
	v_mul_f32_e32 v3, v3, v3
	v_fma_f32 v10, -v1, v2, 1.0
	v_fmac_f32_e32 v2, v10, v2
	v_div_scale_f32 v10, vcc, 1.0, v7, 1.0
	v_mul_f32_e32 v12, v10, v2
	v_fma_f32 v13, -v1, v12, v10
	v_fmac_f32_e32 v12, v13, v2
	v_fma_f32 v1, -v1, v12, v10
	v_div_fmas_f32 v1, v1, v2, v12
	v_div_fixup_f32 v2, v1, v7, 1.0
	v_mul_f32_e32 v10, v9, v2
	s_waitcnt lgkmcnt(0)
	v_pk_mul_f32 v[12:13], v[4:5], v[10:11]
	v_pk_add_f32 v[4:5], v[4:5], v[10:11]
	v_pk_mul_f32 v[2:3], v[2:3], v[6:7] op_sel_hi:[1,0]
	v_mov_b32_e32 v13, v5
	v_mov_b32_e32 v1, v10
	v_pk_fma_f32 v[2:3], v[2:3], v[0:1], v[12:13]
.LBB6_16:
	s_or_b64 exec, exec, s[6:7]
	s_cmp_lt_u32 s26, 2
	s_cbranch_scc0 .LBB6_18
; %bb.17:
	s_waitcnt lgkmcnt(1)
	v_lshlrev_b32_e32 v0, 2, v17
	v_and_b32_e32 v0, 0x100, v0
	ds_bpermute_b32 v1, v0, v3
	v_cvt_f32_i32_e32 v4, s16
	ds_bpermute_b32 v0, v0, v2
	s_waitcnt lgkmcnt(1)
	v_div_scale_f32 v5, s[6:7], v4, v4, v1
	v_rcp_f32_e32 v6, v5
	v_div_scale_f32 v9, vcc, v1, v4, v1
	v_fma_f32 v10, -v5, v6, 1.0
	v_fmac_f32_e32 v6, v10, v6
	v_mul_f32_e32 v10, v9, v6
	v_fma_f32 v11, -v5, v10, v9
	v_fmac_f32_e32 v10, v11, v6
	v_fma_f32 v5, -v5, v10, v9
	v_div_fmas_f32 v5, v5, v6, v10
	v_div_fixup_f32 v1, v5, v4, v1
	s_cbranch_execz .LBB6_19
	s_branch .LBB6_31
.LBB6_18:
                                        ; implicit-def: $vgpr0_vgpr1
.LBB6_19:
	s_lshl_b32 s6, s26, 2
	s_add_i32 s12, s6, 0
	v_cmp_eq_u32_e64 s[6:7], 0, v14
	v_lshl_add_u32 v4, v15, 2, s12
	v_lshl_add_u32 v5, v15, 3, 0
.LBB6_20:                               ; =>This Inner Loop Header: Depth=1
	s_lshr_b32 s13, s26, 1
	s_and_b32 s8, s26, 0xfffe
	v_cmp_le_u32_e32 vcc, s13, v15
	v_cmp_gt_u32_e64 s[8:9], s8, v15
	s_and_b64 s[8:9], vcc, s[8:9]
	s_and_b64 s[10:11], s[6:7], s[8:9]
	s_and_saveexec_b64 s[8:9], s[10:11]
	s_cbranch_execz .LBB6_22
; %bb.21:                               ;   in Loop: Header=BB6_20 Depth=1
	s_waitcnt lgkmcnt(0)
	v_subrev_u32_e32 v0, s13, v15
	v_lshl_add_u32 v1, v0, 3, 0
	v_lshl_add_u32 v0, v0, 2, s12
	ds_write2_b32 v1, v2, v3 offset1:1
	ds_write_b32 v0, v7
.LBB6_22:                               ;   in Loop: Header=BB6_20 Depth=1
	s_or_b64 exec, exec, s[8:9]
	v_cmp_gt_u32_e32 vcc, s13, v15
	s_and_b64 s[10:11], s[6:7], vcc
	s_waitcnt lgkmcnt(0)
	s_barrier
	s_and_saveexec_b64 s[8:9], s[10:11]
	s_cbranch_execz .LBB6_26
; %bb.23:                               ;   in Loop: Header=BB6_20 Depth=1
	ds_read_b32 v9, v4
	v_mov_b32_e32 v1, 0
	v_mov_b32_e32 v0, 0
	s_waitcnt lgkmcnt(0)
	v_add_f32_e32 v6, v7, v9
	v_cmp_lt_f32_e32 vcc, 0, v6
	s_and_saveexec_b64 s[10:11], vcc
	s_cbranch_execz .LBB6_25
; %bb.24:                               ;   in Loop: Header=BB6_20 Depth=1
	v_div_scale_f32 v10, s[14:15], v6, v6, 1.0
	v_rcp_f32_e32 v11, v10
	ds_read2_b32 v[0:1], v5 offset1:1
	v_fma_f32 v13, -v10, v11, 1.0
	v_fmac_f32_e32 v11, v13, v11
	v_div_scale_f32 v13, vcc, 1.0, v6, 1.0
	v_mul_f32_e32 v17, v13, v11
	v_fma_f32 v18, -v10, v17, v13
	v_fmac_f32_e32 v17, v18, v11
	v_fma_f32 v10, -v10, v17, v13
	v_div_fmas_f32 v10, v10, v11, v17
	s_waitcnt lgkmcnt(0)
	v_sub_f32_e32 v12, v2, v0
	v_div_fixup_f32 v10, v10, v6, 1.0
	v_mul_f32_e32 v11, v9, v10
	v_add_f32_e32 v1, v3, v1
	v_mul_f32_e32 v3, v12, v12
	v_mul_f32_e32 v10, v7, v10
	;; [unrolled: 1-line block ×4, first 2 shown]
	v_pk_fma_f32 v[0:1], v[2:3], v[10:11], v[0:1] op_sel_hi:[1,0,1]
.LBB6_25:                               ;   in Loop: Header=BB6_20 Depth=1
	s_or_b64 exec, exec, s[10:11]
	v_mov_b32_e32 v7, v6
	v_mov_b32_e32 v2, v0
	;; [unrolled: 1-line block ×3, first 2 shown]
.LBB6_26:                               ;   in Loop: Header=BB6_20 Depth=1
	s_or_b64 exec, exec, s[8:9]
	s_cmp_lt_u32 s26, 4
	s_barrier
	s_cbranch_scc1 .LBB6_28
; %bb.27:                               ;   in Loop: Header=BB6_20 Depth=1
	s_mov_b32 s26, s13
	s_branch .LBB6_20
.LBB6_28:
	v_or_b32_e32 v0, v14, v15
	v_cmp_eq_u32_e32 vcc, 0, v0
	s_and_saveexec_b64 s[6:7], vcc
	s_cbranch_execz .LBB6_30
; %bb.29:
	v_cvt_f32_i32_e32 v0, s16
	v_div_scale_f32 v1, s[8:9], v0, v0, v3
	v_rcp_f32_e32 v4, v1
	v_div_scale_f32 v5, vcc, v3, v0, v3
	v_fma_f32 v6, -v1, v4, 1.0
	v_fmac_f32_e32 v4, v6, v4
	v_mul_f32_e32 v6, v5, v4
	v_fma_f32 v7, -v1, v6, v5
	v_fmac_f32_e32 v6, v7, v4
	v_fma_f32 v1, -v1, v6, v5
	v_div_fmas_f32 v1, v1, v4, v6
	v_div_fixup_f32 v0, v1, v0, v3
	v_mov_b32_e32 v1, 0
	ds_write2_b32 v1, v2, v0 offset1:1
.LBB6_30:
	s_or_b64 exec, exec, s[6:7]
	v_mov_b32_e32 v0, 0
	s_waitcnt lgkmcnt(0)
	s_barrier
	ds_read2_b32 v[0:1], v0 offset1:1
.LBB6_31:
	s_waitcnt lgkmcnt(0)
	v_add_f32_e32 v1, s17, v1
	s_mov_b32 s6, 0x800000
	v_mul_f32_e32 v2, 0x4b800000, v1
	v_cmp_gt_f32_e32 vcc, s6, v1
	s_load_dwordx8 s[8:15], s[0:1], 0x10
	s_nop 0
	v_cndmask_b32_e32 v1, v1, v2, vcc
	v_rsq_f32_e32 v1, v1
	s_load_dwordx2 s[0:1], s[0:1], 0x30
	v_mul_f32_e32 v2, 0x45800000, v1
	v_cndmask_b32_e32 v10, v1, v2, vcc
	s_and_saveexec_b64 s[6:7], s[4:5]
	s_cbranch_execz .LBB6_46
; %bb.32:
	s_waitcnt lgkmcnt(0)
	s_cmp_eq_u64 s[8:9], 0
	s_cselect_b64 s[16:17], -1, 0
	s_cmp_eq_u64 s[10:11], 0
	s_cselect_b64 s[24:25], -1, 0
	s_lshl_b64 s[26:27], s[22:23], 1
	s_add_u32 s22, s0, s26
	s_addc_u32 s23, s1, s27
	s_add_u32 s18, s18, s26
	s_addc_u32 s19, s19, s27
	v_cndmask_b32_e64 v4, 0, 1, s[24:25]
	s_ashr_i32 s21, s20, 31
	s_mov_b64 s[4:5], 0
	s_or_b64 s[24:25], s[16:17], s[24:25]
	v_mov_b32_e32 v11, v10
	v_mov_b32_e32 v12, v10
	;; [unrolled: 1-line block ×7, first 2 shown]
	s_lshl_b64 s[26:27], s[20:21], 3
	v_cmp_ne_u32_e64 s[0:1], 1, v4
	v_mov_b32_e32 v17, v16
	s_branch .LBB6_34
.LBB6_33:                               ;   in Loop: Header=BB6_34 Depth=1
	v_cvt_f16_f32_e32 v7, v7
	v_cvt_f16_f32_e32 v6, v6
	s_waitcnt vmcnt(0)
	v_cvt_f16_f32_e32 v14, v5
	v_cvt_f16_f32_e32 v4, v4
	v_add_u32_e32 v17, s20, v17
	v_cmp_le_i32_e32 vcc, s30, v17
	v_pack_b32_f16 v5, v6, v7
	v_pack_b32_f16 v4, v4, v14
	v_lshl_add_u64 v[6:7], s[22:23], 0, v[8:9]
	s_or_b64 s[4:5], vcc, s[4:5]
	v_lshl_add_u64 v[8:9], v[8:9], 0, s[26:27]
	global_store_dwordx2 v[6:7], v[4:5], off
	s_andn2_b64 exec, exec, s[4:5]
	s_cbranch_execz .LBB6_46
.LBB6_34:                               ; =>This Inner Loop Header: Depth=1
	v_lshl_add_u64 v[4:5], s[18:19], 0, v[8:9]
	global_load_dwordx2 v[14:15], v[4:5], off
	s_and_b64 vcc, exec, s[24:25]
	s_cbranch_vccz .LBB6_38
; %bb.35:                               ;   in Loop: Header=BB6_34 Depth=1
	s_and_b64 vcc, exec, s[16:17]
	s_cbranch_vccz .LBB6_39
; %bb.36:                               ;   in Loop: Header=BB6_34 Depth=1
	s_and_b64 vcc, exec, s[0:1]
	s_cbranch_vccnz .LBB6_40
; %bb.37:                               ;   in Loop: Header=BB6_34 Depth=1
	s_waitcnt vmcnt(0)
	v_cvt_f32_f16_e32 v4, v14
	v_cvt_f32_f16_sdwa v5, v14 dst_sel:DWORD dst_unused:UNUSED_PAD src0_sel:WORD_1
	v_cvt_f32_f16_e32 v6, v15
	v_cvt_f32_f16_sdwa v7, v15 dst_sel:DWORD dst_unused:UNUSED_PAD src0_sel:WORD_1
	v_sub_f32_e32 v4, v4, v0
	v_sub_f32_e32 v5, v5, v1
	;; [unrolled: 1-line block ×4, first 2 shown]
	v_pk_mul_f32 v[6:7], v[12:13], v[6:7]
	v_pk_mul_f32 v[4:5], v[10:11], v[4:5]
	s_cbranch_execz .LBB6_41
	s_branch .LBB6_42
.LBB6_38:                               ;   in Loop: Header=BB6_34 Depth=1
                                        ; implicit-def: $vgpr4_vgpr5_vgpr6_vgpr7
	s_branch .LBB6_45
.LBB6_39:                               ;   in Loop: Header=BB6_34 Depth=1
                                        ; implicit-def: $vgpr4_vgpr5_vgpr6_vgpr7
	s_branch .LBB6_43
.LBB6_40:                               ;   in Loop: Header=BB6_34 Depth=1
                                        ; implicit-def: $vgpr4_vgpr5_vgpr6_vgpr7
.LBB6_41:                               ;   in Loop: Header=BB6_34 Depth=1
	v_lshl_add_u64 v[4:5], s[10:11], 0, v[8:9]
	global_load_dwordx2 v[4:5], v[4:5], off
	s_waitcnt vmcnt(1)
	v_cvt_f32_f16_e32 v6, v14
	v_cvt_f32_f16_sdwa v7, v14 dst_sel:DWORD dst_unused:UNUSED_PAD src0_sel:WORD_1
	v_cvt_f32_f16_sdwa v22, v15 dst_sel:DWORD dst_unused:UNUSED_PAD src0_sel:WORD_1
	v_cvt_f32_f16_e32 v23, v15
	v_sub_f32_e32 v18, v6, v0
	v_sub_f32_e32 v19, v7, v1
	s_waitcnt vmcnt(0)
	v_cvt_f32_f16_e32 v20, v4
	v_cvt_f32_f16_e32 v6, v5
	v_cvt_f32_f16_sdwa v7, v5 dst_sel:DWORD dst_unused:UNUSED_PAD src0_sel:WORD_1
	v_cvt_f32_f16_sdwa v21, v4 dst_sel:DWORD dst_unused:UNUSED_PAD src0_sel:WORD_1
	v_sub_f32_e32 v4, v23, v2
	v_sub_f32_e32 v5, v22, v3
	v_pk_fma_f32 v[6:7], v[12:13], v[4:5], v[6:7]
	v_pk_fma_f32 v[4:5], v[10:11], v[18:19], v[20:21]
.LBB6_42:                               ;   in Loop: Header=BB6_34 Depth=1
	s_cbranch_execnz .LBB6_44
.LBB6_43:                               ;   in Loop: Header=BB6_34 Depth=1
	v_lshl_add_u64 v[4:5], s[8:9], 0, v[8:9]
	global_load_dwordx2 v[4:5], v[4:5], off
	s_waitcnt vmcnt(1)
	v_cvt_f32_f16_e32 v6, v15
	v_cvt_f32_f16_sdwa v7, v15 dst_sel:DWORD dst_unused:UNUSED_PAD src0_sel:WORD_1
	v_cvt_f32_f16_e32 v18, v14
	v_cvt_f32_f16_sdwa v19, v14 dst_sel:DWORD dst_unused:UNUSED_PAD src0_sel:WORD_1
	v_sub_f32_e32 v6, v6, v2
	v_sub_f32_e32 v7, v7, v3
	;; [unrolled: 1-line block ×4, first 2 shown]
	v_pk_mul_f32 v[6:7], v[12:13], v[6:7]
	s_waitcnt vmcnt(0)
	v_cvt_f32_f16_e32 v20, v4
	v_cvt_f32_f16_e32 v22, v5
	v_cvt_f32_f16_sdwa v23, v5 dst_sel:DWORD dst_unused:UNUSED_PAD src0_sel:WORD_1
	v_cvt_f32_f16_sdwa v21, v4 dst_sel:DWORD dst_unused:UNUSED_PAD src0_sel:WORD_1
	v_pk_mul_f32 v[4:5], v[10:11], v[18:19]
	v_pk_mul_f32 v[6:7], v[6:7], v[22:23]
	;; [unrolled: 1-line block ×3, first 2 shown]
.LBB6_44:                               ;   in Loop: Header=BB6_34 Depth=1
	s_cbranch_execnz .LBB6_33
.LBB6_45:                               ;   in Loop: Header=BB6_34 Depth=1
	v_lshl_add_u64 v[4:5], s[8:9], 0, v[8:9]
	v_lshl_add_u64 v[6:7], s[10:11], 0, v[8:9]
	global_load_dwordx2 v[4:5], v[4:5], off
	s_waitcnt vmcnt(1)
	v_cvt_f32_f16_e32 v18, v15
	global_load_dwordx2 v[6:7], v[6:7], off
	v_cvt_f32_f16_e32 v19, v14
	v_cvt_f32_f16_sdwa v20, v14 dst_sel:DWORD dst_unused:UNUSED_PAD src0_sel:WORD_1
	v_cvt_f32_f16_sdwa v15, v15 dst_sel:DWORD dst_unused:UNUSED_PAD src0_sel:WORD_1
	v_sub_f32_e32 v14, v18, v2
	v_sub_f32_e32 v18, v19, v0
	;; [unrolled: 1-line block ×4, first 2 shown]
	v_pk_mul_f32 v[18:19], v[10:11], v[18:19]
	s_waitcnt vmcnt(1)
	v_cvt_f32_f16_e32 v20, v4
	v_cvt_f32_f16_sdwa v21, v4 dst_sel:DWORD dst_unused:UNUSED_PAD src0_sel:WORD_1
	v_cvt_f32_f16_e32 v4, v5
	v_cvt_f32_f16_sdwa v5, v5 dst_sel:DWORD dst_unused:UNUSED_PAD src0_sel:WORD_1
	s_waitcnt vmcnt(0)
	v_cvt_f32_f16_e32 v22, v6
	v_cvt_f32_f16_e32 v24, v7
	v_cvt_f32_f16_sdwa v25, v7 dst_sel:DWORD dst_unused:UNUSED_PAD src0_sel:WORD_1
	v_cvt_f32_f16_sdwa v23, v6 dst_sel:DWORD dst_unused:UNUSED_PAD src0_sel:WORD_1
	v_pk_mul_f32 v[6:7], v[12:13], v[14:15]
	s_nop 0
	v_pk_fma_f32 v[6:7], v[6:7], v[4:5], v[24:25]
	v_pk_fma_f32 v[4:5], v[18:19], v[20:21], v[22:23]
	s_branch .LBB6_33
.LBB6_46:
	s_or_b64 exec, exec, s[6:7]
	v_cmp_eq_u32_e32 vcc, 0, v16
	s_waitcnt lgkmcnt(0)
	s_and_saveexec_b64 s[0:1], vcc
	s_cbranch_execz .LBB6_48
; %bb.47:
	s_lshl_b64 s[0:1], s[2:3], 2
	s_add_u32 s2, s12, s0
	s_addc_u32 s3, s13, s1
	v_mov_b32_e32 v1, 0
	s_add_u32 s0, s14, s0
	s_addc_u32 s1, s15, s1
	global_store_dword v1, v0, s[2:3]
	global_store_dword v1, v10, s[0:1]
.LBB6_48:
	s_endpgm
	.section	.rodata,"a",@progbits
	.p2align	6, 0x0
	.amdhsa_kernel _ZN2at6native12_GLOBAL__N_128vectorized_layer_norm_kernelIN3c104HalfEfLb0EEEviT0_PKT_S8_S8_PS5_S9_PS6_
		.amdhsa_group_segment_fixed_size 0
		.amdhsa_private_segment_fixed_size 0
		.amdhsa_kernarg_size 312
		.amdhsa_user_sgpr_count 2
		.amdhsa_user_sgpr_dispatch_ptr 0
		.amdhsa_user_sgpr_queue_ptr 0
		.amdhsa_user_sgpr_kernarg_segment_ptr 1
		.amdhsa_user_sgpr_dispatch_id 0
		.amdhsa_user_sgpr_kernarg_preload_length 0
		.amdhsa_user_sgpr_kernarg_preload_offset 0
		.amdhsa_user_sgpr_private_segment_size 0
		.amdhsa_uses_dynamic_stack 0
		.amdhsa_enable_private_segment 0
		.amdhsa_system_sgpr_workgroup_id_x 1
		.amdhsa_system_sgpr_workgroup_id_y 0
		.amdhsa_system_sgpr_workgroup_id_z 0
		.amdhsa_system_sgpr_workgroup_info 0
		.amdhsa_system_vgpr_workitem_id 1
		.amdhsa_next_free_vgpr 32
		.amdhsa_next_free_sgpr 31
		.amdhsa_accum_offset 32
		.amdhsa_reserve_vcc 1
		.amdhsa_float_round_mode_32 0
		.amdhsa_float_round_mode_16_64 0
		.amdhsa_float_denorm_mode_32 3
		.amdhsa_float_denorm_mode_16_64 3
		.amdhsa_dx10_clamp 1
		.amdhsa_ieee_mode 1
		.amdhsa_fp16_overflow 0
		.amdhsa_tg_split 0
		.amdhsa_exception_fp_ieee_invalid_op 0
		.amdhsa_exception_fp_denorm_src 0
		.amdhsa_exception_fp_ieee_div_zero 0
		.amdhsa_exception_fp_ieee_overflow 0
		.amdhsa_exception_fp_ieee_underflow 0
		.amdhsa_exception_fp_ieee_inexact 0
		.amdhsa_exception_int_div_zero 0
	.end_amdhsa_kernel
	.section	.text._ZN2at6native12_GLOBAL__N_128vectorized_layer_norm_kernelIN3c104HalfEfLb0EEEviT0_PKT_S8_S8_PS5_S9_PS6_,"axG",@progbits,_ZN2at6native12_GLOBAL__N_128vectorized_layer_norm_kernelIN3c104HalfEfLb0EEEviT0_PKT_S8_S8_PS5_S9_PS6_,comdat
.Lfunc_end6:
	.size	_ZN2at6native12_GLOBAL__N_128vectorized_layer_norm_kernelIN3c104HalfEfLb0EEEviT0_PKT_S8_S8_PS5_S9_PS6_, .Lfunc_end6-_ZN2at6native12_GLOBAL__N_128vectorized_layer_norm_kernelIN3c104HalfEfLb0EEEviT0_PKT_S8_S8_PS5_S9_PS6_
                                        ; -- End function
	.section	.AMDGPU.csdata,"",@progbits
; Kernel info:
; codeLenInByte = 3424
; NumSgprs: 37
; NumVgprs: 32
; NumAgprs: 0
; TotalNumVgprs: 32
; ScratchSize: 0
; MemoryBound: 0
; FloatMode: 240
; IeeeMode: 1
; LDSByteSize: 0 bytes/workgroup (compile time only)
; SGPRBlocks: 4
; VGPRBlocks: 3
; NumSGPRsForWavesPerEU: 37
; NumVGPRsForWavesPerEU: 32
; AccumOffset: 32
; Occupancy: 8
; WaveLimiterHint : 0
; COMPUTE_PGM_RSRC2:SCRATCH_EN: 0
; COMPUTE_PGM_RSRC2:USER_SGPR: 2
; COMPUTE_PGM_RSRC2:TRAP_HANDLER: 0
; COMPUTE_PGM_RSRC2:TGID_X_EN: 1
; COMPUTE_PGM_RSRC2:TGID_Y_EN: 0
; COMPUTE_PGM_RSRC2:TGID_Z_EN: 0
; COMPUTE_PGM_RSRC2:TIDIG_COMP_CNT: 1
; COMPUTE_PGM_RSRC3_GFX90A:ACCUM_OFFSET: 7
; COMPUTE_PGM_RSRC3_GFX90A:TG_SPLIT: 0
	.section	.text._ZN2at6native12_GLOBAL__N_124RowwiseMomentsCUDAKernelIN3c104HalfEfLb0EEEvlT0_PKT_PS5_S9_,"axG",@progbits,_ZN2at6native12_GLOBAL__N_124RowwiseMomentsCUDAKernelIN3c104HalfEfLb0EEEvlT0_PKT_PS5_S9_,comdat
	.globl	_ZN2at6native12_GLOBAL__N_124RowwiseMomentsCUDAKernelIN3c104HalfEfLb0EEEvlT0_PKT_PS5_S9_ ; -- Begin function _ZN2at6native12_GLOBAL__N_124RowwiseMomentsCUDAKernelIN3c104HalfEfLb0EEEvlT0_PKT_PS5_S9_
	.p2align	8
	.type	_ZN2at6native12_GLOBAL__N_124RowwiseMomentsCUDAKernelIN3c104HalfEfLb0EEEvlT0_PKT_PS5_S9_,@function
_ZN2at6native12_GLOBAL__N_124RowwiseMomentsCUDAKernelIN3c104HalfEfLb0EEEvlT0_PKT_PS5_S9_: ; @_ZN2at6native12_GLOBAL__N_124RowwiseMomentsCUDAKernelIN3c104HalfEfLb0EEEvlT0_PKT_PS5_S9_
; %bb.0:
	s_load_dwordx2 s[10:11], s[0:1], 0x0
	s_load_dwordx4 s[4:7], s[0:1], 0x10
	s_load_dwordx2 s[8:9], s[0:1], 0x20
	s_mov_b32 s3, 0
	v_mov_b32_e32 v1, 0
	s_mov_b32 s12, s3
	s_mov_b32 s13, s3
	s_waitcnt lgkmcnt(0)
	v_cmp_gt_i64_e32 vcc, s[10:11], v[0:1]
	v_mov_b64_e32 v[2:3], s[12:13]
	v_mov_b64_e32 v[4:5], 0
	s_and_saveexec_b64 s[12:13], vcc
	s_cbranch_execz .LBB7_4
; %bb.1:
	s_load_dword s14, s[0:1], 0x34
	s_mul_i32 s16, s11, s2
	s_mul_hi_u32 s17, s10, s2
	s_add_i32 s17, s17, s16
	s_mul_i32 s16, s10, s2
	s_waitcnt lgkmcnt(0)
	s_and_b32 s14, s14, 0xffff
	s_lshl_b64 s[16:17], s[16:17], 1
	s_add_u32 s4, s4, s16
	v_lshlrev_b32_e32 v6, 1, v0
	v_mov_b32_e32 v7, 0
	s_addc_u32 s5, s5, s17
	s_mov_b32 s15, s3
	v_lshl_add_u64 v[8:9], s[4:5], 0, v[6:7]
	s_lshl_b32 s4, s14, 1
	s_mov_b32 s5, s3
	s_mov_b64 s[16:17], 0
	v_mov_b64_e32 v[10:11], v[0:1]
	s_mov_b64 s[18:19], 0
	v_mov_b32_e32 v3, v7
.LBB7_2:                                ; =>This Inner Loop Header: Depth=1
	global_load_ushort v1, v[8:9], off
	s_add_u32 s18, s18, 1
	s_addc_u32 s19, s19, 0
	s_flbit_i32_b32 s20, s19
	s_min_u32 s22, s20, 32
	s_lshl_b64 s[20:21], s[18:19], s22
	s_min_u32 s20, s20, 1
	s_or_b32 s20, s21, s20
	v_cvt_f32_u32_e32 v2, s20
	s_sub_i32 s22, 32, s22
	v_lshl_add_u64 v[10:11], v[10:11], 0, s[14:15]
	v_cmp_le_i64_e32 vcc, s[10:11], v[10:11]
	s_or_b64 s[16:17], vcc, s[16:17]
	v_lshl_add_u64 v[8:9], v[8:9], 0, s[4:5]
	v_mov_b64_e32 v[4:5], s[18:19]
	s_waitcnt vmcnt(0)
	v_cvt_f32_f16_e32 v6, v1
	v_ldexp_f32 v1, v2, s22
	v_sub_f32_e32 v2, v6, v3
	v_div_scale_f32 v12, s[20:21], v1, v1, v2
	v_rcp_f32_e32 v13, v12
	v_div_scale_f32 v14, vcc, v2, v1, v2
	v_fma_f32 v15, -v12, v13, 1.0
	v_fmac_f32_e32 v13, v15, v13
	v_mul_f32_e32 v15, v14, v13
	v_fma_f32 v16, -v12, v15, v14
	v_fmac_f32_e32 v15, v16, v13
	v_fma_f32 v12, -v12, v15, v14
	v_div_fmas_f32 v12, v12, v13, v15
	v_div_fixup_f32 v12, v12, v1, v2
	v_add_f32_e32 v3, v3, v12
	v_sub_f32_e32 v6, v6, v3
	v_fmac_f32_e32 v7, v2, v6
	s_andn2_b64 exec, exec, s[16:17]
	s_cbranch_execnz .LBB7_2
; %bb.3:
	s_or_b64 exec, exec, s[16:17]
	v_mov_b32_e32 v2, v7
.LBB7_4:
	s_or_b64 exec, exec, s[12:13]
	v_mbcnt_lo_u32_b32 v6, -1, 0
	v_mbcnt_hi_u32_b32 v14, -1, v6
	v_and_b32_e32 v15, 63, v14
	v_cmp_gt_u32_e32 vcc, 32, v15
	s_nop 1
	v_cndmask_b32_e64 v6, 0, 1, vcc
	v_lshlrev_b32_e32 v6, 5, v6
	v_add_lshl_u32 v10, v6, v14, 2
	ds_bpermute_b32 v7, v10, v3
	ds_bpermute_b32 v6, v10, v2
	;; [unrolled: 1-line block ×5, first 2 shown]
	v_cmp_neq_f32_e32 vcc, 0, v1
	s_and_saveexec_b64 s[4:5], vcc
	s_xor_b64 s[4:5], exec, s[4:5]
	s_cbranch_execz .LBB7_8
; %bb.5:
	s_waitcnt lgkmcnt(0)
	v_cmp_neq_f32_e32 vcc, 0, v11
	s_and_saveexec_b64 s[10:11], vcc
	s_cbranch_execz .LBB7_7
; %bb.6:
	v_add_f32_e32 v9, v1, v11
	v_div_scale_f32 v8, s[12:13], v9, v9, v11
	v_rcp_f32_e32 v12, v8
	v_pk_add_f32 v[4:5], v[6:7], v[2:3] neg_lo:[0,1] neg_hi:[0,1]
	v_pk_add_f32 v[6:7], v[2:3], v[6:7]
	v_mul_f32_e32 v2, v5, v5
	v_fma_f32 v4, -v8, v12, 1.0
	v_fmac_f32_e32 v12, v4, v12
	v_div_scale_f32 v4, vcc, v11, v9, v11
	v_mul_f32_e32 v13, v4, v12
	v_fma_f32 v16, -v8, v13, v4
	v_fmac_f32_e32 v13, v16, v12
	v_fma_f32 v4, -v8, v13, v4
	v_div_fmas_f32 v4, v4, v12, v13
	v_div_fixup_f32 v8, v4, v9, v11
	v_mul_f32_e32 v4, v1, v2
	v_mov_b32_e32 v7, v3
	v_pk_fma_f32 v[2:3], v[4:5], v[8:9], v[6:7] op_sel_hi:[1,0,1]
	v_mov_b64_e32 v[4:5], -1
	v_mov_b32_e32 v1, v9
.LBB7_7:
	s_or_b64 exec, exec, s[10:11]
                                        ; implicit-def: $vgpr6_vgpr7
                                        ; implicit-def: $vgpr8
                                        ; implicit-def: $vgpr11
.LBB7_8:
	s_andn2_saveexec_b64 s[4:5], s[4:5]
	s_cbranch_execz .LBB7_10
; %bb.9:
	s_waitcnt lgkmcnt(0)
	v_mov_b32_e32 v1, v11
	v_mov_b64_e32 v[4:5], v[8:9]
	v_mov_b64_e32 v[2:3], v[6:7]
.LBB7_10:
	s_or_b64 exec, exec, s[4:5]
	v_cmp_gt_u32_e32 vcc, 48, v15
	s_waitcnt lgkmcnt(3)
	s_nop 0
	v_cndmask_b32_e64 v6, 0, 1, vcc
	v_lshlrev_b32_e32 v6, 4, v6
	s_waitcnt lgkmcnt(0)
	v_add_lshl_u32 v11, v6, v14, 2
	ds_bpermute_b32 v7, v11, v3
	ds_bpermute_b32 v6, v11, v2
	;; [unrolled: 1-line block ×5, first 2 shown]
	v_cmp_neq_f32_e32 vcc, 0, v1
	s_and_saveexec_b64 s[4:5], vcc
	s_xor_b64 s[4:5], exec, s[4:5]
	s_cbranch_execz .LBB7_14
; %bb.11:
	s_waitcnt lgkmcnt(0)
	v_cmp_neq_f32_e32 vcc, 0, v12
	s_and_saveexec_b64 s[10:11], vcc
	s_cbranch_execz .LBB7_13
; %bb.12:
	v_add_f32_e32 v9, v1, v12
	v_div_scale_f32 v8, s[12:13], v9, v9, v12
	v_rcp_f32_e32 v13, v8
	v_pk_add_f32 v[4:5], v[6:7], v[2:3] neg_lo:[0,1] neg_hi:[0,1]
	v_pk_add_f32 v[6:7], v[2:3], v[6:7]
	v_mul_f32_e32 v2, v5, v5
	v_fma_f32 v4, -v8, v13, 1.0
	v_fmac_f32_e32 v13, v4, v13
	v_div_scale_f32 v4, vcc, v12, v9, v12
	v_mul_f32_e32 v16, v4, v13
	v_fma_f32 v17, -v8, v16, v4
	v_fmac_f32_e32 v16, v17, v13
	v_fma_f32 v4, -v8, v16, v4
	v_div_fmas_f32 v4, v4, v13, v16
	v_div_fixup_f32 v8, v4, v9, v12
	v_mul_f32_e32 v4, v1, v2
	v_mov_b32_e32 v7, v3
	v_pk_fma_f32 v[2:3], v[4:5], v[8:9], v[6:7] op_sel_hi:[1,0,1]
	v_mov_b64_e32 v[4:5], -1
	v_mov_b32_e32 v1, v9
.LBB7_13:
	s_or_b64 exec, exec, s[10:11]
                                        ; implicit-def: $vgpr6_vgpr7
                                        ; implicit-def: $vgpr8
                                        ; implicit-def: $vgpr12
.LBB7_14:
	s_andn2_saveexec_b64 s[4:5], s[4:5]
	s_cbranch_execz .LBB7_16
; %bb.15:
	s_waitcnt lgkmcnt(0)
	v_mov_b32_e32 v1, v12
	v_mov_b64_e32 v[4:5], v[8:9]
	v_mov_b64_e32 v[2:3], v[6:7]
.LBB7_16:
	s_or_b64 exec, exec, s[4:5]
	v_cmp_gt_u32_e32 vcc, 56, v15
	s_waitcnt lgkmcnt(3)
	s_nop 0
	v_cndmask_b32_e64 v6, 0, 1, vcc
	v_lshlrev_b32_e32 v6, 3, v6
	s_waitcnt lgkmcnt(0)
	v_add_lshl_u32 v12, v6, v14, 2
	ds_bpermute_b32 v7, v12, v3
	ds_bpermute_b32 v6, v12, v2
	;; [unrolled: 1-line block ×5, first 2 shown]
	v_cmp_neq_f32_e32 vcc, 0, v1
	s_and_saveexec_b64 s[4:5], vcc
	s_xor_b64 s[4:5], exec, s[4:5]
	s_cbranch_execz .LBB7_20
; %bb.17:
	s_waitcnt lgkmcnt(0)
	v_cmp_neq_f32_e32 vcc, 0, v13
	s_and_saveexec_b64 s[10:11], vcc
	s_cbranch_execz .LBB7_19
; %bb.18:
	v_add_f32_e32 v9, v1, v13
	v_div_scale_f32 v8, s[12:13], v9, v9, v13
	v_rcp_f32_e32 v16, v8
	v_pk_add_f32 v[4:5], v[6:7], v[2:3] neg_lo:[0,1] neg_hi:[0,1]
	v_pk_add_f32 v[6:7], v[2:3], v[6:7]
	v_mul_f32_e32 v2, v5, v5
	v_fma_f32 v4, -v8, v16, 1.0
	v_fmac_f32_e32 v16, v4, v16
	v_div_scale_f32 v4, vcc, v13, v9, v13
	v_mul_f32_e32 v17, v4, v16
	v_fma_f32 v18, -v8, v17, v4
	v_fmac_f32_e32 v17, v18, v16
	v_fma_f32 v4, -v8, v17, v4
	v_div_fmas_f32 v4, v4, v16, v17
	v_div_fixup_f32 v8, v4, v9, v13
	v_mul_f32_e32 v4, v1, v2
	v_mov_b32_e32 v7, v3
	v_pk_fma_f32 v[2:3], v[4:5], v[8:9], v[6:7] op_sel_hi:[1,0,1]
	v_mov_b64_e32 v[4:5], -1
	v_mov_b32_e32 v1, v9
.LBB7_19:
	s_or_b64 exec, exec, s[10:11]
                                        ; implicit-def: $vgpr6_vgpr7
                                        ; implicit-def: $vgpr8
                                        ; implicit-def: $vgpr13
.LBB7_20:
	s_andn2_saveexec_b64 s[4:5], s[4:5]
	s_cbranch_execz .LBB7_22
; %bb.21:
	s_waitcnt lgkmcnt(0)
	v_mov_b32_e32 v1, v13
	v_mov_b64_e32 v[4:5], v[8:9]
	v_mov_b64_e32 v[2:3], v[6:7]
.LBB7_22:
	s_or_b64 exec, exec, s[4:5]
	v_cmp_gt_u32_e32 vcc, 60, v15
	s_waitcnt lgkmcnt(3)
	s_nop 0
	v_cndmask_b32_e64 v6, 0, 1, vcc
	v_lshlrev_b32_e32 v6, 2, v6
	s_waitcnt lgkmcnt(0)
	v_add_lshl_u32 v13, v6, v14, 2
	ds_bpermute_b32 v7, v13, v3
	ds_bpermute_b32 v6, v13, v2
	;; [unrolled: 1-line block ×5, first 2 shown]
	v_cmp_neq_f32_e32 vcc, 0, v1
	s_and_saveexec_b64 s[4:5], vcc
	s_xor_b64 s[4:5], exec, s[4:5]
	s_cbranch_execz .LBB7_26
; %bb.23:
	s_waitcnt lgkmcnt(0)
	v_cmp_neq_f32_e32 vcc, 0, v16
	s_and_saveexec_b64 s[10:11], vcc
	s_cbranch_execz .LBB7_25
; %bb.24:
	v_add_f32_e32 v9, v1, v16
	v_div_scale_f32 v8, s[12:13], v9, v9, v16
	v_rcp_f32_e32 v17, v8
	v_pk_add_f32 v[4:5], v[6:7], v[2:3] neg_lo:[0,1] neg_hi:[0,1]
	v_pk_add_f32 v[6:7], v[2:3], v[6:7]
	v_mul_f32_e32 v2, v5, v5
	v_fma_f32 v4, -v8, v17, 1.0
	v_fmac_f32_e32 v17, v4, v17
	v_div_scale_f32 v4, vcc, v16, v9, v16
	v_mul_f32_e32 v18, v4, v17
	v_fma_f32 v19, -v8, v18, v4
	v_fmac_f32_e32 v18, v19, v17
	v_fma_f32 v4, -v8, v18, v4
	v_div_fmas_f32 v4, v4, v17, v18
	v_div_fixup_f32 v8, v4, v9, v16
	v_mul_f32_e32 v4, v1, v2
	v_mov_b32_e32 v7, v3
	v_pk_fma_f32 v[2:3], v[4:5], v[8:9], v[6:7] op_sel_hi:[1,0,1]
	v_mov_b64_e32 v[4:5], -1
	v_mov_b32_e32 v1, v9
.LBB7_25:
	s_or_b64 exec, exec, s[10:11]
                                        ; implicit-def: $vgpr6_vgpr7
                                        ; implicit-def: $vgpr8
                                        ; implicit-def: $vgpr16
.LBB7_26:
	s_andn2_saveexec_b64 s[4:5], s[4:5]
	s_cbranch_execz .LBB7_28
; %bb.27:
	s_waitcnt lgkmcnt(0)
	v_mov_b32_e32 v1, v16
	v_mov_b64_e32 v[4:5], v[8:9]
	v_mov_b64_e32 v[2:3], v[6:7]
.LBB7_28:
	s_or_b64 exec, exec, s[4:5]
	v_cmp_gt_u32_e32 vcc, 62, v15
	s_waitcnt lgkmcnt(3)
	s_nop 0
	v_cndmask_b32_e64 v6, 0, 1, vcc
	v_lshlrev_b32_e32 v6, 1, v6
	s_waitcnt lgkmcnt(0)
	v_add_lshl_u32 v16, v6, v14, 2
	ds_bpermute_b32 v7, v16, v3
	ds_bpermute_b32 v6, v16, v2
	;; [unrolled: 1-line block ×5, first 2 shown]
	v_cmp_neq_f32_e32 vcc, 0, v1
	s_and_saveexec_b64 s[4:5], vcc
	s_xor_b64 s[4:5], exec, s[4:5]
	s_cbranch_execz .LBB7_32
; %bb.29:
	s_waitcnt lgkmcnt(0)
	v_cmp_neq_f32_e32 vcc, 0, v17
	s_and_saveexec_b64 s[10:11], vcc
	s_cbranch_execz .LBB7_31
; %bb.30:
	v_add_f32_e32 v9, v1, v17
	v_div_scale_f32 v8, s[12:13], v9, v9, v17
	v_rcp_f32_e32 v18, v8
	v_pk_add_f32 v[4:5], v[6:7], v[2:3] neg_lo:[0,1] neg_hi:[0,1]
	v_pk_add_f32 v[6:7], v[2:3], v[6:7]
	v_mul_f32_e32 v2, v5, v5
	v_fma_f32 v4, -v8, v18, 1.0
	v_fmac_f32_e32 v18, v4, v18
	v_div_scale_f32 v4, vcc, v17, v9, v17
	v_mul_f32_e32 v19, v4, v18
	v_fma_f32 v20, -v8, v19, v4
	v_fmac_f32_e32 v19, v20, v18
	v_fma_f32 v4, -v8, v19, v4
	v_div_fmas_f32 v4, v4, v18, v19
	v_div_fixup_f32 v8, v4, v9, v17
	v_mul_f32_e32 v4, v1, v2
	v_mov_b32_e32 v7, v3
	v_pk_fma_f32 v[2:3], v[4:5], v[8:9], v[6:7] op_sel_hi:[1,0,1]
	v_mov_b64_e32 v[4:5], -1
	v_mov_b32_e32 v1, v9
.LBB7_31:
	s_or_b64 exec, exec, s[10:11]
                                        ; implicit-def: $vgpr6_vgpr7
                                        ; implicit-def: $vgpr8
                                        ; implicit-def: $vgpr17
.LBB7_32:
	s_andn2_saveexec_b64 s[4:5], s[4:5]
	s_cbranch_execz .LBB7_34
; %bb.33:
	s_waitcnt lgkmcnt(0)
	v_mov_b32_e32 v1, v17
	v_mov_b64_e32 v[4:5], v[8:9]
	v_mov_b64_e32 v[2:3], v[6:7]
.LBB7_34:
	s_or_b64 exec, exec, s[4:5]
	v_cmp_ne_u32_e32 vcc, 63, v15
	s_waitcnt lgkmcnt(3)
	s_nop 0
	v_addc_co_u32_e32 v6, vcc, 0, v14, vcc
	v_lshlrev_b32_e32 v14, 2, v6
	ds_bpermute_b32 v7, v14, v3
	ds_bpermute_b32 v6, v14, v2
	s_waitcnt lgkmcnt(4)
	ds_bpermute_b32 v8, v14, v4
	s_waitcnt lgkmcnt(4)
	ds_bpermute_b32 v9, v14, v5
	ds_bpermute_b32 v15, v14, v1
	v_cmp_neq_f32_e32 vcc, 0, v1
	s_and_saveexec_b64 s[4:5], vcc
	s_xor_b64 s[4:5], exec, s[4:5]
	s_cbranch_execz .LBB7_38
; %bb.35:
	s_waitcnt lgkmcnt(0)
	v_cmp_neq_f32_e32 vcc, 0, v15
	s_and_saveexec_b64 s[10:11], vcc
	s_cbranch_execz .LBB7_37
; %bb.36:
	v_add_f32_e32 v9, v1, v15
	v_div_scale_f32 v8, s[12:13], v9, v9, v15
	v_rcp_f32_e32 v17, v8
	v_pk_add_f32 v[4:5], v[6:7], v[2:3] neg_lo:[0,1] neg_hi:[0,1]
	v_pk_add_f32 v[6:7], v[2:3], v[6:7]
	v_mul_f32_e32 v2, v5, v5
	v_fma_f32 v4, -v8, v17, 1.0
	v_fmac_f32_e32 v17, v4, v17
	v_div_scale_f32 v4, vcc, v15, v9, v15
	v_mul_f32_e32 v18, v4, v17
	v_fma_f32 v19, -v8, v18, v4
	v_fmac_f32_e32 v18, v19, v17
	v_fma_f32 v4, -v8, v18, v4
	v_div_fmas_f32 v4, v4, v17, v18
	v_div_fixup_f32 v8, v4, v9, v15
	v_mul_f32_e32 v4, v1, v2
	v_mov_b32_e32 v7, v3
	v_pk_fma_f32 v[2:3], v[4:5], v[8:9], v[6:7] op_sel_hi:[1,0,1]
	v_mov_b64_e32 v[4:5], -1
	v_mov_b32_e32 v1, v9
.LBB7_37:
	s_or_b64 exec, exec, s[10:11]
                                        ; implicit-def: $vgpr6_vgpr7
                                        ; implicit-def: $vgpr8
                                        ; implicit-def: $vgpr15
.LBB7_38:
	s_andn2_saveexec_b64 s[4:5], s[4:5]
	s_cbranch_execz .LBB7_40
; %bb.39:
	s_waitcnt lgkmcnt(0)
	v_mov_b32_e32 v1, v15
	v_mov_b64_e32 v[4:5], v[8:9]
	v_mov_b64_e32 v[2:3], v[6:7]
.LBB7_40:
	s_or_b64 exec, exec, s[4:5]
	s_waitcnt lgkmcnt(3)
	v_and_b32_e32 v6, 63, v0
	v_cmp_eq_u32_e32 vcc, 0, v6
	s_waitcnt lgkmcnt(0)
	s_barrier
	s_and_saveexec_b64 s[4:5], vcc
	s_cbranch_execz .LBB7_42
; %bb.41:
	v_lshrrev_b32_e32 v7, 6, v0
	v_mul_u32_u24_e32 v7, 24, v7
	v_mov_b32_e32 v8, v3
	v_mov_b32_e32 v9, v2
	ds_write2_b64 v7, v[8:9], v[4:5] offset1:1
	ds_write_b32 v7, v1 offset:16
.LBB7_42:
	s_or_b64 exec, exec, s[4:5]
	s_waitcnt lgkmcnt(0)
	s_barrier
	s_load_dword s4, s[0:1], 0x34
	v_mul_u32_u24_e32 v4, 24, v6
	v_mov_b32_e32 v2, 0
	v_mov_b32_e32 v1, 0
	s_waitcnt lgkmcnt(0)
	s_bfe_u32 s4, s4, 0xa0006
	v_cmp_gt_u32_e32 vcc, s4, v0
	s_and_saveexec_b64 s[4:5], vcc
	s_cbranch_execnz .LBB7_48
; %bb.43:
	s_or_b64 exec, exec, s[4:5]
	s_and_saveexec_b64 s[4:5], vcc
	s_cbranch_execnz .LBB7_49
.LBB7_44:
	s_or_b64 exec, exec, s[4:5]
	v_mov_b32_e32 v3, 0
	s_and_saveexec_b64 s[4:5], vcc
	s_cbranch_execnz .LBB7_50
.LBB7_45:
	s_or_b64 exec, exec, s[4:5]
	v_cmp_gt_u32_e32 vcc, 64, v0
	s_and_saveexec_b64 s[4:5], vcc
	s_cbranch_execnz .LBB7_51
.LBB7_46:
	s_or_b64 exec, exec, s[4:5]
	v_cmp_eq_u32_e32 vcc, 0, v0
	s_and_saveexec_b64 s[4:5], vcc
	s_cbranch_execnz .LBB7_76
.LBB7_47:
	s_endpgm
.LBB7_48:
	ds_read_b32 v1, v4
	s_or_b64 exec, exec, s[4:5]
	s_and_saveexec_b64 s[4:5], vcc
	s_cbranch_execz .LBB7_44
.LBB7_49:
	ds_read_b32 v2, v4 offset:4
	s_or_b64 exec, exec, s[4:5]
	v_mov_b32_e32 v3, 0
	s_and_saveexec_b64 s[4:5], vcc
	s_cbranch_execz .LBB7_45
.LBB7_50:
	ds_read_b32 v3, v4 offset:16
	s_or_b64 exec, exec, s[4:5]
	v_cmp_gt_u32_e32 vcc, 64, v0
	s_and_saveexec_b64 s[4:5], vcc
	s_cbranch_execz .LBB7_46
.LBB7_51:
	s_waitcnt lgkmcnt(0)
	ds_bpermute_b32 v6, v10, v1
	ds_bpermute_b32 v4, v10, v2
	;; [unrolled: 1-line block ×3, first 2 shown]
	v_cmp_neq_f32_e32 vcc, 0, v3
	s_and_saveexec_b64 s[10:11], vcc
	s_cbranch_execz .LBB7_55
; %bb.52:
	s_waitcnt lgkmcnt(0)
	v_cmp_neq_f32_e32 vcc, 0, v5
	s_and_saveexec_b64 s[12:13], vcc
	s_cbranch_execz .LBB7_54
; %bb.53:
	v_sub_f32_e32 v6, v6, v1
	v_mul_f32_e32 v7, v6, v6
	v_mul_f32_e32 v7, v3, v7
	v_add_f32_e32 v3, v3, v5
	v_div_scale_f32 v8, s[14:15], v3, v3, v5
	v_rcp_f32_e32 v9, v8
	v_add_f32_e32 v2, v2, v4
	v_fma_f32 v4, -v8, v9, 1.0
	v_fmac_f32_e32 v9, v4, v9
	v_div_scale_f32 v4, vcc, v5, v3, v5
	v_mul_f32_e32 v10, v4, v9
	v_fma_f32 v15, -v8, v10, v4
	v_fmac_f32_e32 v10, v15, v9
	v_fma_f32 v4, -v8, v10, v4
	v_div_fmas_f32 v4, v4, v9, v10
	v_div_fixup_f32 v4, v4, v3, v5
	v_fmac_f32_e32 v1, v6, v4
	v_fmac_f32_e32 v2, v7, v4
.LBB7_54:
	s_or_b64 exec, exec, s[12:13]
	v_mov_b32_e32 v6, v1
	v_mov_b64_e32 v[4:5], v[2:3]
.LBB7_55:
	s_or_b64 exec, exec, s[10:11]
	s_waitcnt lgkmcnt(2)
	ds_bpermute_b32 v1, v11, v6
	s_waitcnt lgkmcnt(2)
	ds_bpermute_b32 v2, v11, v4
	s_waitcnt lgkmcnt(2)
	ds_bpermute_b32 v3, v11, v5
	v_cmp_neq_f32_e32 vcc, 0, v5
	s_and_saveexec_b64 s[10:11], vcc
	s_cbranch_execz .LBB7_59
; %bb.56:
	s_waitcnt lgkmcnt(0)
	v_cmp_neq_f32_e32 vcc, 0, v3
	s_and_saveexec_b64 s[12:13], vcc
	s_cbranch_execz .LBB7_58
; %bb.57:
	v_pk_add_f32 v[8:9], v[4:5], v[2:3]
	v_sub_f32_e32 v1, v1, v6
	v_div_scale_f32 v2, s[14:15], v9, v9, v3
	v_rcp_f32_e32 v4, v2
	v_mul_f32_e32 v7, v1, v1
	v_mul_f32_e32 v5, v5, v7
	v_fma_f32 v7, -v2, v4, 1.0
	v_fmac_f32_e32 v4, v7, v4
	v_div_scale_f32 v7, vcc, v3, v9, v3
	v_mul_f32_e32 v10, v7, v4
	v_fma_f32 v11, -v2, v10, v7
	v_fmac_f32_e32 v10, v11, v4
	v_fma_f32 v2, -v2, v10, v7
	v_div_fmas_f32 v2, v2, v4, v10
	v_div_fixup_f32 v2, v2, v9, v3
	v_fma_f32 v8, v5, v2, v8
	v_fmac_f32_e32 v6, v1, v2
	v_mov_b64_e32 v[4:5], v[8:9]
.LBB7_58:
	s_or_b64 exec, exec, s[12:13]
	v_mov_b32_e32 v1, v6
	v_mov_b64_e32 v[2:3], v[4:5]
.LBB7_59:
	s_or_b64 exec, exec, s[10:11]
	s_waitcnt lgkmcnt(2)
	ds_bpermute_b32 v6, v12, v1
	s_waitcnt lgkmcnt(2)
	ds_bpermute_b32 v4, v12, v2
	s_waitcnt lgkmcnt(2)
	ds_bpermute_b32 v5, v12, v3
	v_cmp_neq_f32_e32 vcc, 0, v3
	s_and_saveexec_b64 s[10:11], vcc
	s_cbranch_execz .LBB7_63
; %bb.60:
	s_waitcnt lgkmcnt(0)
	v_cmp_neq_f32_e32 vcc, 0, v5
	s_and_saveexec_b64 s[12:13], vcc
	s_cbranch_execz .LBB7_62
; %bb.61:
	v_pk_add_f32 v[8:9], v[2:3], v[4:5]
	v_sub_f32_e32 v6, v6, v1
	v_div_scale_f32 v2, s[14:15], v9, v9, v5
	v_rcp_f32_e32 v4, v2
	v_mul_f32_e32 v7, v6, v6
	v_mul_f32_e32 v3, v3, v7
	v_fma_f32 v7, -v2, v4, 1.0
	v_fmac_f32_e32 v4, v7, v4
	v_div_scale_f32 v7, vcc, v5, v9, v5
	v_mul_f32_e32 v10, v7, v4
	v_fma_f32 v11, -v2, v10, v7
	v_fmac_f32_e32 v10, v11, v4
	v_fma_f32 v2, -v2, v10, v7
	v_div_fmas_f32 v2, v2, v4, v10
	v_div_fixup_f32 v2, v2, v9, v5
	v_fma_f32 v8, v3, v2, v8
	v_fmac_f32_e32 v1, v6, v2
	v_mov_b64_e32 v[2:3], v[8:9]
.LBB7_62:
	s_or_b64 exec, exec, s[12:13]
	v_mov_b32_e32 v6, v1
	v_mov_b64_e32 v[4:5], v[2:3]
.LBB7_63:
	;; [unrolled: 39-line block ×4, first 2 shown]
	s_or_b64 exec, exec, s[10:11]
	s_waitcnt lgkmcnt(2)
	ds_bpermute_b32 v1, v14, v6
	s_waitcnt lgkmcnt(2)
	ds_bpermute_b32 v2, v14, v4
	;; [unrolled: 2-line block ×3, first 2 shown]
	v_cmp_neq_f32_e32 vcc, 0, v5
	s_and_saveexec_b64 s[10:11], vcc
	s_cbranch_execz .LBB7_75
; %bb.72:
	s_waitcnt lgkmcnt(0)
	v_cmp_neq_f32_e32 vcc, 0, v3
	s_and_saveexec_b64 s[12:13], vcc
	s_cbranch_execz .LBB7_74
; %bb.73:
	v_pk_add_f32 v[8:9], v[4:5], v[2:3]
	v_sub_f32_e32 v1, v1, v6
	v_div_scale_f32 v2, s[14:15], v9, v9, v3
	v_rcp_f32_e32 v4, v2
	v_mul_f32_e32 v7, v1, v1
	v_mul_f32_e32 v5, v5, v7
	v_fma_f32 v7, -v2, v4, 1.0
	v_fmac_f32_e32 v4, v7, v4
	v_div_scale_f32 v7, vcc, v3, v9, v3
	v_mul_f32_e32 v10, v7, v4
	v_fma_f32 v11, -v2, v10, v7
	v_fmac_f32_e32 v10, v11, v4
	v_fma_f32 v2, -v2, v10, v7
	v_div_fmas_f32 v2, v2, v4, v10
	v_div_fixup_f32 v2, v2, v9, v3
	v_fma_f32 v8, v5, v2, v8
	v_fmac_f32_e32 v6, v1, v2
	v_mov_b64_e32 v[4:5], v[8:9]
.LBB7_74:
	s_or_b64 exec, exec, s[12:13]
	v_mov_b64_e32 v[2:3], v[4:5]
	v_mov_b32_e32 v1, v6
.LBB7_75:
	s_or_b64 exec, exec, s[10:11]
	s_or_b64 exec, exec, s[4:5]
	v_cmp_eq_u32_e32 vcc, 0, v0
	s_and_saveexec_b64 s[4:5], vcc
	s_cbranch_execz .LBB7_47
.LBB7_76:
	s_waitcnt lgkmcnt(0)
	v_max_f32_e32 v0, v3, v3
	v_max_f32_e32 v0, 0, v0
	v_div_scale_f32 v3, s[4:5], v0, v0, v2
	v_rcp_f32_e32 v4, v3
	s_load_dword s4, s[0:1], 0x8
	s_lshl_b64 s[0:1], s[2:3], 2
	s_mov_b32 s3, 0x800000
	v_fma_f32 v5, -v3, v4, 1.0
	v_fmac_f32_e32 v4, v5, v4
	v_div_scale_f32 v5, vcc, v2, v0, v2
	v_mul_f32_e32 v6, v5, v4
	v_fma_f32 v7, -v3, v6, v5
	v_fmac_f32_e32 v6, v7, v4
	v_fma_f32 v3, -v3, v6, v5
	v_div_fmas_f32 v3, v3, v4, v6
	v_div_fixup_f32 v0, v3, v0, v2
	s_waitcnt lgkmcnt(0)
	v_add_f32_e32 v0, s4, v0
	v_mul_f32_e32 v2, 0x4b800000, v0
	v_cmp_gt_f32_e32 vcc, s3, v0
	s_add_u32 s2, s6, s0
	s_addc_u32 s3, s7, s1
	v_cndmask_b32_e32 v0, v0, v2, vcc
	v_rsq_f32_e32 v0, v0
	v_mov_b32_e32 v2, 0
	global_store_dword v2, v1, s[2:3]
	s_add_u32 s0, s8, s0
	v_mul_f32_e32 v1, 0x45800000, v0
	v_cndmask_b32_e32 v0, v0, v1, vcc
	s_addc_u32 s1, s9, s1
	global_store_dword v2, v0, s[0:1]
	s_endpgm
	.section	.rodata,"a",@progbits
	.p2align	6, 0x0
	.amdhsa_kernel _ZN2at6native12_GLOBAL__N_124RowwiseMomentsCUDAKernelIN3c104HalfEfLb0EEEvlT0_PKT_PS5_S9_
		.amdhsa_group_segment_fixed_size 1536
		.amdhsa_private_segment_fixed_size 0
		.amdhsa_kernarg_size 296
		.amdhsa_user_sgpr_count 2
		.amdhsa_user_sgpr_dispatch_ptr 0
		.amdhsa_user_sgpr_queue_ptr 0
		.amdhsa_user_sgpr_kernarg_segment_ptr 1
		.amdhsa_user_sgpr_dispatch_id 0
		.amdhsa_user_sgpr_kernarg_preload_length 0
		.amdhsa_user_sgpr_kernarg_preload_offset 0
		.amdhsa_user_sgpr_private_segment_size 0
		.amdhsa_uses_dynamic_stack 0
		.amdhsa_enable_private_segment 0
		.amdhsa_system_sgpr_workgroup_id_x 1
		.amdhsa_system_sgpr_workgroup_id_y 0
		.amdhsa_system_sgpr_workgroup_id_z 0
		.amdhsa_system_sgpr_workgroup_info 0
		.amdhsa_system_vgpr_workitem_id 0
		.amdhsa_next_free_vgpr 21
		.amdhsa_next_free_sgpr 23
		.amdhsa_accum_offset 24
		.amdhsa_reserve_vcc 1
		.amdhsa_float_round_mode_32 0
		.amdhsa_float_round_mode_16_64 0
		.amdhsa_float_denorm_mode_32 3
		.amdhsa_float_denorm_mode_16_64 3
		.amdhsa_dx10_clamp 1
		.amdhsa_ieee_mode 1
		.amdhsa_fp16_overflow 0
		.amdhsa_tg_split 0
		.amdhsa_exception_fp_ieee_invalid_op 0
		.amdhsa_exception_fp_denorm_src 0
		.amdhsa_exception_fp_ieee_div_zero 0
		.amdhsa_exception_fp_ieee_overflow 0
		.amdhsa_exception_fp_ieee_underflow 0
		.amdhsa_exception_fp_ieee_inexact 0
		.amdhsa_exception_int_div_zero 0
	.end_amdhsa_kernel
	.section	.text._ZN2at6native12_GLOBAL__N_124RowwiseMomentsCUDAKernelIN3c104HalfEfLb0EEEvlT0_PKT_PS5_S9_,"axG",@progbits,_ZN2at6native12_GLOBAL__N_124RowwiseMomentsCUDAKernelIN3c104HalfEfLb0EEEvlT0_PKT_PS5_S9_,comdat
.Lfunc_end7:
	.size	_ZN2at6native12_GLOBAL__N_124RowwiseMomentsCUDAKernelIN3c104HalfEfLb0EEEvlT0_PKT_PS5_S9_, .Lfunc_end7-_ZN2at6native12_GLOBAL__N_124RowwiseMomentsCUDAKernelIN3c104HalfEfLb0EEEvlT0_PKT_PS5_S9_
                                        ; -- End function
	.section	.AMDGPU.csdata,"",@progbits
; Kernel info:
; codeLenInByte = 3476
; NumSgprs: 29
; NumVgprs: 21
; NumAgprs: 0
; TotalNumVgprs: 21
; ScratchSize: 0
; MemoryBound: 0
; FloatMode: 240
; IeeeMode: 1
; LDSByteSize: 1536 bytes/workgroup (compile time only)
; SGPRBlocks: 3
; VGPRBlocks: 2
; NumSGPRsForWavesPerEU: 29
; NumVGPRsForWavesPerEU: 21
; AccumOffset: 24
; Occupancy: 8
; WaveLimiterHint : 0
; COMPUTE_PGM_RSRC2:SCRATCH_EN: 0
; COMPUTE_PGM_RSRC2:USER_SGPR: 2
; COMPUTE_PGM_RSRC2:TRAP_HANDLER: 0
; COMPUTE_PGM_RSRC2:TGID_X_EN: 1
; COMPUTE_PGM_RSRC2:TGID_Y_EN: 0
; COMPUTE_PGM_RSRC2:TGID_Z_EN: 0
; COMPUTE_PGM_RSRC2:TIDIG_COMP_CNT: 0
; COMPUTE_PGM_RSRC3_GFX90A:ACCUM_OFFSET: 5
; COMPUTE_PGM_RSRC3_GFX90A:TG_SPLIT: 0
	.section	.text._ZN2at6native12_GLOBAL__N_126LayerNormForwardCUDAKernelIN3c104HalfEfLb0EEEvlPKT_PKT0_SA_S7_S7_PS5_,"axG",@progbits,_ZN2at6native12_GLOBAL__N_126LayerNormForwardCUDAKernelIN3c104HalfEfLb0EEEvlPKT_PKT0_SA_S7_S7_PS5_,comdat
	.globl	_ZN2at6native12_GLOBAL__N_126LayerNormForwardCUDAKernelIN3c104HalfEfLb0EEEvlPKT_PKT0_SA_S7_S7_PS5_ ; -- Begin function _ZN2at6native12_GLOBAL__N_126LayerNormForwardCUDAKernelIN3c104HalfEfLb0EEEvlPKT_PKT0_SA_S7_S7_PS5_
	.p2align	8
	.type	_ZN2at6native12_GLOBAL__N_126LayerNormForwardCUDAKernelIN3c104HalfEfLb0EEEvlPKT_PKT0_SA_S7_S7_PS5_,@function
_ZN2at6native12_GLOBAL__N_126LayerNormForwardCUDAKernelIN3c104HalfEfLb0EEEvlPKT_PKT0_SA_S7_S7_PS5_: ; @_ZN2at6native12_GLOBAL__N_126LayerNormForwardCUDAKernelIN3c104HalfEfLb0EEEvlPKT_PKT0_SA_S7_S7_PS5_
; %bb.0:
	s_load_dwordx8 s[8:15], s[0:1], 0x0
	v_mov_b32_e32 v1, 0
	s_waitcnt lgkmcnt(0)
	v_cmp_gt_i64_e32 vcc, s[8:9], v[0:1]
	s_and_saveexec_b64 s[4:5], vcc
	s_cbranch_execz .LBB8_8
; %bb.1:
	s_load_dwordx8 s[16:23], s[0:1], 0x20
	s_mov_b32 s3, 0
	s_mov_b64 s[6:7], 0
	v_lshlrev_b32_e32 v2, 1, v0
	v_mov_b32_e32 v3, v1
	s_waitcnt lgkmcnt(0)
	s_cmp_lg_u64 s[16:17], 0
	s_cselect_b64 s[4:5], -1, 0
	s_cmp_lg_u64 s[18:19], 0
	s_cselect_b64 s[24:25], -1, 0
	s_lshl_b64 s[26:27], s[2:3], 2
	s_add_u32 s12, s12, s26
	s_addc_u32 s13, s13, s27
	s_load_dword s28, s[0:1], 0x44
	s_load_dword s22, s[12:13], 0x0
	s_add_u32 s0, s14, s26
	s_addc_u32 s1, s15, s27
	s_load_dword s23, s[0:1], 0x0
	s_mul_i32 s0, s9, s2
	s_mul_hi_u32 s1, s8, s2
	s_add_i32 s1, s1, s0
	s_mul_i32 s0, s8, s2
	s_waitcnt lgkmcnt(0)
	s_and_b32 s12, s28, 0xffff
	s_lshl_b64 s[0:1], s[0:1], 1
	s_add_u32 s10, s10, s0
	s_addc_u32 s11, s11, s1
	s_lshl_b32 s2, s12, 1
	s_add_u32 s14, s20, s0
	v_cndmask_b32_e64 v4, 0, 1, s[4:5]
	v_cndmask_b32_e64 v5, 0, 1, s[24:25]
	s_mov_b32 s13, s3
	s_addc_u32 s15, s21, s1
	v_cmp_ne_u32_e64 s[0:1], 1, v4
	v_cmp_ne_u32_e64 s[4:5], 1, v5
	s_branch .LBB8_4
.LBB8_2:                                ;   in Loop: Header=BB8_4 Depth=1
	v_lshl_add_u64 v[6:7], s[18:19], 0, v[2:3]
	global_load_ushort v5, v[6:7], off
	s_waitcnt vmcnt(0)
	v_cvt_f32_f16_e32 v5, v5
.LBB8_3:                                ;   in Loop: Header=BB8_4 Depth=1
	v_lshl_add_u64 v[6:7], s[10:11], 0, v[2:3]
	global_load_ushort v8, v[6:7], off
	v_lshl_add_u64 v[0:1], v[0:1], 0, s[12:13]
	v_cmp_le_i64_e32 vcc, s[8:9], v[0:1]
	v_lshl_add_u64 v[6:7], s[14:15], 0, v[2:3]
	s_or_b64 s[6:7], vcc, s[6:7]
	v_lshl_add_u64 v[2:3], v[2:3], 0, s[2:3]
	s_waitcnt vmcnt(0)
	v_cvt_f32_f16_e32 v8, v8
	v_subrev_f32_e32 v8, s22, v8
	v_mul_f32_e32 v8, s23, v8
	v_fma_mixlo_f16 v4, v4, v8, v5
	global_store_short v[6:7], v4, off
	s_andn2_b64 exec, exec, s[6:7]
	s_cbranch_execz .LBB8_8
.LBB8_4:                                ; =>This Inner Loop Header: Depth=1
	s_and_b64 vcc, exec, s[0:1]
	s_cbranch_vccnz .LBB8_6
; %bb.5:                                ;   in Loop: Header=BB8_4 Depth=1
	v_lshl_add_u64 v[4:5], s[16:17], 0, v[2:3]
	global_load_ushort v4, v[4:5], off
	s_waitcnt vmcnt(0)
	v_cvt_f32_f16_e32 v4, v4
	s_and_b64 vcc, exec, s[4:5]
	s_cbranch_vccz .LBB8_2
	s_branch .LBB8_7
.LBB8_6:                                ;   in Loop: Header=BB8_4 Depth=1
	v_mov_b32_e32 v4, 1.0
	s_and_b64 vcc, exec, s[4:5]
	s_cbranch_vccz .LBB8_2
.LBB8_7:                                ;   in Loop: Header=BB8_4 Depth=1
	v_mov_b32_e32 v5, 0
	s_branch .LBB8_3
.LBB8_8:
	s_endpgm
	.section	.rodata,"a",@progbits
	.p2align	6, 0x0
	.amdhsa_kernel _ZN2at6native12_GLOBAL__N_126LayerNormForwardCUDAKernelIN3c104HalfEfLb0EEEvlPKT_PKT0_SA_S7_S7_PS5_
		.amdhsa_group_segment_fixed_size 0
		.amdhsa_private_segment_fixed_size 0
		.amdhsa_kernarg_size 312
		.amdhsa_user_sgpr_count 2
		.amdhsa_user_sgpr_dispatch_ptr 0
		.amdhsa_user_sgpr_queue_ptr 0
		.amdhsa_user_sgpr_kernarg_segment_ptr 1
		.amdhsa_user_sgpr_dispatch_id 0
		.amdhsa_user_sgpr_kernarg_preload_length 0
		.amdhsa_user_sgpr_kernarg_preload_offset 0
		.amdhsa_user_sgpr_private_segment_size 0
		.amdhsa_uses_dynamic_stack 0
		.amdhsa_enable_private_segment 0
		.amdhsa_system_sgpr_workgroup_id_x 1
		.amdhsa_system_sgpr_workgroup_id_y 0
		.amdhsa_system_sgpr_workgroup_id_z 0
		.amdhsa_system_sgpr_workgroup_info 0
		.amdhsa_system_vgpr_workitem_id 0
		.amdhsa_next_free_vgpr 9
		.amdhsa_next_free_sgpr 29
		.amdhsa_accum_offset 12
		.amdhsa_reserve_vcc 1
		.amdhsa_float_round_mode_32 0
		.amdhsa_float_round_mode_16_64 0
		.amdhsa_float_denorm_mode_32 3
		.amdhsa_float_denorm_mode_16_64 3
		.amdhsa_dx10_clamp 1
		.amdhsa_ieee_mode 1
		.amdhsa_fp16_overflow 0
		.amdhsa_tg_split 0
		.amdhsa_exception_fp_ieee_invalid_op 0
		.amdhsa_exception_fp_denorm_src 0
		.amdhsa_exception_fp_ieee_div_zero 0
		.amdhsa_exception_fp_ieee_overflow 0
		.amdhsa_exception_fp_ieee_underflow 0
		.amdhsa_exception_fp_ieee_inexact 0
		.amdhsa_exception_int_div_zero 0
	.end_amdhsa_kernel
	.section	.text._ZN2at6native12_GLOBAL__N_126LayerNormForwardCUDAKernelIN3c104HalfEfLb0EEEvlPKT_PKT0_SA_S7_S7_PS5_,"axG",@progbits,_ZN2at6native12_GLOBAL__N_126LayerNormForwardCUDAKernelIN3c104HalfEfLb0EEEvlPKT_PKT0_SA_S7_S7_PS5_,comdat
.Lfunc_end8:
	.size	_ZN2at6native12_GLOBAL__N_126LayerNormForwardCUDAKernelIN3c104HalfEfLb0EEEvlPKT_PKT0_SA_S7_S7_PS5_, .Lfunc_end8-_ZN2at6native12_GLOBAL__N_126LayerNormForwardCUDAKernelIN3c104HalfEfLb0EEEvlPKT_PKT0_SA_S7_S7_PS5_
                                        ; -- End function
	.section	.AMDGPU.csdata,"",@progbits
; Kernel info:
; codeLenInByte = 388
; NumSgprs: 35
; NumVgprs: 9
; NumAgprs: 0
; TotalNumVgprs: 9
; ScratchSize: 0
; MemoryBound: 0
; FloatMode: 240
; IeeeMode: 1
; LDSByteSize: 0 bytes/workgroup (compile time only)
; SGPRBlocks: 4
; VGPRBlocks: 1
; NumSGPRsForWavesPerEU: 35
; NumVGPRsForWavesPerEU: 9
; AccumOffset: 12
; Occupancy: 8
; WaveLimiterHint : 0
; COMPUTE_PGM_RSRC2:SCRATCH_EN: 0
; COMPUTE_PGM_RSRC2:USER_SGPR: 2
; COMPUTE_PGM_RSRC2:TRAP_HANDLER: 0
; COMPUTE_PGM_RSRC2:TGID_X_EN: 1
; COMPUTE_PGM_RSRC2:TGID_Y_EN: 0
; COMPUTE_PGM_RSRC2:TGID_Z_EN: 0
; COMPUTE_PGM_RSRC2:TIDIG_COMP_CNT: 0
; COMPUTE_PGM_RSRC3_GFX90A:ACCUM_OFFSET: 2
; COMPUTE_PGM_RSRC3_GFX90A:TG_SPLIT: 0
	.section	.text._ZN2at6native12_GLOBAL__N_128vectorized_layer_norm_kernelIN3c108BFloat16EfLb0EEEviT0_PKT_S8_S8_PS5_S9_PS6_,"axG",@progbits,_ZN2at6native12_GLOBAL__N_128vectorized_layer_norm_kernelIN3c108BFloat16EfLb0EEEviT0_PKT_S8_S8_PS5_S9_PS6_,comdat
	.globl	_ZN2at6native12_GLOBAL__N_128vectorized_layer_norm_kernelIN3c108BFloat16EfLb0EEEviT0_PKT_S8_S8_PS5_S9_PS6_ ; -- Begin function _ZN2at6native12_GLOBAL__N_128vectorized_layer_norm_kernelIN3c108BFloat16EfLb0EEEviT0_PKT_S8_S8_PS5_S9_PS6_
	.p2align	8
	.type	_ZN2at6native12_GLOBAL__N_128vectorized_layer_norm_kernelIN3c108BFloat16EfLb0EEEviT0_PKT_S8_S8_PS5_S9_PS6_,@function
_ZN2at6native12_GLOBAL__N_128vectorized_layer_norm_kernelIN3c108BFloat16EfLb0EEEviT0_PKT_S8_S8_PS5_S9_PS6_: ; @_ZN2at6native12_GLOBAL__N_128vectorized_layer_norm_kernelIN3c108BFloat16EfLb0EEEviT0_PKT_S8_S8_PS5_S9_PS6_
; %bb.0:
	s_load_dwordx4 s[16:19], s[0:1], 0x0
	s_load_dword s4, s[0:1], 0x44
	v_and_b32_e32 v9, 0x3ff, v0
	v_bfe_u32 v14, v0, 10, 10
	s_mov_b32 s3, 0
	s_waitcnt lgkmcnt(0)
	s_ashr_i32 s5, s16, 31
	s_lshr_b32 s26, s4, 16
	s_and_b32 s4, s4, 0xffff
	s_mul_i32 s20, s26, s4
	v_mul_u32_u24_e32 v0, s4, v14
	v_mad_u32_u24 v16, v14, s4, v9
	s_lshr_b32 s4, s5, 30
	s_add_i32 s4, s16, s4
	s_mul_hi_u32 s6, s16, s2
	s_mul_i32 s7, s5, s2
	s_ashr_i32 s30, s4, 2
	s_add_i32 s23, s6, s7
	s_mul_i32 s22, s16, s2
	v_cmp_gt_i32_e64 s[4:5], s30, v16
	v_mov_b32_e32 v1, 0
	v_add_lshl_u32 v0, v0, v9, 3
	v_mov_b32_e32 v10, 0
	v_mov_b32_e32 v11, 0
	s_and_saveexec_b64 s[12:13], s[4:5]
	s_cbranch_execz .LBB9_4
; %bb.1:
	s_lshl_b64 s[6:7], s[22:23], 1
	s_add_u32 s6, s18, s6
	v_mov_b32_e32 v1, 0
	s_addc_u32 s7, s19, s7
	s_ashr_i32 s21, s20, 31
	v_lshl_add_u64 v[2:3], s[6:7], 0, v[0:1]
	s_lshl_b64 s[24:25], s[20:21], 3
	s_mov_b64 s[14:15], 0
	v_mov_b32_e32 v6, v16
	v_mov_b32_e32 v10, v1
	;; [unrolled: 1-line block ×3, first 2 shown]
.LBB9_2:                                ; =>This Inner Loop Header: Depth=1
	global_load_dwordx2 v[4:5], v[2:3], off
	v_add_f32_e32 v7, 1.0, v1
	v_add_u32_e32 v6, s20, v6
	v_div_scale_f32 v8, s[6:7], v7, v7, 1.0
	v_add_f32_e32 v13, 1.0, v7
	v_cmp_le_i32_e64 s[6:7], s30, v6
	v_rcp_f32_e32 v15, v8
	v_div_scale_f32 v17, s[8:9], v13, v13, 1.0
	v_add_f32_e32 v19, 1.0, v13
	s_or_b64 s[14:15], s[6:7], s[14:15]
	v_rcp_f32_e32 v20, v17
	v_div_scale_f32 v21, s[6:7], v19, v19, 1.0
	v_add_f32_e32 v1, 1.0, v19
	v_rcp_f32_e32 v23, v21
	v_div_scale_f32 v24, s[10:11], v1, v1, 1.0
	v_rcp_f32_e32 v26, v24
	v_fma_f32 v27, -v8, v15, 1.0
	v_div_scale_f32 v12, vcc, 1.0, v7, 1.0
	v_fmac_f32_e32 v15, v27, v15
	v_fma_f32 v27, -v17, v20, 1.0
	v_div_scale_f32 v18, s[8:9], 1.0, v13, 1.0
	v_mul_f32_e32 v28, v12, v15
	v_fmac_f32_e32 v20, v27, v20
	v_fma_f32 v27, -v21, v23, 1.0
	v_div_scale_f32 v22, s[6:7], 1.0, v19, 1.0
	v_fma_f32 v29, -v8, v28, v12
	v_mul_f32_e32 v30, v18, v20
	v_fmac_f32_e32 v23, v27, v23
	v_fma_f32 v27, -v24, v26, 1.0
	v_fmac_f32_e32 v28, v29, v15
	v_fma_f32 v29, -v17, v30, v18
	v_mul_f32_e32 v31, v22, v23
	v_div_scale_f32 v25, s[10:11], 1.0, v1, 1.0
	v_fmac_f32_e32 v26, v27, v26
	v_fma_f32 v8, -v8, v28, v12
	v_fmac_f32_e32 v30, v29, v20
	v_fma_f32 v12, -v21, v31, v22
	v_mul_f32_e32 v27, v25, v26
	v_div_fmas_f32 v8, v8, v15, v28
	v_fma_f32 v15, -v17, v30, v18
	v_fmac_f32_e32 v31, v12, v23
	s_mov_b64 vcc, s[8:9]
	v_fma_f32 v12, -v24, v27, v25
	v_div_fixup_f32 v7, v8, v7, 1.0
	v_div_fmas_f32 v8, v15, v20, v30
	v_fma_f32 v15, -v21, v31, v22
	s_mov_b64 vcc, s[6:7]
	v_fmac_f32_e32 v27, v12, v26
	v_div_fmas_f32 v12, v15, v23, v31
	v_div_fixup_f32 v8, v8, v13, 1.0
	v_fma_f32 v13, -v24, v27, v25
	v_div_fixup_f32 v12, v12, v19, 1.0
	s_mov_b64 vcc, s[10:11]
	v_div_fmas_f32 v13, v13, v26, v27
	v_div_fixup_f32 v13, v13, v1, 1.0
	v_lshl_add_u64 v[2:3], v[2:3], 0, s[24:25]
	s_waitcnt vmcnt(0)
	v_lshlrev_b32_e32 v17, 16, v4
	v_sub_f32_e32 v18, v17, v11
	v_and_b32_e32 v15, 0xffff0000, v4
	v_fmac_f32_e32 v11, v7, v18
	v_alignbit_b32 v4, v5, v4, 16
	v_sub_f32_e32 v7, v17, v11
	v_sub_f32_e32 v17, v15, v11
	v_and_b32_e32 v4, 0xffff0000, v4
	v_fmac_f32_e32 v11, v8, v17
	v_sub_f32_e32 v8, v4, v11
	v_and_b32_e32 v5, 0xffff0000, v5
	v_fmac_f32_e32 v10, v18, v7
	v_sub_f32_e32 v7, v15, v11
	v_fmac_f32_e32 v11, v12, v8
	v_fmac_f32_e32 v10, v17, v7
	v_sub_f32_e32 v7, v5, v11
	v_sub_f32_e32 v4, v4, v11
	v_fmac_f32_e32 v11, v13, v7
	v_fmac_f32_e32 v10, v8, v4
	v_sub_f32_e32 v4, v5, v11
	v_fmac_f32_e32 v10, v7, v4
	s_andn2_b64 exec, exec, s[14:15]
	s_cbranch_execnz .LBB9_2
; %bb.3:
	s_or_b64 exec, exec, s[14:15]
.LBB9_4:
	s_or_b64 exec, exec, s[12:13]
	v_mbcnt_lo_u32_b32 v2, -1, 0
	v_mbcnt_hi_u32_b32 v15, -1, v2
	v_and_b32_e32 v17, 63, v15
	v_cmp_gt_u32_e32 vcc, 32, v17
	v_mov_b32_e32 v4, 0
	v_mov_b32_e32 v3, 0
	v_cndmask_b32_e64 v2, 0, 1, vcc
	v_lshlrev_b32_e32 v2, 5, v2
	v_add_lshl_u32 v2, v2, v15, 2
	ds_bpermute_b32 v8, v2, v1
	ds_bpermute_b32 v6, v2, v11
	;; [unrolled: 1-line block ×3, first 2 shown]
	v_mov_b32_e32 v2, 0
	s_waitcnt lgkmcnt(2)
	v_add_f32_e32 v12, v1, v8
	v_cmp_lt_f32_e32 vcc, 0, v12
	s_and_saveexec_b64 s[6:7], vcc
	s_cbranch_execz .LBB9_6
; %bb.5:
	v_div_scale_f32 v2, s[8:9], v12, v12, 1.0
	v_rcp_f32_e32 v3, v2
	s_waitcnt lgkmcnt(1)
	v_sub_f32_e32 v13, v11, v6
	v_fma_f32 v7, -v2, v3, 1.0
	v_fmac_f32_e32 v3, v7, v3
	v_div_scale_f32 v7, vcc, 1.0, v12, 1.0
	v_mul_f32_e32 v18, v7, v3
	v_fma_f32 v19, -v2, v18, v7
	v_fmac_f32_e32 v18, v19, v3
	v_fma_f32 v2, -v2, v18, v7
	v_div_fmas_f32 v2, v2, v3, v18
	v_div_fixup_f32 v2, v2, v12, 1.0
	v_mul_f32_e32 v7, v1, v2
	v_mul_f32_e32 v3, v13, v13
	;; [unrolled: 1-line block ×3, first 2 shown]
	s_waitcnt lgkmcnt(0)
	v_add_f32_e32 v19, v10, v5
	v_pk_mul_f32 v[2:3], v[2:3], v[8:9] op_sel_hi:[1,0]
	s_nop 0
	v_pk_fma_f32 v[2:3], v[2:3], v[6:7], v[18:19]
.LBB9_6:
	s_or_b64 exec, exec, s[6:7]
	v_cmp_gt_u32_e32 vcc, 48, v17
	s_waitcnt lgkmcnt(0)
	v_mov_b32_e32 v5, 0
	v_cndmask_b32_e64 v1, 0, 1, vcc
	v_lshlrev_b32_e32 v1, 4, v1
	v_add_lshl_u32 v1, v1, v15, 2
	ds_bpermute_b32 v8, v1, v12
	ds_bpermute_b32 v6, v1, v2
	;; [unrolled: 1-line block ×3, first 2 shown]
	s_waitcnt lgkmcnt(2)
	v_add_f32_e32 v1, v12, v8
	v_cmp_lt_f32_e32 vcc, 0, v1
	s_and_saveexec_b64 s[6:7], vcc
	s_cbranch_execz .LBB9_8
; %bb.7:
	v_div_scale_f32 v4, s[8:9], v1, v1, 1.0
	v_rcp_f32_e32 v5, v4
	s_waitcnt lgkmcnt(1)
	v_sub_f32_e32 v7, v2, v6
	v_fma_f32 v10, -v4, v5, 1.0
	v_fmac_f32_e32 v5, v10, v5
	v_div_scale_f32 v10, vcc, 1.0, v1, 1.0
	v_mul_f32_e32 v13, v10, v5
	v_fma_f32 v18, -v4, v13, v10
	v_fmac_f32_e32 v13, v18, v5
	v_fma_f32 v4, -v4, v13, v10
	v_div_fmas_f32 v4, v4, v5, v13
	v_div_fixup_f32 v4, v4, v1, 1.0
	v_mul_f32_e32 v10, v12, v4
	s_waitcnt lgkmcnt(0)
	v_pk_mul_f32 v[12:13], v[2:3], v[10:11]
	v_pk_add_f32 v[2:3], v[2:3], v[10:11]
	v_mul_f32_e32 v5, v7, v7
	v_mov_b32_e32 v13, v3
	v_pk_mul_f32 v[2:3], v[4:5], v[8:9] op_sel_hi:[1,0]
	v_mov_b32_e32 v7, v10
	v_pk_fma_f32 v[4:5], v[2:3], v[6:7], v[12:13]
.LBB9_8:
	s_or_b64 exec, exec, s[6:7]
	v_cmp_gt_u32_e32 vcc, 56, v17
	s_waitcnt lgkmcnt(1)
	v_mov_b32_e32 v6, 0
	v_mov_b32_e32 v7, 0
	v_cndmask_b32_e64 v2, 0, 1, vcc
	v_lshlrev_b32_e32 v2, 3, v2
	v_add_lshl_u32 v3, v2, v15, 2
	ds_bpermute_b32 v8, v3, v1
	ds_bpermute_b32 v10, v3, v4
	ds_bpermute_b32 v13, v3, v5
	v_mov_b32_e32 v2, 0
	s_waitcnt lgkmcnt(2)
	v_add_f32_e32 v18, v1, v8
	v_cmp_lt_f32_e32 vcc, 0, v18
	s_and_saveexec_b64 s[6:7], vcc
	s_cbranch_execz .LBB9_10
; %bb.9:
	v_div_scale_f32 v3, s[8:9], v18, v18, 1.0
	v_rcp_f32_e32 v6, v3
	s_waitcnt lgkmcnt(1)
	v_sub_f32_e32 v7, v4, v10
	v_mul_f32_e32 v7, v7, v7
	v_fma_f32 v11, -v3, v6, 1.0
	v_fmac_f32_e32 v6, v11, v6
	v_div_scale_f32 v11, vcc, 1.0, v18, 1.0
	v_mul_f32_e32 v12, v11, v6
	v_fma_f32 v19, -v3, v12, v11
	v_fmac_f32_e32 v12, v19, v6
	v_fma_f32 v3, -v3, v12, v11
	v_div_fmas_f32 v3, v3, v6, v12
	v_div_fixup_f32 v6, v3, v18, 1.0
	v_mul_f32_e32 v12, v1, v6
	s_waitcnt lgkmcnt(0)
	v_pk_mul_f32 v[20:21], v[4:5], v[12:13]
	v_pk_add_f32 v[4:5], v[4:5], v[12:13]
	v_mov_b32_e32 v11, v12
	v_mov_b32_e32 v21, v5
	v_pk_mul_f32 v[4:5], v[6:7], v[8:9] op_sel_hi:[1,0]
	s_nop 0
	v_pk_fma_f32 v[6:7], v[4:5], v[10:11], v[20:21]
.LBB9_10:
	s_or_b64 exec, exec, s[6:7]
	v_cmp_gt_u32_e32 vcc, 60, v17
	v_mov_b32_e32 v3, 0
	s_nop 0
	v_cndmask_b32_e64 v1, 0, 1, vcc
	v_lshlrev_b32_e32 v1, 2, v1
	v_add_lshl_u32 v1, v1, v15, 2
	ds_bpermute_b32 v8, v1, v18
	ds_bpermute_b32 v4, v1, v6
	ds_bpermute_b32 v11, v1, v7
	s_waitcnt lgkmcnt(2)
	v_add_f32_e32 v1, v18, v8
	v_cmp_lt_f32_e32 vcc, 0, v1
	s_and_saveexec_b64 s[6:7], vcc
	s_cbranch_execz .LBB9_12
; %bb.11:
	v_div_scale_f32 v2, s[8:9], v1, v1, 1.0
	v_rcp_f32_e32 v3, v2
	s_waitcnt lgkmcnt(1)
	v_sub_f32_e32 v5, v6, v4
	v_fma_f32 v10, -v2, v3, 1.0
	v_fmac_f32_e32 v3, v10, v3
	v_div_scale_f32 v10, vcc, 1.0, v1, 1.0
	v_mul_f32_e32 v12, v10, v3
	v_fma_f32 v13, -v2, v12, v10
	v_fmac_f32_e32 v12, v13, v3
	v_fma_f32 v2, -v2, v12, v10
	v_div_fmas_f32 v2, v2, v3, v12
	v_div_fixup_f32 v2, v2, v1, 1.0
	v_mul_f32_e32 v10, v18, v2
	s_waitcnt lgkmcnt(0)
	v_pk_mul_f32 v[12:13], v[6:7], v[10:11]
	v_pk_add_f32 v[6:7], v[6:7], v[10:11]
	v_mul_f32_e32 v3, v5, v5
	v_mov_b32_e32 v13, v7
	v_pk_mul_f32 v[2:3], v[2:3], v[8:9] op_sel_hi:[1,0]
	v_mov_b32_e32 v5, v10
	v_pk_fma_f32 v[2:3], v[2:3], v[4:5], v[12:13]
.LBB9_12:
	s_or_b64 exec, exec, s[6:7]
	v_cmp_gt_u32_e32 vcc, 62, v17
	v_mov_b32_e32 v6, 0
	v_mov_b32_e32 v7, 0
	s_waitcnt lgkmcnt(1)
	v_cndmask_b32_e64 v4, 0, 1, vcc
	v_lshlrev_b32_e32 v4, 1, v4
	v_add_lshl_u32 v5, v4, v15, 2
	ds_bpermute_b32 v8, v5, v1
	ds_bpermute_b32 v10, v5, v2
	;; [unrolled: 1-line block ×3, first 2 shown]
	v_mov_b32_e32 v4, 0
	s_waitcnt lgkmcnt(2)
	v_add_f32_e32 v18, v1, v8
	v_cmp_lt_f32_e32 vcc, 0, v18
	s_and_saveexec_b64 s[6:7], vcc
	s_cbranch_execz .LBB9_14
; %bb.13:
	v_div_scale_f32 v5, s[8:9], v18, v18, 1.0
	v_rcp_f32_e32 v6, v5
	s_waitcnt lgkmcnt(1)
	v_sub_f32_e32 v7, v2, v10
	v_mul_f32_e32 v7, v7, v7
	v_fma_f32 v11, -v5, v6, 1.0
	v_fmac_f32_e32 v6, v11, v6
	v_div_scale_f32 v11, vcc, 1.0, v18, 1.0
	v_mul_f32_e32 v12, v11, v6
	v_fma_f32 v19, -v5, v12, v11
	v_fmac_f32_e32 v12, v19, v6
	v_fma_f32 v5, -v5, v12, v11
	v_div_fmas_f32 v5, v5, v6, v12
	v_div_fixup_f32 v6, v5, v18, 1.0
	v_mul_f32_e32 v12, v1, v6
	s_waitcnt lgkmcnt(0)
	v_pk_mul_f32 v[20:21], v[2:3], v[12:13]
	v_pk_add_f32 v[2:3], v[2:3], v[12:13]
	v_mov_b32_e32 v11, v12
	v_mov_b32_e32 v21, v3
	v_pk_mul_f32 v[2:3], v[6:7], v[8:9] op_sel_hi:[1,0]
	s_nop 0
	v_pk_fma_f32 v[6:7], v[2:3], v[10:11], v[20:21]
.LBB9_14:
	s_or_b64 exec, exec, s[6:7]
	v_cmp_ne_u32_e32 vcc, 63, v17
	v_mov_b32_e32 v5, 0
	s_nop 0
	v_addc_co_u32_e32 v1, vcc, 0, v15, vcc
	v_lshlrev_b32_e32 v1, 2, v1
	ds_bpermute_b32 v8, v1, v18
	ds_bpermute_b32 v2, v1, v6
	ds_bpermute_b32 v11, v1, v7
	s_waitcnt lgkmcnt(2)
	v_add_f32_e32 v1, v18, v8
	v_cmp_lt_f32_e32 vcc, 0, v1
	s_and_saveexec_b64 s[6:7], vcc
	s_cbranch_execz .LBB9_16
; %bb.15:
	v_div_scale_f32 v3, s[8:9], v1, v1, 1.0
	v_rcp_f32_e32 v4, v3
	s_waitcnt lgkmcnt(1)
	v_sub_f32_e32 v5, v6, v2
	v_mul_f32_e32 v5, v5, v5
	v_fma_f32 v10, -v3, v4, 1.0
	v_fmac_f32_e32 v4, v10, v4
	v_div_scale_f32 v10, vcc, 1.0, v1, 1.0
	v_mul_f32_e32 v12, v10, v4
	v_fma_f32 v13, -v3, v12, v10
	v_fmac_f32_e32 v12, v13, v4
	v_fma_f32 v3, -v3, v12, v10
	v_div_fmas_f32 v3, v3, v4, v12
	v_div_fixup_f32 v4, v3, v1, 1.0
	v_mul_f32_e32 v10, v18, v4
	s_waitcnt lgkmcnt(0)
	v_pk_mul_f32 v[12:13], v[6:7], v[10:11]
	v_pk_add_f32 v[6:7], v[6:7], v[10:11]
	v_pk_mul_f32 v[4:5], v[4:5], v[8:9] op_sel_hi:[1,0]
	v_mov_b32_e32 v13, v7
	v_mov_b32_e32 v3, v10
	v_pk_fma_f32 v[4:5], v[4:5], v[2:3], v[12:13]
.LBB9_16:
	s_or_b64 exec, exec, s[6:7]
	s_cmp_lt_u32 s26, 2
	s_cbranch_scc0 .LBB9_18
; %bb.17:
	s_waitcnt lgkmcnt(1)
	v_lshlrev_b32_e32 v2, 2, v15
	v_and_b32_e32 v2, 0x100, v2
	ds_bpermute_b32 v3, v2, v5
	v_cvt_f32_i32_e32 v6, s16
	ds_bpermute_b32 v2, v2, v4
	s_waitcnt lgkmcnt(1)
	v_div_scale_f32 v7, s[6:7], v6, v6, v3
	v_rcp_f32_e32 v8, v7
	v_div_scale_f32 v10, vcc, v3, v6, v3
	v_fma_f32 v11, -v7, v8, 1.0
	v_fmac_f32_e32 v8, v11, v8
	v_mul_f32_e32 v11, v10, v8
	v_fma_f32 v12, -v7, v11, v10
	v_fmac_f32_e32 v11, v12, v8
	v_fma_f32 v7, -v7, v11, v10
	v_div_fmas_f32 v7, v7, v8, v11
	v_div_fixup_f32 v3, v7, v6, v3
	s_cbranch_execz .LBB9_19
	s_branch .LBB9_31
.LBB9_18:
                                        ; implicit-def: $vgpr2_vgpr3
.LBB9_19:
	s_lshl_b32 s6, s26, 2
	s_add_i32 s12, s6, 0
	v_cmp_eq_u32_e64 s[6:7], 0, v9
	v_lshl_add_u32 v6, v14, 2, s12
	v_lshl_add_u32 v7, v14, 3, 0
.LBB9_20:                               ; =>This Inner Loop Header: Depth=1
	s_lshr_b32 s13, s26, 1
	s_and_b32 s8, s26, 0xfffe
	v_cmp_le_u32_e32 vcc, s13, v14
	v_cmp_gt_u32_e64 s[8:9], s8, v14
	s_and_b64 s[8:9], vcc, s[8:9]
	s_and_b64 s[10:11], s[6:7], s[8:9]
	s_and_saveexec_b64 s[8:9], s[10:11]
	s_cbranch_execz .LBB9_22
; %bb.21:                               ;   in Loop: Header=BB9_20 Depth=1
	s_waitcnt lgkmcnt(0)
	v_subrev_u32_e32 v2, s13, v14
	v_lshl_add_u32 v3, v2, 3, 0
	v_lshl_add_u32 v2, v2, 2, s12
	ds_write2_b32 v3, v4, v5 offset1:1
	ds_write_b32 v2, v1
.LBB9_22:                               ;   in Loop: Header=BB9_20 Depth=1
	s_or_b64 exec, exec, s[8:9]
	v_cmp_gt_u32_e32 vcc, s13, v14
	s_and_b64 s[10:11], s[6:7], vcc
	s_waitcnt lgkmcnt(0)
	s_barrier
	s_and_saveexec_b64 s[8:9], s[10:11]
	s_cbranch_execz .LBB9_26
; %bb.23:                               ;   in Loop: Header=BB9_20 Depth=1
	ds_read_b32 v10, v6
	v_mov_b32_e32 v3, 0
	v_mov_b32_e32 v2, 0
	s_waitcnt lgkmcnt(0)
	v_add_f32_e32 v8, v1, v10
	v_cmp_lt_f32_e32 vcc, 0, v8
	s_and_saveexec_b64 s[10:11], vcc
	s_cbranch_execz .LBB9_25
; %bb.24:                               ;   in Loop: Header=BB9_20 Depth=1
	v_div_scale_f32 v11, s[14:15], v8, v8, 1.0
	v_rcp_f32_e32 v12, v11
	ds_read2_b32 v[2:3], v7 offset1:1
	v_fma_f32 v15, -v11, v12, 1.0
	v_fmac_f32_e32 v12, v15, v12
	v_div_scale_f32 v15, vcc, 1.0, v8, 1.0
	v_mul_f32_e32 v17, v15, v12
	v_fma_f32 v18, -v11, v17, v15
	v_fmac_f32_e32 v17, v18, v12
	v_fma_f32 v11, -v11, v17, v15
	v_div_fmas_f32 v11, v11, v12, v17
	s_waitcnt lgkmcnt(0)
	v_sub_f32_e32 v13, v4, v2
	v_div_fixup_f32 v11, v11, v8, 1.0
	v_mul_f32_e32 v15, v10, v11
	v_mul_f32_e32 v12, v1, v11
	;; [unrolled: 1-line block ×4, first 2 shown]
	v_add_f32_e32 v3, v5, v3
	v_mul_f32_e32 v5, v10, v1
	v_pk_fma_f32 v[2:3], v[4:5], v[12:13], v[2:3] op_sel_hi:[1,0,1]
.LBB9_25:                               ;   in Loop: Header=BB9_20 Depth=1
	s_or_b64 exec, exec, s[10:11]
	v_mov_b32_e32 v1, v8
	v_mov_b32_e32 v4, v2
	;; [unrolled: 1-line block ×3, first 2 shown]
.LBB9_26:                               ;   in Loop: Header=BB9_20 Depth=1
	s_or_b64 exec, exec, s[8:9]
	s_cmp_lt_u32 s26, 4
	s_barrier
	s_cbranch_scc1 .LBB9_28
; %bb.27:                               ;   in Loop: Header=BB9_20 Depth=1
	s_mov_b32 s26, s13
	s_branch .LBB9_20
.LBB9_28:
	v_or_b32_e32 v1, v9, v14
	v_cmp_eq_u32_e32 vcc, 0, v1
	s_and_saveexec_b64 s[6:7], vcc
	s_cbranch_execz .LBB9_30
; %bb.29:
	v_cvt_f32_i32_e32 v1, s16
	v_div_scale_f32 v2, s[8:9], v1, v1, v5
	v_rcp_f32_e32 v3, v2
	v_div_scale_f32 v6, vcc, v5, v1, v5
	v_fma_f32 v7, -v2, v3, 1.0
	v_fmac_f32_e32 v3, v7, v3
	v_mul_f32_e32 v7, v6, v3
	v_fma_f32 v8, -v2, v7, v6
	v_fmac_f32_e32 v7, v8, v3
	v_fma_f32 v2, -v2, v7, v6
	v_div_fmas_f32 v2, v2, v3, v7
	v_div_fixup_f32 v1, v2, v1, v5
	v_mov_b32_e32 v2, 0
	ds_write2_b32 v2, v4, v1 offset1:1
.LBB9_30:
	s_or_b64 exec, exec, s[6:7]
	v_mov_b32_e32 v1, 0
	s_waitcnt lgkmcnt(0)
	s_barrier
	ds_read2_b32 v[2:3], v1 offset1:1
.LBB9_31:
	s_waitcnt lgkmcnt(0)
	v_add_f32_e32 v1, s17, v3
	s_mov_b32 s6, 0x800000
	v_mul_f32_e32 v3, 0x4b800000, v1
	v_cmp_gt_f32_e32 vcc, s6, v1
	s_load_dwordx8 s[8:15], s[0:1], 0x10
	s_nop 0
	v_cndmask_b32_e32 v1, v1, v3, vcc
	v_rsq_f32_e32 v1, v1
	s_load_dwordx2 s[0:1], s[0:1], 0x30
	v_mul_f32_e32 v3, 0x45800000, v1
	v_cndmask_b32_e32 v4, v1, v3, vcc
	s_and_saveexec_b64 s[6:7], s[4:5]
	s_cbranch_execz .LBB9_46
; %bb.32:
	s_waitcnt lgkmcnt(0)
	s_cmp_eq_u64 s[8:9], 0
	s_cselect_b64 s[16:17], -1, 0
	s_cmp_eq_u64 s[10:11], 0
	s_cselect_b64 s[24:25], -1, 0
	s_lshl_b64 s[26:27], s[22:23], 1
	s_add_u32 s22, s0, s26
	s_addc_u32 s23, s1, s27
	s_add_u32 s18, s18, s26
	s_addc_u32 s19, s19, s27
	v_cndmask_b32_e64 v6, 0, 1, s[24:25]
	v_mov_b32_e32 v7, 0
	s_ashr_i32 s21, s20, 31
	s_mov_b64 s[4:5], 0
	s_or_b64 s[24:25], s[16:17], s[24:25]
	v_mov_b32_e32 v5, v4
	v_mov_b32_e32 v3, v2
	;; [unrolled: 1-line block ×3, first 2 shown]
	s_lshl_b64 s[26:27], s[20:21], 3
	s_movk_i32 s21, 0x7fff
	v_cmp_ne_u32_e64 s[0:1], 1, v6
	v_mov_b32_e32 v6, 0x7fc0
	v_mov_b32_e32 v17, 0x7fc00000
	;; [unrolled: 1-line block ×3, first 2 shown]
	s_branch .LBB9_34
.LBB9_33:                               ;   in Loop: Header=BB9_34 Depth=1
	v_bfe_u32 v8, v11, 16, 1
	s_add_u32 s18, s18, s26
	v_add3_u32 v8, v11, v8, s21
	s_addc_u32 s19, s19, s27
	v_and_b32_e32 v10, 0xffff0000, v8
	v_lshl_add_u64 v[8:9], s[22:23], 0, v[0:1]
	s_add_u32 s22, s22, s26
	s_addc_u32 s23, s23, s27
	s_add_u32 s8, s8, s26
	s_addc_u32 s9, s9, s27
	v_cmp_o_f32_e32 vcc, v11, v11
	v_add_u32_e32 v18, s20, v18
	s_add_u32 s10, s10, s26
	v_cndmask_b32_e32 v11, v17, v10, vcc
	v_or_b32_sdwa v13, v7, v15 dst_sel:DWORD dst_unused:UNUSED_PAD src0_sel:DWORD src1_sel:WORD_0
	s_addc_u32 s11, s11, s27
	v_cmp_le_i32_e32 vcc, s30, v18
	v_lshl_or_b32 v10, v14, 16, v12
	v_or_b32_e32 v11, v13, v11
	s_or_b64 s[4:5], vcc, s[4:5]
	global_store_dwordx2 v[8:9], v[10:11], off
	s_andn2_b64 exec, exec, s[4:5]
	s_cbranch_execz .LBB9_46
.LBB9_34:                               ; =>This Inner Loop Header: Depth=1
	v_lshl_add_u64 v[8:9], s[18:19], 0, v[0:1]
	global_load_dwordx2 v[8:9], v[8:9], off
	s_and_b64 vcc, exec, s[24:25]
	s_waitcnt vmcnt(0)
	v_lshrrev_b64 v[10:11], 16, v[8:9]
	s_cbranch_vccz .LBB9_38
; %bb.35:                               ;   in Loop: Header=BB9_34 Depth=1
	s_and_b64 vcc, exec, s[16:17]
	s_cbranch_vccz .LBB9_39
; %bb.36:                               ;   in Loop: Header=BB9_34 Depth=1
	s_and_b64 vcc, exec, s[0:1]
	s_cbranch_vccnz .LBB9_40
; %bb.37:                               ;   in Loop: Header=BB9_34 Depth=1
	v_lshlrev_b32_e32 v11, 16, v8
	v_sub_f32_e32 v11, v11, v2
	v_lshlrev_b32_e32 v15, 16, v9
	v_lshlrev_b32_e32 v14, 16, v10
	v_mul_f32_e32 v11, v4, v11
	v_pk_add_f32 v[14:15], v[14:15], v[2:3] neg_lo:[0,1] neg_hi:[0,1]
	v_bfe_u32 v12, v11, 16, 1
	v_pk_mul_f32 v[14:15], v[4:5], v[14:15]
	v_add3_u32 v12, v11, v12, s21
	v_bfe_u32 v13, v15, 16, 1
	v_lshrrev_b32_e32 v12, 16, v12
	v_cmp_o_f32_e32 vcc, v11, v11
	v_bfe_u32 v11, v14, 16, 1
	v_add3_u32 v13, v15, v13, s21
	v_cndmask_b32_e32 v12, v6, v12, vcc
	v_add3_u32 v11, v14, v11, s21
	v_lshrrev_b32_e32 v13, 16, v13
	v_cmp_o_f32_e32 vcc, v15, v15
	v_lshrrev_b32_e32 v11, 16, v11
	s_nop 0
	v_cndmask_b32_e32 v15, v6, v13, vcc
	v_cmp_o_f32_e32 vcc, v14, v14
	s_nop 1
	v_cndmask_b32_e32 v14, v6, v11, vcc
	v_and_b32_e32 v11, 0xffff0000, v9
	v_sub_f32_e32 v11, v11, v2
	v_mul_f32_e32 v11, v4, v11
	s_cbranch_execz .LBB9_41
	s_branch .LBB9_42
.LBB9_38:                               ;   in Loop: Header=BB9_34 Depth=1
                                        ; implicit-def: $vgpr14_vgpr15
                                        ; implicit-def: $vgpr11
                                        ; implicit-def: $vgpr12_vgpr13
	s_branch .LBB9_45
.LBB9_39:                               ;   in Loop: Header=BB9_34 Depth=1
                                        ; implicit-def: $vgpr14_vgpr15
                                        ; implicit-def: $vgpr11
                                        ; implicit-def: $vgpr12_vgpr13
	s_branch .LBB9_43
.LBB9_40:                               ;   in Loop: Header=BB9_34 Depth=1
                                        ; implicit-def: $vgpr14_vgpr15
                                        ; implicit-def: $vgpr11
                                        ; implicit-def: $vgpr12_vgpr13
.LBB9_41:                               ;   in Loop: Header=BB9_34 Depth=1
	v_lshl_add_u64 v[12:13], s[10:11], 0, v[0:1]
	global_load_dwordx2 v[12:13], v[12:13], off
	v_lshlrev_b32_e32 v11, 16, v8
	v_lshlrev_b32_e32 v15, 16, v9
	;; [unrolled: 1-line block ×3, first 2 shown]
	v_sub_f32_e32 v22, v11, v2
	v_pk_add_f32 v[14:15], v[14:15], v[2:3] neg_lo:[0,1] neg_hi:[0,1]
	v_and_b32_e32 v19, 0xffff0000, v9
	v_sub_f32_e32 v19, v19, v2
	s_waitcnt vmcnt(0)
	v_lshlrev_b32_e32 v23, 16, v12
	v_lshlrev_b32_e32 v21, 16, v13
	v_and_b32_e32 v20, 0xffff0000, v12
	v_fmac_f32_e32 v23, v4, v22
	v_pk_fma_f32 v[14:15], v[4:5], v[14:15], v[20:21]
	v_bfe_u32 v12, v23, 16, 1
	v_bfe_u32 v20, v15, 16, 1
	v_add3_u32 v12, v23, v12, s21
	v_and_b32_e32 v11, 0xffff0000, v13
	v_bfe_u32 v13, v14, 16, 1
	v_add3_u32 v20, v15, v20, s21
	v_lshrrev_b32_e32 v12, 16, v12
	v_cmp_o_f32_e32 vcc, v23, v23
	v_add3_u32 v13, v14, v13, s21
	v_lshrrev_b32_e32 v20, 16, v20
	v_cndmask_b32_e32 v12, v6, v12, vcc
	v_cmp_o_f32_e32 vcc, v15, v15
	v_lshrrev_b32_e32 v13, 16, v13
	v_fmac_f32_e32 v11, v4, v19
	v_cndmask_b32_e32 v15, v6, v20, vcc
	v_cmp_o_f32_e32 vcc, v14, v14
	s_nop 1
	v_cndmask_b32_e32 v14, v6, v13, vcc
.LBB9_42:                               ;   in Loop: Header=BB9_34 Depth=1
	s_cbranch_execnz .LBB9_44
.LBB9_43:                               ;   in Loop: Header=BB9_34 Depth=1
	v_lshl_add_u64 v[12:13], s[8:9], 0, v[0:1]
	global_load_dwordx2 v[12:13], v[12:13], off
	v_lshlrev_b32_e32 v11, 16, v8
	v_lshlrev_b32_e32 v15, 16, v9
	;; [unrolled: 1-line block ×3, first 2 shown]
	v_sub_f32_e32 v11, v11, v2
	v_pk_add_f32 v[14:15], v[14:15], v[2:3] neg_lo:[0,1] neg_hi:[0,1]
	v_mul_f32_e32 v11, v4, v11
	v_pk_mul_f32 v[14:15], v[4:5], v[14:15]
	v_and_b32_e32 v19, 0xffff0000, v9
	v_sub_f32_e32 v19, v19, v2
	v_mul_f32_e32 v19, v4, v19
	s_waitcnt vmcnt(0)
	v_lshlrev_b32_e32 v22, 16, v12
	v_lshlrev_b32_e32 v21, 16, v13
	v_and_b32_e32 v20, 0xffff0000, v12
	v_mul_f32_e32 v11, v11, v22
	v_pk_mul_f32 v[14:15], v[14:15], v[20:21]
	v_bfe_u32 v12, v11, 16, 1
	v_bfe_u32 v21, v15, 16, 1
	v_add3_u32 v12, v11, v12, s21
	v_bfe_u32 v20, v14, 16, 1
	v_add3_u32 v21, v15, v21, s21
	v_lshrrev_b32_e32 v12, 16, v12
	v_cmp_o_f32_e32 vcc, v11, v11
	v_add3_u32 v20, v14, v20, s21
	v_lshrrev_b32_e32 v21, 16, v21
	v_cndmask_b32_e32 v12, v6, v12, vcc
	v_cmp_o_f32_e32 vcc, v15, v15
	v_and_b32_e32 v13, 0xffff0000, v13
	v_lshrrev_b32_e32 v20, 16, v20
	v_cndmask_b32_e32 v15, v6, v21, vcc
	v_cmp_o_f32_e32 vcc, v14, v14
	v_mul_f32_e32 v11, v19, v13
	s_nop 0
	v_cndmask_b32_e32 v14, v6, v20, vcc
.LBB9_44:                               ;   in Loop: Header=BB9_34 Depth=1
	s_cbranch_execnz .LBB9_33
.LBB9_45:                               ;   in Loop: Header=BB9_34 Depth=1
	v_lshl_add_u64 v[12:13], s[8:9], 0, v[0:1]
	v_lshl_add_u64 v[14:15], s[10:11], 0, v[0:1]
	global_load_dwordx2 v[20:21], v[12:13], off
	global_load_dwordx2 v[22:23], v[14:15], off
	v_lshlrev_b32_e32 v8, 16, v8
	v_lshlrev_b32_e32 v11, 16, v9
	;; [unrolled: 1-line block ×3, first 2 shown]
	v_sub_f32_e32 v13, v8, v2
	v_and_b32_e32 v12, 0xffff0000, v9
	v_pk_add_f32 v[8:9], v[10:11], v[2:3] neg_lo:[0,1] neg_hi:[0,1]
	v_mul_f32_e32 v19, v4, v13
	v_sub_f32_e32 v10, v12, v2
	v_pk_mul_f32 v[8:9], v[4:5], v[8:9]
	v_mul_f32_e32 v10, v4, v10
	s_waitcnt vmcnt(1)
	v_lshlrev_b32_e32 v24, 16, v20
	s_waitcnt vmcnt(0)
	v_lshlrev_b32_e32 v25, 16, v22
	v_lshlrev_b32_e32 v13, 16, v21
	v_and_b32_e32 v12, 0xffff0000, v20
	v_lshlrev_b32_e32 v15, 16, v23
	v_and_b32_e32 v14, 0xffff0000, v22
	v_fmac_f32_e32 v25, v19, v24
	v_pk_fma_f32 v[8:9], v[8:9], v[12:13], v[14:15]
	v_bfe_u32 v12, v25, 16, 1
	v_bfe_u32 v14, v9, 16, 1
	v_add3_u32 v12, v25, v12, s21
	v_bfe_u32 v13, v8, 16, 1
	v_add3_u32 v14, v9, v14, s21
	v_lshrrev_b32_e32 v12, 16, v12
	v_cmp_o_f32_e32 vcc, v25, v25
	v_add3_u32 v13, v8, v13, s21
	v_lshrrev_b32_e32 v14, 16, v14
	v_cndmask_b32_e32 v12, v6, v12, vcc
	v_cmp_o_f32_e32 vcc, v9, v9
	v_and_b32_e32 v20, 0xffff0000, v21
	v_and_b32_e32 v11, 0xffff0000, v23
	v_lshrrev_b32_e32 v13, 16, v13
	v_cndmask_b32_e32 v15, v6, v14, vcc
	v_cmp_o_f32_e32 vcc, v8, v8
	v_fmac_f32_e32 v11, v10, v20
	s_nop 0
	v_cndmask_b32_e32 v14, v6, v13, vcc
	s_branch .LBB9_33
.LBB9_46:
	s_or_b64 exec, exec, s[6:7]
	v_cmp_eq_u32_e32 vcc, 0, v16
	s_waitcnt lgkmcnt(0)
	s_and_saveexec_b64 s[0:1], vcc
	s_cbranch_execz .LBB9_48
; %bb.47:
	s_lshl_b64 s[0:1], s[2:3], 2
	s_add_u32 s2, s12, s0
	s_addc_u32 s3, s13, s1
	v_mov_b32_e32 v0, 0
	s_add_u32 s0, s14, s0
	s_addc_u32 s1, s15, s1
	global_store_dword v0, v2, s[2:3]
	global_store_dword v0, v4, s[0:1]
.LBB9_48:
	s_endpgm
	.section	.rodata,"a",@progbits
	.p2align	6, 0x0
	.amdhsa_kernel _ZN2at6native12_GLOBAL__N_128vectorized_layer_norm_kernelIN3c108BFloat16EfLb0EEEviT0_PKT_S8_S8_PS5_S9_PS6_
		.amdhsa_group_segment_fixed_size 0
		.amdhsa_private_segment_fixed_size 0
		.amdhsa_kernarg_size 312
		.amdhsa_user_sgpr_count 2
		.amdhsa_user_sgpr_dispatch_ptr 0
		.amdhsa_user_sgpr_queue_ptr 0
		.amdhsa_user_sgpr_kernarg_segment_ptr 1
		.amdhsa_user_sgpr_dispatch_id 0
		.amdhsa_user_sgpr_kernarg_preload_length 0
		.amdhsa_user_sgpr_kernarg_preload_offset 0
		.amdhsa_user_sgpr_private_segment_size 0
		.amdhsa_uses_dynamic_stack 0
		.amdhsa_enable_private_segment 0
		.amdhsa_system_sgpr_workgroup_id_x 1
		.amdhsa_system_sgpr_workgroup_id_y 0
		.amdhsa_system_sgpr_workgroup_id_z 0
		.amdhsa_system_sgpr_workgroup_info 0
		.amdhsa_system_vgpr_workitem_id 1
		.amdhsa_next_free_vgpr 32
		.amdhsa_next_free_sgpr 31
		.amdhsa_accum_offset 32
		.amdhsa_reserve_vcc 1
		.amdhsa_float_round_mode_32 0
		.amdhsa_float_round_mode_16_64 0
		.amdhsa_float_denorm_mode_32 3
		.amdhsa_float_denorm_mode_16_64 3
		.amdhsa_dx10_clamp 1
		.amdhsa_ieee_mode 1
		.amdhsa_fp16_overflow 0
		.amdhsa_tg_split 0
		.amdhsa_exception_fp_ieee_invalid_op 0
		.amdhsa_exception_fp_denorm_src 0
		.amdhsa_exception_fp_ieee_div_zero 0
		.amdhsa_exception_fp_ieee_overflow 0
		.amdhsa_exception_fp_ieee_underflow 0
		.amdhsa_exception_fp_ieee_inexact 0
		.amdhsa_exception_int_div_zero 0
	.end_amdhsa_kernel
	.section	.text._ZN2at6native12_GLOBAL__N_128vectorized_layer_norm_kernelIN3c108BFloat16EfLb0EEEviT0_PKT_S8_S8_PS5_S9_PS6_,"axG",@progbits,_ZN2at6native12_GLOBAL__N_128vectorized_layer_norm_kernelIN3c108BFloat16EfLb0EEEviT0_PKT_S8_S8_PS5_S9_PS6_,comdat
.Lfunc_end9:
	.size	_ZN2at6native12_GLOBAL__N_128vectorized_layer_norm_kernelIN3c108BFloat16EfLb0EEEviT0_PKT_S8_S8_PS5_S9_PS6_, .Lfunc_end9-_ZN2at6native12_GLOBAL__N_128vectorized_layer_norm_kernelIN3c108BFloat16EfLb0EEEviT0_PKT_S8_S8_PS5_S9_PS6_
                                        ; -- End function
	.section	.AMDGPU.csdata,"",@progbits
; Kernel info:
; codeLenInByte = 3768
; NumSgprs: 37
; NumVgprs: 32
; NumAgprs: 0
; TotalNumVgprs: 32
; ScratchSize: 0
; MemoryBound: 0
; FloatMode: 240
; IeeeMode: 1
; LDSByteSize: 0 bytes/workgroup (compile time only)
; SGPRBlocks: 4
; VGPRBlocks: 3
; NumSGPRsForWavesPerEU: 37
; NumVGPRsForWavesPerEU: 32
; AccumOffset: 32
; Occupancy: 8
; WaveLimiterHint : 0
; COMPUTE_PGM_RSRC2:SCRATCH_EN: 0
; COMPUTE_PGM_RSRC2:USER_SGPR: 2
; COMPUTE_PGM_RSRC2:TRAP_HANDLER: 0
; COMPUTE_PGM_RSRC2:TGID_X_EN: 1
; COMPUTE_PGM_RSRC2:TGID_Y_EN: 0
; COMPUTE_PGM_RSRC2:TGID_Z_EN: 0
; COMPUTE_PGM_RSRC2:TIDIG_COMP_CNT: 1
; COMPUTE_PGM_RSRC3_GFX90A:ACCUM_OFFSET: 7
; COMPUTE_PGM_RSRC3_GFX90A:TG_SPLIT: 0
	.section	.text._ZN2at6native12_GLOBAL__N_124RowwiseMomentsCUDAKernelIN3c108BFloat16EfLb0EEEvlT0_PKT_PS5_S9_,"axG",@progbits,_ZN2at6native12_GLOBAL__N_124RowwiseMomentsCUDAKernelIN3c108BFloat16EfLb0EEEvlT0_PKT_PS5_S9_,comdat
	.globl	_ZN2at6native12_GLOBAL__N_124RowwiseMomentsCUDAKernelIN3c108BFloat16EfLb0EEEvlT0_PKT_PS5_S9_ ; -- Begin function _ZN2at6native12_GLOBAL__N_124RowwiseMomentsCUDAKernelIN3c108BFloat16EfLb0EEEvlT0_PKT_PS5_S9_
	.p2align	8
	.type	_ZN2at6native12_GLOBAL__N_124RowwiseMomentsCUDAKernelIN3c108BFloat16EfLb0EEEvlT0_PKT_PS5_S9_,@function
_ZN2at6native12_GLOBAL__N_124RowwiseMomentsCUDAKernelIN3c108BFloat16EfLb0EEEvlT0_PKT_PS5_S9_: ; @_ZN2at6native12_GLOBAL__N_124RowwiseMomentsCUDAKernelIN3c108BFloat16EfLb0EEEvlT0_PKT_PS5_S9_
; %bb.0:
	s_load_dwordx2 s[10:11], s[0:1], 0x0
	s_load_dwordx4 s[4:7], s[0:1], 0x10
	s_load_dwordx2 s[8:9], s[0:1], 0x20
	s_mov_b32 s3, 0
	v_mov_b32_e32 v1, 0
	s_mov_b32 s12, s3
	s_mov_b32 s13, s3
	s_waitcnt lgkmcnt(0)
	v_cmp_gt_i64_e32 vcc, s[10:11], v[0:1]
	v_mov_b64_e32 v[2:3], s[12:13]
	v_mov_b64_e32 v[4:5], 0
	s_and_saveexec_b64 s[12:13], vcc
	s_cbranch_execz .LBB10_4
; %bb.1:
	s_load_dword s14, s[0:1], 0x34
	s_mul_i32 s16, s11, s2
	s_mul_hi_u32 s17, s10, s2
	s_add_i32 s17, s17, s16
	s_mul_i32 s16, s10, s2
	s_waitcnt lgkmcnt(0)
	s_and_b32 s14, s14, 0xffff
	s_lshl_b64 s[16:17], s[16:17], 1
	s_add_u32 s4, s4, s16
	v_lshlrev_b32_e32 v6, 1, v0
	v_mov_b32_e32 v7, 0
	s_addc_u32 s5, s5, s17
	s_mov_b32 s15, s3
	v_lshl_add_u64 v[8:9], s[4:5], 0, v[6:7]
	s_lshl_b32 s4, s14, 1
	s_mov_b32 s5, s3
	s_mov_b64 s[16:17], 0
	v_mov_b64_e32 v[10:11], v[0:1]
	s_mov_b64 s[18:19], 0
	v_mov_b32_e32 v3, v7
.LBB10_2:                               ; =>This Inner Loop Header: Depth=1
	global_load_ushort v2, v[8:9], off
	s_add_u32 s18, s18, 1
	s_addc_u32 s19, s19, 0
	s_flbit_i32_b32 s20, s19
	s_min_u32 s22, s20, 32
	s_lshl_b64 s[20:21], s[18:19], s22
	s_min_u32 s20, s20, 1
	s_or_b32 s20, s21, s20
	v_cvt_f32_u32_e32 v1, s20
	s_sub_i32 s22, 32, s22
	v_lshl_add_u64 v[10:11], v[10:11], 0, s[14:15]
	v_cmp_le_i64_e32 vcc, s[10:11], v[10:11]
	v_ldexp_f32 v1, v1, s22
	s_or_b64 s[16:17], vcc, s[16:17]
	v_lshl_add_u64 v[8:9], v[8:9], 0, s[4:5]
	v_mov_b64_e32 v[4:5], s[18:19]
	s_waitcnt vmcnt(0)
	v_lshlrev_b32_e32 v2, 16, v2
	v_sub_f32_e32 v6, v2, v3
	v_div_scale_f32 v12, s[20:21], v1, v1, v6
	v_rcp_f32_e32 v13, v12
	v_div_scale_f32 v14, vcc, v6, v1, v6
	v_fma_f32 v15, -v12, v13, 1.0
	v_fmac_f32_e32 v13, v15, v13
	v_mul_f32_e32 v15, v14, v13
	v_fma_f32 v16, -v12, v15, v14
	v_fmac_f32_e32 v15, v16, v13
	v_fma_f32 v12, -v12, v15, v14
	v_div_fmas_f32 v12, v12, v13, v15
	v_div_fixup_f32 v12, v12, v1, v6
	v_add_f32_e32 v3, v3, v12
	v_sub_f32_e32 v2, v2, v3
	v_fmac_f32_e32 v7, v6, v2
	s_andn2_b64 exec, exec, s[16:17]
	s_cbranch_execnz .LBB10_2
; %bb.3:
	s_or_b64 exec, exec, s[16:17]
	v_mov_b32_e32 v2, v7
.LBB10_4:
	s_or_b64 exec, exec, s[12:13]
	v_mbcnt_lo_u32_b32 v6, -1, 0
	v_mbcnt_hi_u32_b32 v14, -1, v6
	v_and_b32_e32 v15, 63, v14
	v_cmp_gt_u32_e32 vcc, 32, v15
	s_nop 1
	v_cndmask_b32_e64 v6, 0, 1, vcc
	v_lshlrev_b32_e32 v6, 5, v6
	v_add_lshl_u32 v10, v6, v14, 2
	ds_bpermute_b32 v7, v10, v3
	ds_bpermute_b32 v6, v10, v2
	;; [unrolled: 1-line block ×5, first 2 shown]
	v_cmp_neq_f32_e32 vcc, 0, v1
	s_and_saveexec_b64 s[4:5], vcc
	s_xor_b64 s[4:5], exec, s[4:5]
	s_cbranch_execz .LBB10_8
; %bb.5:
	s_waitcnt lgkmcnt(0)
	v_cmp_neq_f32_e32 vcc, 0, v11
	s_and_saveexec_b64 s[10:11], vcc
	s_cbranch_execz .LBB10_7
; %bb.6:
	v_add_f32_e32 v9, v1, v11
	v_div_scale_f32 v8, s[12:13], v9, v9, v11
	v_rcp_f32_e32 v12, v8
	v_pk_add_f32 v[4:5], v[6:7], v[2:3] neg_lo:[0,1] neg_hi:[0,1]
	v_pk_add_f32 v[6:7], v[2:3], v[6:7]
	v_mul_f32_e32 v2, v5, v5
	v_fma_f32 v4, -v8, v12, 1.0
	v_fmac_f32_e32 v12, v4, v12
	v_div_scale_f32 v4, vcc, v11, v9, v11
	v_mul_f32_e32 v13, v4, v12
	v_fma_f32 v16, -v8, v13, v4
	v_fmac_f32_e32 v13, v16, v12
	v_fma_f32 v4, -v8, v13, v4
	v_div_fmas_f32 v4, v4, v12, v13
	v_div_fixup_f32 v8, v4, v9, v11
	v_mul_f32_e32 v4, v1, v2
	v_mov_b32_e32 v7, v3
	v_pk_fma_f32 v[2:3], v[4:5], v[8:9], v[6:7] op_sel_hi:[1,0,1]
	v_mov_b64_e32 v[4:5], -1
	v_mov_b32_e32 v1, v9
.LBB10_7:
	s_or_b64 exec, exec, s[10:11]
                                        ; implicit-def: $vgpr6_vgpr7
                                        ; implicit-def: $vgpr8
                                        ; implicit-def: $vgpr11
.LBB10_8:
	s_andn2_saveexec_b64 s[4:5], s[4:5]
	s_cbranch_execz .LBB10_10
; %bb.9:
	s_waitcnt lgkmcnt(0)
	v_mov_b32_e32 v1, v11
	v_mov_b64_e32 v[4:5], v[8:9]
	v_mov_b64_e32 v[2:3], v[6:7]
.LBB10_10:
	s_or_b64 exec, exec, s[4:5]
	v_cmp_gt_u32_e32 vcc, 48, v15
	s_waitcnt lgkmcnt(3)
	s_nop 0
	v_cndmask_b32_e64 v6, 0, 1, vcc
	v_lshlrev_b32_e32 v6, 4, v6
	s_waitcnt lgkmcnt(0)
	v_add_lshl_u32 v11, v6, v14, 2
	ds_bpermute_b32 v7, v11, v3
	ds_bpermute_b32 v6, v11, v2
	;; [unrolled: 1-line block ×5, first 2 shown]
	v_cmp_neq_f32_e32 vcc, 0, v1
	s_and_saveexec_b64 s[4:5], vcc
	s_xor_b64 s[4:5], exec, s[4:5]
	s_cbranch_execz .LBB10_14
; %bb.11:
	s_waitcnt lgkmcnt(0)
	v_cmp_neq_f32_e32 vcc, 0, v12
	s_and_saveexec_b64 s[10:11], vcc
	s_cbranch_execz .LBB10_13
; %bb.12:
	v_add_f32_e32 v9, v1, v12
	v_div_scale_f32 v8, s[12:13], v9, v9, v12
	v_rcp_f32_e32 v13, v8
	v_pk_add_f32 v[4:5], v[6:7], v[2:3] neg_lo:[0,1] neg_hi:[0,1]
	v_pk_add_f32 v[6:7], v[2:3], v[6:7]
	v_mul_f32_e32 v2, v5, v5
	v_fma_f32 v4, -v8, v13, 1.0
	v_fmac_f32_e32 v13, v4, v13
	v_div_scale_f32 v4, vcc, v12, v9, v12
	v_mul_f32_e32 v16, v4, v13
	v_fma_f32 v17, -v8, v16, v4
	v_fmac_f32_e32 v16, v17, v13
	v_fma_f32 v4, -v8, v16, v4
	v_div_fmas_f32 v4, v4, v13, v16
	v_div_fixup_f32 v8, v4, v9, v12
	v_mul_f32_e32 v4, v1, v2
	v_mov_b32_e32 v7, v3
	v_pk_fma_f32 v[2:3], v[4:5], v[8:9], v[6:7] op_sel_hi:[1,0,1]
	v_mov_b64_e32 v[4:5], -1
	v_mov_b32_e32 v1, v9
.LBB10_13:
	s_or_b64 exec, exec, s[10:11]
                                        ; implicit-def: $vgpr6_vgpr7
                                        ; implicit-def: $vgpr8
                                        ; implicit-def: $vgpr12
.LBB10_14:
	s_andn2_saveexec_b64 s[4:5], s[4:5]
	s_cbranch_execz .LBB10_16
; %bb.15:
	s_waitcnt lgkmcnt(0)
	v_mov_b32_e32 v1, v12
	v_mov_b64_e32 v[4:5], v[8:9]
	v_mov_b64_e32 v[2:3], v[6:7]
.LBB10_16:
	s_or_b64 exec, exec, s[4:5]
	v_cmp_gt_u32_e32 vcc, 56, v15
	s_waitcnt lgkmcnt(3)
	s_nop 0
	v_cndmask_b32_e64 v6, 0, 1, vcc
	v_lshlrev_b32_e32 v6, 3, v6
	s_waitcnt lgkmcnt(0)
	v_add_lshl_u32 v12, v6, v14, 2
	ds_bpermute_b32 v7, v12, v3
	ds_bpermute_b32 v6, v12, v2
	;; [unrolled: 1-line block ×5, first 2 shown]
	v_cmp_neq_f32_e32 vcc, 0, v1
	s_and_saveexec_b64 s[4:5], vcc
	s_xor_b64 s[4:5], exec, s[4:5]
	s_cbranch_execz .LBB10_20
; %bb.17:
	s_waitcnt lgkmcnt(0)
	v_cmp_neq_f32_e32 vcc, 0, v13
	s_and_saveexec_b64 s[10:11], vcc
	s_cbranch_execz .LBB10_19
; %bb.18:
	v_add_f32_e32 v9, v1, v13
	v_div_scale_f32 v8, s[12:13], v9, v9, v13
	v_rcp_f32_e32 v16, v8
	v_pk_add_f32 v[4:5], v[6:7], v[2:3] neg_lo:[0,1] neg_hi:[0,1]
	v_pk_add_f32 v[6:7], v[2:3], v[6:7]
	v_mul_f32_e32 v2, v5, v5
	v_fma_f32 v4, -v8, v16, 1.0
	v_fmac_f32_e32 v16, v4, v16
	v_div_scale_f32 v4, vcc, v13, v9, v13
	v_mul_f32_e32 v17, v4, v16
	v_fma_f32 v18, -v8, v17, v4
	v_fmac_f32_e32 v17, v18, v16
	v_fma_f32 v4, -v8, v17, v4
	v_div_fmas_f32 v4, v4, v16, v17
	v_div_fixup_f32 v8, v4, v9, v13
	v_mul_f32_e32 v4, v1, v2
	v_mov_b32_e32 v7, v3
	v_pk_fma_f32 v[2:3], v[4:5], v[8:9], v[6:7] op_sel_hi:[1,0,1]
	v_mov_b64_e32 v[4:5], -1
	v_mov_b32_e32 v1, v9
.LBB10_19:
	s_or_b64 exec, exec, s[10:11]
                                        ; implicit-def: $vgpr6_vgpr7
                                        ; implicit-def: $vgpr8
                                        ; implicit-def: $vgpr13
.LBB10_20:
	s_andn2_saveexec_b64 s[4:5], s[4:5]
	s_cbranch_execz .LBB10_22
; %bb.21:
	s_waitcnt lgkmcnt(0)
	v_mov_b32_e32 v1, v13
	v_mov_b64_e32 v[4:5], v[8:9]
	v_mov_b64_e32 v[2:3], v[6:7]
.LBB10_22:
	s_or_b64 exec, exec, s[4:5]
	v_cmp_gt_u32_e32 vcc, 60, v15
	s_waitcnt lgkmcnt(3)
	s_nop 0
	v_cndmask_b32_e64 v6, 0, 1, vcc
	v_lshlrev_b32_e32 v6, 2, v6
	s_waitcnt lgkmcnt(0)
	v_add_lshl_u32 v13, v6, v14, 2
	ds_bpermute_b32 v7, v13, v3
	ds_bpermute_b32 v6, v13, v2
	ds_bpermute_b32 v8, v13, v4
	ds_bpermute_b32 v9, v13, v5
	ds_bpermute_b32 v16, v13, v1
	v_cmp_neq_f32_e32 vcc, 0, v1
	s_and_saveexec_b64 s[4:5], vcc
	s_xor_b64 s[4:5], exec, s[4:5]
	s_cbranch_execz .LBB10_26
; %bb.23:
	s_waitcnt lgkmcnt(0)
	v_cmp_neq_f32_e32 vcc, 0, v16
	s_and_saveexec_b64 s[10:11], vcc
	s_cbranch_execz .LBB10_25
; %bb.24:
	v_add_f32_e32 v9, v1, v16
	v_div_scale_f32 v8, s[12:13], v9, v9, v16
	v_rcp_f32_e32 v17, v8
	v_pk_add_f32 v[4:5], v[6:7], v[2:3] neg_lo:[0,1] neg_hi:[0,1]
	v_pk_add_f32 v[6:7], v[2:3], v[6:7]
	v_mul_f32_e32 v2, v5, v5
	v_fma_f32 v4, -v8, v17, 1.0
	v_fmac_f32_e32 v17, v4, v17
	v_div_scale_f32 v4, vcc, v16, v9, v16
	v_mul_f32_e32 v18, v4, v17
	v_fma_f32 v19, -v8, v18, v4
	v_fmac_f32_e32 v18, v19, v17
	v_fma_f32 v4, -v8, v18, v4
	v_div_fmas_f32 v4, v4, v17, v18
	v_div_fixup_f32 v8, v4, v9, v16
	v_mul_f32_e32 v4, v1, v2
	v_mov_b32_e32 v7, v3
	v_pk_fma_f32 v[2:3], v[4:5], v[8:9], v[6:7] op_sel_hi:[1,0,1]
	v_mov_b64_e32 v[4:5], -1
	v_mov_b32_e32 v1, v9
.LBB10_25:
	s_or_b64 exec, exec, s[10:11]
                                        ; implicit-def: $vgpr6_vgpr7
                                        ; implicit-def: $vgpr8
                                        ; implicit-def: $vgpr16
.LBB10_26:
	s_andn2_saveexec_b64 s[4:5], s[4:5]
	s_cbranch_execz .LBB10_28
; %bb.27:
	s_waitcnt lgkmcnt(0)
	v_mov_b32_e32 v1, v16
	v_mov_b64_e32 v[4:5], v[8:9]
	v_mov_b64_e32 v[2:3], v[6:7]
.LBB10_28:
	s_or_b64 exec, exec, s[4:5]
	v_cmp_gt_u32_e32 vcc, 62, v15
	s_waitcnt lgkmcnt(3)
	s_nop 0
	v_cndmask_b32_e64 v6, 0, 1, vcc
	v_lshlrev_b32_e32 v6, 1, v6
	s_waitcnt lgkmcnt(0)
	v_add_lshl_u32 v16, v6, v14, 2
	ds_bpermute_b32 v7, v16, v3
	ds_bpermute_b32 v6, v16, v2
	;; [unrolled: 1-line block ×5, first 2 shown]
	v_cmp_neq_f32_e32 vcc, 0, v1
	s_and_saveexec_b64 s[4:5], vcc
	s_xor_b64 s[4:5], exec, s[4:5]
	s_cbranch_execz .LBB10_32
; %bb.29:
	s_waitcnt lgkmcnt(0)
	v_cmp_neq_f32_e32 vcc, 0, v17
	s_and_saveexec_b64 s[10:11], vcc
	s_cbranch_execz .LBB10_31
; %bb.30:
	v_add_f32_e32 v9, v1, v17
	v_div_scale_f32 v8, s[12:13], v9, v9, v17
	v_rcp_f32_e32 v18, v8
	v_pk_add_f32 v[4:5], v[6:7], v[2:3] neg_lo:[0,1] neg_hi:[0,1]
	v_pk_add_f32 v[6:7], v[2:3], v[6:7]
	v_mul_f32_e32 v2, v5, v5
	v_fma_f32 v4, -v8, v18, 1.0
	v_fmac_f32_e32 v18, v4, v18
	v_div_scale_f32 v4, vcc, v17, v9, v17
	v_mul_f32_e32 v19, v4, v18
	v_fma_f32 v20, -v8, v19, v4
	v_fmac_f32_e32 v19, v20, v18
	v_fma_f32 v4, -v8, v19, v4
	v_div_fmas_f32 v4, v4, v18, v19
	v_div_fixup_f32 v8, v4, v9, v17
	v_mul_f32_e32 v4, v1, v2
	v_mov_b32_e32 v7, v3
	v_pk_fma_f32 v[2:3], v[4:5], v[8:9], v[6:7] op_sel_hi:[1,0,1]
	v_mov_b64_e32 v[4:5], -1
	v_mov_b32_e32 v1, v9
.LBB10_31:
	s_or_b64 exec, exec, s[10:11]
                                        ; implicit-def: $vgpr6_vgpr7
                                        ; implicit-def: $vgpr8
                                        ; implicit-def: $vgpr17
.LBB10_32:
	s_andn2_saveexec_b64 s[4:5], s[4:5]
	s_cbranch_execz .LBB10_34
; %bb.33:
	s_waitcnt lgkmcnt(0)
	v_mov_b32_e32 v1, v17
	v_mov_b64_e32 v[4:5], v[8:9]
	v_mov_b64_e32 v[2:3], v[6:7]
.LBB10_34:
	s_or_b64 exec, exec, s[4:5]
	v_cmp_ne_u32_e32 vcc, 63, v15
	s_waitcnt lgkmcnt(3)
	s_nop 0
	v_addc_co_u32_e32 v6, vcc, 0, v14, vcc
	v_lshlrev_b32_e32 v14, 2, v6
	ds_bpermute_b32 v7, v14, v3
	ds_bpermute_b32 v6, v14, v2
	s_waitcnt lgkmcnt(4)
	ds_bpermute_b32 v8, v14, v4
	s_waitcnt lgkmcnt(4)
	ds_bpermute_b32 v9, v14, v5
	ds_bpermute_b32 v15, v14, v1
	v_cmp_neq_f32_e32 vcc, 0, v1
	s_and_saveexec_b64 s[4:5], vcc
	s_xor_b64 s[4:5], exec, s[4:5]
	s_cbranch_execz .LBB10_38
; %bb.35:
	s_waitcnt lgkmcnt(0)
	v_cmp_neq_f32_e32 vcc, 0, v15
	s_and_saveexec_b64 s[10:11], vcc
	s_cbranch_execz .LBB10_37
; %bb.36:
	v_add_f32_e32 v9, v1, v15
	v_div_scale_f32 v8, s[12:13], v9, v9, v15
	v_rcp_f32_e32 v17, v8
	v_pk_add_f32 v[4:5], v[6:7], v[2:3] neg_lo:[0,1] neg_hi:[0,1]
	v_pk_add_f32 v[6:7], v[2:3], v[6:7]
	v_mul_f32_e32 v2, v5, v5
	v_fma_f32 v4, -v8, v17, 1.0
	v_fmac_f32_e32 v17, v4, v17
	v_div_scale_f32 v4, vcc, v15, v9, v15
	v_mul_f32_e32 v18, v4, v17
	v_fma_f32 v19, -v8, v18, v4
	v_fmac_f32_e32 v18, v19, v17
	v_fma_f32 v4, -v8, v18, v4
	v_div_fmas_f32 v4, v4, v17, v18
	v_div_fixup_f32 v8, v4, v9, v15
	v_mul_f32_e32 v4, v1, v2
	v_mov_b32_e32 v7, v3
	v_pk_fma_f32 v[2:3], v[4:5], v[8:9], v[6:7] op_sel_hi:[1,0,1]
	v_mov_b64_e32 v[4:5], -1
	v_mov_b32_e32 v1, v9
.LBB10_37:
	s_or_b64 exec, exec, s[10:11]
                                        ; implicit-def: $vgpr6_vgpr7
                                        ; implicit-def: $vgpr8
                                        ; implicit-def: $vgpr15
.LBB10_38:
	s_andn2_saveexec_b64 s[4:5], s[4:5]
	s_cbranch_execz .LBB10_40
; %bb.39:
	s_waitcnt lgkmcnt(0)
	v_mov_b32_e32 v1, v15
	v_mov_b64_e32 v[4:5], v[8:9]
	v_mov_b64_e32 v[2:3], v[6:7]
.LBB10_40:
	s_or_b64 exec, exec, s[4:5]
	s_waitcnt lgkmcnt(3)
	v_and_b32_e32 v6, 63, v0
	v_cmp_eq_u32_e32 vcc, 0, v6
	s_waitcnt lgkmcnt(0)
	s_barrier
	s_and_saveexec_b64 s[4:5], vcc
	s_cbranch_execz .LBB10_42
; %bb.41:
	v_lshrrev_b32_e32 v7, 6, v0
	v_mul_u32_u24_e32 v7, 24, v7
	v_mov_b32_e32 v8, v3
	v_mov_b32_e32 v9, v2
	ds_write2_b64 v7, v[8:9], v[4:5] offset1:1
	ds_write_b32 v7, v1 offset:16
.LBB10_42:
	s_or_b64 exec, exec, s[4:5]
	s_waitcnt lgkmcnt(0)
	s_barrier
	s_load_dword s4, s[0:1], 0x34
	v_mul_u32_u24_e32 v4, 24, v6
	v_mov_b32_e32 v2, 0
	v_mov_b32_e32 v1, 0
	s_waitcnt lgkmcnt(0)
	s_bfe_u32 s4, s4, 0xa0006
	v_cmp_gt_u32_e32 vcc, s4, v0
	s_and_saveexec_b64 s[4:5], vcc
	s_cbranch_execnz .LBB10_48
; %bb.43:
	s_or_b64 exec, exec, s[4:5]
	s_and_saveexec_b64 s[4:5], vcc
	s_cbranch_execnz .LBB10_49
.LBB10_44:
	s_or_b64 exec, exec, s[4:5]
	v_mov_b32_e32 v3, 0
	s_and_saveexec_b64 s[4:5], vcc
	s_cbranch_execnz .LBB10_50
.LBB10_45:
	s_or_b64 exec, exec, s[4:5]
	v_cmp_gt_u32_e32 vcc, 64, v0
	s_and_saveexec_b64 s[4:5], vcc
	s_cbranch_execnz .LBB10_51
.LBB10_46:
	s_or_b64 exec, exec, s[4:5]
	v_cmp_eq_u32_e32 vcc, 0, v0
	s_and_saveexec_b64 s[4:5], vcc
	s_cbranch_execnz .LBB10_76
.LBB10_47:
	s_endpgm
.LBB10_48:
	ds_read_b32 v1, v4
	s_or_b64 exec, exec, s[4:5]
	s_and_saveexec_b64 s[4:5], vcc
	s_cbranch_execz .LBB10_44
.LBB10_49:
	ds_read_b32 v2, v4 offset:4
	s_or_b64 exec, exec, s[4:5]
	v_mov_b32_e32 v3, 0
	s_and_saveexec_b64 s[4:5], vcc
	s_cbranch_execz .LBB10_45
.LBB10_50:
	ds_read_b32 v3, v4 offset:16
	s_or_b64 exec, exec, s[4:5]
	v_cmp_gt_u32_e32 vcc, 64, v0
	s_and_saveexec_b64 s[4:5], vcc
	s_cbranch_execz .LBB10_46
.LBB10_51:
	s_waitcnt lgkmcnt(0)
	ds_bpermute_b32 v6, v10, v1
	ds_bpermute_b32 v4, v10, v2
	;; [unrolled: 1-line block ×3, first 2 shown]
	v_cmp_neq_f32_e32 vcc, 0, v3
	s_and_saveexec_b64 s[10:11], vcc
	s_cbranch_execz .LBB10_55
; %bb.52:
	s_waitcnt lgkmcnt(0)
	v_cmp_neq_f32_e32 vcc, 0, v5
	s_and_saveexec_b64 s[12:13], vcc
	s_cbranch_execz .LBB10_54
; %bb.53:
	v_sub_f32_e32 v6, v6, v1
	v_mul_f32_e32 v7, v6, v6
	v_mul_f32_e32 v7, v3, v7
	v_add_f32_e32 v3, v3, v5
	v_div_scale_f32 v8, s[14:15], v3, v3, v5
	v_rcp_f32_e32 v9, v8
	v_add_f32_e32 v2, v2, v4
	v_fma_f32 v4, -v8, v9, 1.0
	v_fmac_f32_e32 v9, v4, v9
	v_div_scale_f32 v4, vcc, v5, v3, v5
	v_mul_f32_e32 v10, v4, v9
	v_fma_f32 v15, -v8, v10, v4
	v_fmac_f32_e32 v10, v15, v9
	v_fma_f32 v4, -v8, v10, v4
	v_div_fmas_f32 v4, v4, v9, v10
	v_div_fixup_f32 v4, v4, v3, v5
	v_fmac_f32_e32 v1, v6, v4
	v_fmac_f32_e32 v2, v7, v4
.LBB10_54:
	s_or_b64 exec, exec, s[12:13]
	v_mov_b32_e32 v6, v1
	v_mov_b64_e32 v[4:5], v[2:3]
.LBB10_55:
	s_or_b64 exec, exec, s[10:11]
	s_waitcnt lgkmcnt(2)
	ds_bpermute_b32 v1, v11, v6
	s_waitcnt lgkmcnt(2)
	ds_bpermute_b32 v2, v11, v4
	s_waitcnt lgkmcnt(2)
	ds_bpermute_b32 v3, v11, v5
	v_cmp_neq_f32_e32 vcc, 0, v5
	s_and_saveexec_b64 s[10:11], vcc
	s_cbranch_execz .LBB10_59
; %bb.56:
	s_waitcnt lgkmcnt(0)
	v_cmp_neq_f32_e32 vcc, 0, v3
	s_and_saveexec_b64 s[12:13], vcc
	s_cbranch_execz .LBB10_58
; %bb.57:
	v_pk_add_f32 v[8:9], v[4:5], v[2:3]
	v_sub_f32_e32 v1, v1, v6
	v_div_scale_f32 v2, s[14:15], v9, v9, v3
	v_rcp_f32_e32 v4, v2
	v_mul_f32_e32 v7, v1, v1
	v_mul_f32_e32 v5, v5, v7
	v_fma_f32 v7, -v2, v4, 1.0
	v_fmac_f32_e32 v4, v7, v4
	v_div_scale_f32 v7, vcc, v3, v9, v3
	v_mul_f32_e32 v10, v7, v4
	v_fma_f32 v11, -v2, v10, v7
	v_fmac_f32_e32 v10, v11, v4
	v_fma_f32 v2, -v2, v10, v7
	v_div_fmas_f32 v2, v2, v4, v10
	v_div_fixup_f32 v2, v2, v9, v3
	v_fma_f32 v8, v5, v2, v8
	v_fmac_f32_e32 v6, v1, v2
	v_mov_b64_e32 v[4:5], v[8:9]
.LBB10_58:
	s_or_b64 exec, exec, s[12:13]
	v_mov_b32_e32 v1, v6
	v_mov_b64_e32 v[2:3], v[4:5]
.LBB10_59:
	s_or_b64 exec, exec, s[10:11]
	s_waitcnt lgkmcnt(2)
	ds_bpermute_b32 v6, v12, v1
	s_waitcnt lgkmcnt(2)
	ds_bpermute_b32 v4, v12, v2
	s_waitcnt lgkmcnt(2)
	ds_bpermute_b32 v5, v12, v3
	v_cmp_neq_f32_e32 vcc, 0, v3
	s_and_saveexec_b64 s[10:11], vcc
	s_cbranch_execz .LBB10_63
; %bb.60:
	s_waitcnt lgkmcnt(0)
	v_cmp_neq_f32_e32 vcc, 0, v5
	s_and_saveexec_b64 s[12:13], vcc
	s_cbranch_execz .LBB10_62
; %bb.61:
	v_pk_add_f32 v[8:9], v[2:3], v[4:5]
	v_sub_f32_e32 v6, v6, v1
	v_div_scale_f32 v2, s[14:15], v9, v9, v5
	v_rcp_f32_e32 v4, v2
	v_mul_f32_e32 v7, v6, v6
	v_mul_f32_e32 v3, v3, v7
	v_fma_f32 v7, -v2, v4, 1.0
	v_fmac_f32_e32 v4, v7, v4
	v_div_scale_f32 v7, vcc, v5, v9, v5
	v_mul_f32_e32 v10, v7, v4
	v_fma_f32 v11, -v2, v10, v7
	v_fmac_f32_e32 v10, v11, v4
	v_fma_f32 v2, -v2, v10, v7
	v_div_fmas_f32 v2, v2, v4, v10
	v_div_fixup_f32 v2, v2, v9, v5
	v_fma_f32 v8, v3, v2, v8
	v_fmac_f32_e32 v1, v6, v2
	v_mov_b64_e32 v[2:3], v[8:9]
.LBB10_62:
	s_or_b64 exec, exec, s[12:13]
	v_mov_b32_e32 v6, v1
	v_mov_b64_e32 v[4:5], v[2:3]
.LBB10_63:
	;; [unrolled: 39-line block ×4, first 2 shown]
	s_or_b64 exec, exec, s[10:11]
	s_waitcnt lgkmcnt(2)
	ds_bpermute_b32 v1, v14, v6
	s_waitcnt lgkmcnt(2)
	ds_bpermute_b32 v2, v14, v4
	;; [unrolled: 2-line block ×3, first 2 shown]
	v_cmp_neq_f32_e32 vcc, 0, v5
	s_and_saveexec_b64 s[10:11], vcc
	s_cbranch_execz .LBB10_75
; %bb.72:
	s_waitcnt lgkmcnt(0)
	v_cmp_neq_f32_e32 vcc, 0, v3
	s_and_saveexec_b64 s[12:13], vcc
	s_cbranch_execz .LBB10_74
; %bb.73:
	v_pk_add_f32 v[8:9], v[4:5], v[2:3]
	v_sub_f32_e32 v1, v1, v6
	v_div_scale_f32 v2, s[14:15], v9, v9, v3
	v_rcp_f32_e32 v4, v2
	v_mul_f32_e32 v7, v1, v1
	v_mul_f32_e32 v5, v5, v7
	v_fma_f32 v7, -v2, v4, 1.0
	v_fmac_f32_e32 v4, v7, v4
	v_div_scale_f32 v7, vcc, v3, v9, v3
	v_mul_f32_e32 v10, v7, v4
	v_fma_f32 v11, -v2, v10, v7
	v_fmac_f32_e32 v10, v11, v4
	v_fma_f32 v2, -v2, v10, v7
	v_div_fmas_f32 v2, v2, v4, v10
	v_div_fixup_f32 v2, v2, v9, v3
	v_fma_f32 v8, v5, v2, v8
	v_fmac_f32_e32 v6, v1, v2
	v_mov_b64_e32 v[4:5], v[8:9]
.LBB10_74:
	s_or_b64 exec, exec, s[12:13]
	v_mov_b64_e32 v[2:3], v[4:5]
	v_mov_b32_e32 v1, v6
.LBB10_75:
	s_or_b64 exec, exec, s[10:11]
	s_or_b64 exec, exec, s[4:5]
	v_cmp_eq_u32_e32 vcc, 0, v0
	s_and_saveexec_b64 s[4:5], vcc
	s_cbranch_execz .LBB10_47
.LBB10_76:
	s_waitcnt lgkmcnt(0)
	v_max_f32_e32 v0, v3, v3
	v_max_f32_e32 v0, 0, v0
	v_div_scale_f32 v3, s[4:5], v0, v0, v2
	v_rcp_f32_e32 v4, v3
	s_load_dword s4, s[0:1], 0x8
	s_lshl_b64 s[0:1], s[2:3], 2
	s_mov_b32 s3, 0x800000
	v_fma_f32 v5, -v3, v4, 1.0
	v_fmac_f32_e32 v4, v5, v4
	v_div_scale_f32 v5, vcc, v2, v0, v2
	v_mul_f32_e32 v6, v5, v4
	v_fma_f32 v7, -v3, v6, v5
	v_fmac_f32_e32 v6, v7, v4
	v_fma_f32 v3, -v3, v6, v5
	v_div_fmas_f32 v3, v3, v4, v6
	v_div_fixup_f32 v0, v3, v0, v2
	s_waitcnt lgkmcnt(0)
	v_add_f32_e32 v0, s4, v0
	v_mul_f32_e32 v2, 0x4b800000, v0
	v_cmp_gt_f32_e32 vcc, s3, v0
	s_add_u32 s2, s6, s0
	s_addc_u32 s3, s7, s1
	v_cndmask_b32_e32 v0, v0, v2, vcc
	v_rsq_f32_e32 v0, v0
	v_mov_b32_e32 v2, 0
	global_store_dword v2, v1, s[2:3]
	s_add_u32 s0, s8, s0
	v_mul_f32_e32 v1, 0x45800000, v0
	v_cndmask_b32_e32 v0, v0, v1, vcc
	s_addc_u32 s1, s9, s1
	global_store_dword v2, v0, s[0:1]
	s_endpgm
	.section	.rodata,"a",@progbits
	.p2align	6, 0x0
	.amdhsa_kernel _ZN2at6native12_GLOBAL__N_124RowwiseMomentsCUDAKernelIN3c108BFloat16EfLb0EEEvlT0_PKT_PS5_S9_
		.amdhsa_group_segment_fixed_size 1536
		.amdhsa_private_segment_fixed_size 0
		.amdhsa_kernarg_size 296
		.amdhsa_user_sgpr_count 2
		.amdhsa_user_sgpr_dispatch_ptr 0
		.amdhsa_user_sgpr_queue_ptr 0
		.amdhsa_user_sgpr_kernarg_segment_ptr 1
		.amdhsa_user_sgpr_dispatch_id 0
		.amdhsa_user_sgpr_kernarg_preload_length 0
		.amdhsa_user_sgpr_kernarg_preload_offset 0
		.amdhsa_user_sgpr_private_segment_size 0
		.amdhsa_uses_dynamic_stack 0
		.amdhsa_enable_private_segment 0
		.amdhsa_system_sgpr_workgroup_id_x 1
		.amdhsa_system_sgpr_workgroup_id_y 0
		.amdhsa_system_sgpr_workgroup_id_z 0
		.amdhsa_system_sgpr_workgroup_info 0
		.amdhsa_system_vgpr_workitem_id 0
		.amdhsa_next_free_vgpr 21
		.amdhsa_next_free_sgpr 23
		.amdhsa_accum_offset 24
		.amdhsa_reserve_vcc 1
		.amdhsa_float_round_mode_32 0
		.amdhsa_float_round_mode_16_64 0
		.amdhsa_float_denorm_mode_32 3
		.amdhsa_float_denorm_mode_16_64 3
		.amdhsa_dx10_clamp 1
		.amdhsa_ieee_mode 1
		.amdhsa_fp16_overflow 0
		.amdhsa_tg_split 0
		.amdhsa_exception_fp_ieee_invalid_op 0
		.amdhsa_exception_fp_denorm_src 0
		.amdhsa_exception_fp_ieee_div_zero 0
		.amdhsa_exception_fp_ieee_overflow 0
		.amdhsa_exception_fp_ieee_underflow 0
		.amdhsa_exception_fp_ieee_inexact 0
		.amdhsa_exception_int_div_zero 0
	.end_amdhsa_kernel
	.section	.text._ZN2at6native12_GLOBAL__N_124RowwiseMomentsCUDAKernelIN3c108BFloat16EfLb0EEEvlT0_PKT_PS5_S9_,"axG",@progbits,_ZN2at6native12_GLOBAL__N_124RowwiseMomentsCUDAKernelIN3c108BFloat16EfLb0EEEvlT0_PKT_PS5_S9_,comdat
.Lfunc_end10:
	.size	_ZN2at6native12_GLOBAL__N_124RowwiseMomentsCUDAKernelIN3c108BFloat16EfLb0EEEvlT0_PKT_PS5_S9_, .Lfunc_end10-_ZN2at6native12_GLOBAL__N_124RowwiseMomentsCUDAKernelIN3c108BFloat16EfLb0EEEvlT0_PKT_PS5_S9_
                                        ; -- End function
	.section	.AMDGPU.csdata,"",@progbits
; Kernel info:
; codeLenInByte = 3476
; NumSgprs: 29
; NumVgprs: 21
; NumAgprs: 0
; TotalNumVgprs: 21
; ScratchSize: 0
; MemoryBound: 0
; FloatMode: 240
; IeeeMode: 1
; LDSByteSize: 1536 bytes/workgroup (compile time only)
; SGPRBlocks: 3
; VGPRBlocks: 2
; NumSGPRsForWavesPerEU: 29
; NumVGPRsForWavesPerEU: 21
; AccumOffset: 24
; Occupancy: 8
; WaveLimiterHint : 0
; COMPUTE_PGM_RSRC2:SCRATCH_EN: 0
; COMPUTE_PGM_RSRC2:USER_SGPR: 2
; COMPUTE_PGM_RSRC2:TRAP_HANDLER: 0
; COMPUTE_PGM_RSRC2:TGID_X_EN: 1
; COMPUTE_PGM_RSRC2:TGID_Y_EN: 0
; COMPUTE_PGM_RSRC2:TGID_Z_EN: 0
; COMPUTE_PGM_RSRC2:TIDIG_COMP_CNT: 0
; COMPUTE_PGM_RSRC3_GFX90A:ACCUM_OFFSET: 5
; COMPUTE_PGM_RSRC3_GFX90A:TG_SPLIT: 0
	.section	.text._ZN2at6native12_GLOBAL__N_126LayerNormForwardCUDAKernelIN3c108BFloat16EfLb0EEEvlPKT_PKT0_SA_S7_S7_PS5_,"axG",@progbits,_ZN2at6native12_GLOBAL__N_126LayerNormForwardCUDAKernelIN3c108BFloat16EfLb0EEEvlPKT_PKT0_SA_S7_S7_PS5_,comdat
	.globl	_ZN2at6native12_GLOBAL__N_126LayerNormForwardCUDAKernelIN3c108BFloat16EfLb0EEEvlPKT_PKT0_SA_S7_S7_PS5_ ; -- Begin function _ZN2at6native12_GLOBAL__N_126LayerNormForwardCUDAKernelIN3c108BFloat16EfLb0EEEvlPKT_PKT0_SA_S7_S7_PS5_
	.p2align	8
	.type	_ZN2at6native12_GLOBAL__N_126LayerNormForwardCUDAKernelIN3c108BFloat16EfLb0EEEvlPKT_PKT0_SA_S7_S7_PS5_,@function
_ZN2at6native12_GLOBAL__N_126LayerNormForwardCUDAKernelIN3c108BFloat16EfLb0EEEvlPKT_PKT0_SA_S7_S7_PS5_: ; @_ZN2at6native12_GLOBAL__N_126LayerNormForwardCUDAKernelIN3c108BFloat16EfLb0EEEvlPKT_PKT0_SA_S7_S7_PS5_
; %bb.0:
	s_load_dwordx8 s[8:15], s[0:1], 0x0
	v_mov_b32_e32 v1, 0
	s_waitcnt lgkmcnt(0)
	v_cmp_gt_i64_e32 vcc, s[8:9], v[0:1]
	s_and_saveexec_b64 s[4:5], vcc
	s_cbranch_execz .LBB11_8
; %bb.1:
	s_load_dwordx8 s[16:23], s[0:1], 0x20
	s_mov_b32 s3, 0
	s_mov_b64 s[6:7], 0
	v_lshlrev_b32_e32 v2, 1, v0
	v_mov_b32_e32 v3, v1
	s_waitcnt lgkmcnt(0)
	s_cmp_lg_u64 s[16:17], 0
	s_cselect_b64 s[4:5], -1, 0
	s_cmp_lg_u64 s[18:19], 0
	s_cselect_b64 s[24:25], -1, 0
	s_lshl_b64 s[26:27], s[2:3], 2
	s_add_u32 s12, s12, s26
	s_addc_u32 s13, s13, s27
	s_load_dword s28, s[0:1], 0x44
	s_load_dword s22, s[12:13], 0x0
	s_add_u32 s0, s14, s26
	s_addc_u32 s1, s15, s27
	s_load_dword s23, s[0:1], 0x0
	s_mul_i32 s0, s9, s2
	s_mul_hi_u32 s1, s8, s2
	s_add_i32 s1, s1, s0
	s_mul_i32 s0, s8, s2
	s_waitcnt lgkmcnt(0)
	s_and_b32 s12, s28, 0xffff
	s_lshl_b64 s[0:1], s[0:1], 1
	s_add_u32 s10, s10, s0
	s_addc_u32 s11, s11, s1
	s_lshl_b32 s2, s12, 1
	s_add_u32 s14, s20, s0
	v_cndmask_b32_e64 v5, 0, 1, s[4:5]
	v_cndmask_b32_e64 v6, 0, 1, s[24:25]
	s_mov_b32 s13, s3
	s_addc_u32 s15, s21, s1
	s_movk_i32 s20, 0x7fff
	v_mov_b32_e32 v4, 0x7fc0
	v_cmp_ne_u32_e64 s[0:1], 1, v5
	v_cmp_ne_u32_e64 s[4:5], 1, v6
	s_branch .LBB11_4
.LBB11_2:                               ;   in Loop: Header=BB11_4 Depth=1
	v_lshl_add_u64 v[6:7], s[18:19], 0, v[2:3]
	global_load_ushort v6, v[6:7], off
	s_waitcnt vmcnt(0)
	v_lshlrev_b32_e32 v6, 16, v6
.LBB11_3:                               ;   in Loop: Header=BB11_4 Depth=1
	v_lshl_add_u64 v[8:9], s[10:11], 0, v[2:3]
	global_load_ushort v7, v[8:9], off
	v_lshl_add_u64 v[0:1], v[0:1], 0, s[12:13]
	v_cmp_le_i64_e32 vcc, s[8:9], v[0:1]
	s_or_b64 s[6:7], vcc, s[6:7]
	v_lshl_add_u64 v[8:9], s[14:15], 0, v[2:3]
	v_lshl_add_u64 v[2:3], v[2:3], 0, s[2:3]
	s_waitcnt vmcnt(0)
	v_lshlrev_b32_e32 v7, 16, v7
	v_subrev_f32_e32 v7, s22, v7
	v_mul_f32_e32 v7, s23, v7
	v_fmac_f32_e32 v6, v5, v7
	v_bfe_u32 v5, v6, 16, 1
	v_add3_u32 v5, v6, v5, s20
	v_lshrrev_b32_e32 v5, 16, v5
	v_cmp_o_f32_e32 vcc, v6, v6
	s_nop 1
	v_cndmask_b32_e32 v5, v4, v5, vcc
	global_store_short v[8:9], v5, off
	s_andn2_b64 exec, exec, s[6:7]
	s_cbranch_execz .LBB11_8
.LBB11_4:                               ; =>This Inner Loop Header: Depth=1
	s_and_b64 vcc, exec, s[0:1]
	s_cbranch_vccnz .LBB11_6
; %bb.5:                                ;   in Loop: Header=BB11_4 Depth=1
	v_lshl_add_u64 v[6:7], s[16:17], 0, v[2:3]
	global_load_ushort v5, v[6:7], off
	s_waitcnt vmcnt(0)
	v_lshlrev_b32_e32 v5, 16, v5
	s_and_b64 vcc, exec, s[4:5]
	s_cbranch_vccz .LBB11_2
	s_branch .LBB11_7
.LBB11_6:                               ;   in Loop: Header=BB11_4 Depth=1
	v_mov_b32_e32 v5, 1.0
	s_and_b64 vcc, exec, s[4:5]
	s_cbranch_vccz .LBB11_2
.LBB11_7:                               ;   in Loop: Header=BB11_4 Depth=1
	v_mov_b32_e32 v6, 0
	s_branch .LBB11_3
.LBB11_8:
	s_endpgm
	.section	.rodata,"a",@progbits
	.p2align	6, 0x0
	.amdhsa_kernel _ZN2at6native12_GLOBAL__N_126LayerNormForwardCUDAKernelIN3c108BFloat16EfLb0EEEvlPKT_PKT0_SA_S7_S7_PS5_
		.amdhsa_group_segment_fixed_size 0
		.amdhsa_private_segment_fixed_size 0
		.amdhsa_kernarg_size 312
		.amdhsa_user_sgpr_count 2
		.amdhsa_user_sgpr_dispatch_ptr 0
		.amdhsa_user_sgpr_queue_ptr 0
		.amdhsa_user_sgpr_kernarg_segment_ptr 1
		.amdhsa_user_sgpr_dispatch_id 0
		.amdhsa_user_sgpr_kernarg_preload_length 0
		.amdhsa_user_sgpr_kernarg_preload_offset 0
		.amdhsa_user_sgpr_private_segment_size 0
		.amdhsa_uses_dynamic_stack 0
		.amdhsa_enable_private_segment 0
		.amdhsa_system_sgpr_workgroup_id_x 1
		.amdhsa_system_sgpr_workgroup_id_y 0
		.amdhsa_system_sgpr_workgroup_id_z 0
		.amdhsa_system_sgpr_workgroup_info 0
		.amdhsa_system_vgpr_workitem_id 0
		.amdhsa_next_free_vgpr 10
		.amdhsa_next_free_sgpr 29
		.amdhsa_accum_offset 12
		.amdhsa_reserve_vcc 1
		.amdhsa_float_round_mode_32 0
		.amdhsa_float_round_mode_16_64 0
		.amdhsa_float_denorm_mode_32 3
		.amdhsa_float_denorm_mode_16_64 3
		.amdhsa_dx10_clamp 1
		.amdhsa_ieee_mode 1
		.amdhsa_fp16_overflow 0
		.amdhsa_tg_split 0
		.amdhsa_exception_fp_ieee_invalid_op 0
		.amdhsa_exception_fp_denorm_src 0
		.amdhsa_exception_fp_ieee_div_zero 0
		.amdhsa_exception_fp_ieee_overflow 0
		.amdhsa_exception_fp_ieee_underflow 0
		.amdhsa_exception_fp_ieee_inexact 0
		.amdhsa_exception_int_div_zero 0
	.end_amdhsa_kernel
	.section	.text._ZN2at6native12_GLOBAL__N_126LayerNormForwardCUDAKernelIN3c108BFloat16EfLb0EEEvlPKT_PKT0_SA_S7_S7_PS5_,"axG",@progbits,_ZN2at6native12_GLOBAL__N_126LayerNormForwardCUDAKernelIN3c108BFloat16EfLb0EEEvlPKT_PKT0_SA_S7_S7_PS5_,comdat
.Lfunc_end11:
	.size	_ZN2at6native12_GLOBAL__N_126LayerNormForwardCUDAKernelIN3c108BFloat16EfLb0EEEvlPKT_PKT0_SA_S7_S7_PS5_, .Lfunc_end11-_ZN2at6native12_GLOBAL__N_126LayerNormForwardCUDAKernelIN3c108BFloat16EfLb0EEEvlPKT_PKT0_SA_S7_S7_PS5_
                                        ; -- End function
	.section	.AMDGPU.csdata,"",@progbits
; Kernel info:
; codeLenInByte = 428
; NumSgprs: 35
; NumVgprs: 10
; NumAgprs: 0
; TotalNumVgprs: 10
; ScratchSize: 0
; MemoryBound: 0
; FloatMode: 240
; IeeeMode: 1
; LDSByteSize: 0 bytes/workgroup (compile time only)
; SGPRBlocks: 4
; VGPRBlocks: 1
; NumSGPRsForWavesPerEU: 35
; NumVGPRsForWavesPerEU: 10
; AccumOffset: 12
; Occupancy: 8
; WaveLimiterHint : 0
; COMPUTE_PGM_RSRC2:SCRATCH_EN: 0
; COMPUTE_PGM_RSRC2:USER_SGPR: 2
; COMPUTE_PGM_RSRC2:TRAP_HANDLER: 0
; COMPUTE_PGM_RSRC2:TGID_X_EN: 1
; COMPUTE_PGM_RSRC2:TGID_Y_EN: 0
; COMPUTE_PGM_RSRC2:TGID_Z_EN: 0
; COMPUTE_PGM_RSRC2:TIDIG_COMP_CNT: 0
; COMPUTE_PGM_RSRC3_GFX90A:ACCUM_OFFSET: 2
; COMPUTE_PGM_RSRC3_GFX90A:TG_SPLIT: 0
	.section	.text._ZN2at6native12_GLOBAL__N_128vectorized_layer_norm_kernelIddLb1EEEviT0_PKT_S6_S6_PS3_S7_PS4_,"axG",@progbits,_ZN2at6native12_GLOBAL__N_128vectorized_layer_norm_kernelIddLb1EEEviT0_PKT_S6_S6_PS3_S7_PS4_,comdat
	.globl	_ZN2at6native12_GLOBAL__N_128vectorized_layer_norm_kernelIddLb1EEEviT0_PKT_S6_S6_PS3_S7_PS4_ ; -- Begin function _ZN2at6native12_GLOBAL__N_128vectorized_layer_norm_kernelIddLb1EEEviT0_PKT_S6_S6_PS3_S7_PS4_
	.p2align	8
	.type	_ZN2at6native12_GLOBAL__N_128vectorized_layer_norm_kernelIddLb1EEEviT0_PKT_S6_S6_PS3_S7_PS4_,@function
_ZN2at6native12_GLOBAL__N_128vectorized_layer_norm_kernelIddLb1EEEviT0_PKT_S6_S6_PS3_S7_PS4_: ; @_ZN2at6native12_GLOBAL__N_128vectorized_layer_norm_kernelIddLb1EEEviT0_PKT_S6_S6_PS3_S7_PS4_
; %bb.0:
	s_trap 2
	.section	.rodata,"a",@progbits
	.p2align	6, 0x0
	.amdhsa_kernel _ZN2at6native12_GLOBAL__N_128vectorized_layer_norm_kernelIddLb1EEEviT0_PKT_S6_S6_PS3_S7_PS4_
		.amdhsa_group_segment_fixed_size 0
		.amdhsa_private_segment_fixed_size 0
		.amdhsa_kernarg_size 64
		.amdhsa_user_sgpr_count 2
		.amdhsa_user_sgpr_dispatch_ptr 0
		.amdhsa_user_sgpr_queue_ptr 0
		.amdhsa_user_sgpr_kernarg_segment_ptr 1
		.amdhsa_user_sgpr_dispatch_id 0
		.amdhsa_user_sgpr_kernarg_preload_length 0
		.amdhsa_user_sgpr_kernarg_preload_offset 0
		.amdhsa_user_sgpr_private_segment_size 0
		.amdhsa_uses_dynamic_stack 0
		.amdhsa_enable_private_segment 0
		.amdhsa_system_sgpr_workgroup_id_x 1
		.amdhsa_system_sgpr_workgroup_id_y 0
		.amdhsa_system_sgpr_workgroup_id_z 0
		.amdhsa_system_sgpr_workgroup_info 0
		.amdhsa_system_vgpr_workitem_id 0
		.amdhsa_next_free_vgpr 1
		.amdhsa_next_free_sgpr 0
		.amdhsa_accum_offset 4
		.amdhsa_reserve_vcc 0
		.amdhsa_float_round_mode_32 0
		.amdhsa_float_round_mode_16_64 0
		.amdhsa_float_denorm_mode_32 3
		.amdhsa_float_denorm_mode_16_64 3
		.amdhsa_dx10_clamp 1
		.amdhsa_ieee_mode 1
		.amdhsa_fp16_overflow 0
		.amdhsa_tg_split 0
		.amdhsa_exception_fp_ieee_invalid_op 0
		.amdhsa_exception_fp_denorm_src 0
		.amdhsa_exception_fp_ieee_div_zero 0
		.amdhsa_exception_fp_ieee_overflow 0
		.amdhsa_exception_fp_ieee_underflow 0
		.amdhsa_exception_fp_ieee_inexact 0
		.amdhsa_exception_int_div_zero 0
	.end_amdhsa_kernel
	.section	.text._ZN2at6native12_GLOBAL__N_128vectorized_layer_norm_kernelIddLb1EEEviT0_PKT_S6_S6_PS3_S7_PS4_,"axG",@progbits,_ZN2at6native12_GLOBAL__N_128vectorized_layer_norm_kernelIddLb1EEEviT0_PKT_S6_S6_PS3_S7_PS4_,comdat
.Lfunc_end12:
	.size	_ZN2at6native12_GLOBAL__N_128vectorized_layer_norm_kernelIddLb1EEEviT0_PKT_S6_S6_PS3_S7_PS4_, .Lfunc_end12-_ZN2at6native12_GLOBAL__N_128vectorized_layer_norm_kernelIddLb1EEEviT0_PKT_S6_S6_PS3_S7_PS4_
                                        ; -- End function
	.section	.AMDGPU.csdata,"",@progbits
; Kernel info:
; codeLenInByte = 4
; NumSgprs: 6
; NumVgprs: 0
; NumAgprs: 0
; TotalNumVgprs: 0
; ScratchSize: 0
; MemoryBound: 0
; FloatMode: 240
; IeeeMode: 1
; LDSByteSize: 0 bytes/workgroup (compile time only)
; SGPRBlocks: 0
; VGPRBlocks: 0
; NumSGPRsForWavesPerEU: 6
; NumVGPRsForWavesPerEU: 1
; AccumOffset: 4
; Occupancy: 8
; WaveLimiterHint : 0
; COMPUTE_PGM_RSRC2:SCRATCH_EN: 0
; COMPUTE_PGM_RSRC2:USER_SGPR: 2
; COMPUTE_PGM_RSRC2:TRAP_HANDLER: 0
; COMPUTE_PGM_RSRC2:TGID_X_EN: 1
; COMPUTE_PGM_RSRC2:TGID_Y_EN: 0
; COMPUTE_PGM_RSRC2:TGID_Z_EN: 0
; COMPUTE_PGM_RSRC2:TIDIG_COMP_CNT: 0
; COMPUTE_PGM_RSRC3_GFX90A:ACCUM_OFFSET: 0
; COMPUTE_PGM_RSRC3_GFX90A:TG_SPLIT: 0
	.section	.text._ZN2at6native12_GLOBAL__N_124RowwiseMomentsCUDAKernelIddLb1EEEvlT0_PKT_PS3_S7_,"axG",@progbits,_ZN2at6native12_GLOBAL__N_124RowwiseMomentsCUDAKernelIddLb1EEEvlT0_PKT_PS3_S7_,comdat
	.globl	_ZN2at6native12_GLOBAL__N_124RowwiseMomentsCUDAKernelIddLb1EEEvlT0_PKT_PS3_S7_ ; -- Begin function _ZN2at6native12_GLOBAL__N_124RowwiseMomentsCUDAKernelIddLb1EEEvlT0_PKT_PS3_S7_
	.p2align	8
	.type	_ZN2at6native12_GLOBAL__N_124RowwiseMomentsCUDAKernelIddLb1EEEvlT0_PKT_PS3_S7_,@function
_ZN2at6native12_GLOBAL__N_124RowwiseMomentsCUDAKernelIddLb1EEEvlT0_PKT_PS3_S7_: ; @_ZN2at6native12_GLOBAL__N_124RowwiseMomentsCUDAKernelIddLb1EEEvlT0_PKT_PS3_S7_
; %bb.0:
	s_load_dwordx4 s[4:7], s[0:1], 0x0
	s_load_dwordx2 s[12:13], s[0:1], 0x10
	v_mov_b32_e32 v1, 0
	v_mov_b64_e32 v[10:11], 0
	s_mov_b32 s3, 0
	s_waitcnt lgkmcnt(0)
	v_cmp_gt_i64_e32 vcc, s[4:5], v[0:1]
	v_mov_b64_e32 v[14:15], 0
	v_mov_b64_e32 v[2:3], v[10:11]
	;; [unrolled: 1-line block ×3, first 2 shown]
	s_and_saveexec_b64 s[8:9], vcc
	s_cbranch_execz .LBB13_4
; %bb.1:
	s_load_dword s10, s[0:1], 0x34
	s_mul_i32 s14, s5, s2
	s_mul_hi_u32 s15, s4, s2
	s_add_i32 s15, s15, s14
	s_mul_i32 s14, s4, s2
	s_waitcnt lgkmcnt(0)
	s_and_b32 s10, s10, 0xffff
	s_lshl_b64 s[14:15], s[14:15], 3
	s_add_u32 s12, s12, s14
	v_lshlrev_b32_e32 v2, 3, v0
	v_mov_b32_e32 v3, v1
	s_addc_u32 s13, s13, s15
	v_lshl_add_u64 v[6:7], s[12:13], 0, v[2:3]
	v_mov_b64_e32 v[2:3], 0
	s_mov_b32 s11, s3
	s_lshl_b32 s12, s10, 3
	s_mov_b32 s13, s3
	s_mov_b64 s[14:15], 0
	v_mov_b64_e32 v[8:9], v[0:1]
	s_mov_b64 s[16:17], 0
	v_mov_b64_e32 v[4:5], v[2:3]
.LBB13_2:                               ; =>This Inner Loop Header: Depth=1
	global_load_dwordx2 v[12:13], v[6:7], off
	s_add_u32 s16, s16, 1
	s_addc_u32 s17, s17, 0
	v_cvt_f64_u32_e32 v[16:17], s17
	v_cvt_f64_u32_e32 v[10:11], s16
	v_ldexp_f64 v[16:17], v[16:17], 32
	v_add_f64 v[10:11], v[16:17], v[10:11]
	v_lshl_add_u64 v[8:9], v[8:9], 0, s[10:11]
	v_cmp_le_i64_e32 vcc, s[4:5], v[8:9]
	s_or_b64 s[14:15], vcc, s[14:15]
	v_lshl_add_u64 v[6:7], v[6:7], 0, s[12:13]
	v_mov_b64_e32 v[14:15], s[16:17]
	s_waitcnt vmcnt(0)
	v_add_f64 v[16:17], v[12:13], -v[4:5]
	v_div_scale_f64 v[18:19], s[18:19], v[10:11], v[10:11], v[16:17]
	v_rcp_f64_e32 v[20:21], v[18:19]
	v_div_scale_f64 v[22:23], vcc, v[16:17], v[10:11], v[16:17]
	v_fma_f64 v[24:25], -v[18:19], v[20:21], 1.0
	v_fmac_f64_e32 v[20:21], v[20:21], v[24:25]
	v_fma_f64 v[24:25], -v[18:19], v[20:21], 1.0
	v_fmac_f64_e32 v[20:21], v[20:21], v[24:25]
	v_mul_f64 v[24:25], v[22:23], v[20:21]
	v_fma_f64 v[18:19], -v[18:19], v[24:25], v[22:23]
	v_div_fmas_f64 v[18:19], v[18:19], v[20:21], v[24:25]
	v_div_fixup_f64 v[18:19], v[18:19], v[10:11], v[16:17]
	v_add_f64 v[4:5], v[4:5], v[18:19]
	v_add_f64 v[12:13], v[12:13], -v[4:5]
	v_fmac_f64_e32 v[2:3], v[16:17], v[12:13]
	s_andn2_b64 exec, exec, s[14:15]
	s_cbranch_execnz .LBB13_2
; %bb.3:
	s_or_b64 exec, exec, s[14:15]
.LBB13_4:
	s_or_b64 exec, exec, s[8:9]
	v_mbcnt_lo_u32_b32 v1, -1, 0
	v_mbcnt_hi_u32_b32 v22, -1, v1
	v_and_b32_e32 v23, 63, v22
	v_cmp_gt_u32_e32 vcc, 32, v23
	s_nop 1
	v_cndmask_b32_e64 v1, 0, 1, vcc
	v_lshlrev_b32_e32 v1, 5, v1
	v_add_lshl_u32 v1, v1, v22, 2
	ds_bpermute_b32 v8, v1, v4
	ds_bpermute_b32 v9, v1, v5
	;; [unrolled: 1-line block ×8, first 2 shown]
	v_cmp_neq_f64_e32 vcc, 0, v[10:11]
	s_and_saveexec_b64 s[4:5], vcc
	s_cbranch_execz .LBB13_8
; %bb.5:
	s_waitcnt lgkmcnt(0)
	v_cmp_neq_f64_e32 vcc, 0, v[12:13]
	s_and_saveexec_b64 s[8:9], vcc
	s_cbranch_execz .LBB13_7
; %bb.6:
	v_add_f64 v[16:17], v[10:11], v[12:13]
	v_div_scale_f64 v[14:15], s[10:11], v[16:17], v[16:17], v[12:13]
	v_rcp_f64_e32 v[18:19], v[14:15]
	v_add_f64 v[8:9], v[8:9], -v[4:5]
	v_add_f64 v[2:3], v[2:3], v[6:7]
	v_mul_f64 v[6:7], v[8:9], v[8:9]
	v_fma_f64 v[20:21], -v[14:15], v[18:19], 1.0
	v_fmac_f64_e32 v[18:19], v[18:19], v[20:21]
	v_fma_f64 v[20:21], -v[14:15], v[18:19], 1.0
	v_fmac_f64_e32 v[18:19], v[18:19], v[20:21]
	v_div_scale_f64 v[20:21], vcc, v[12:13], v[16:17], v[12:13]
	v_mul_f64 v[24:25], v[20:21], v[18:19]
	v_fma_f64 v[14:15], -v[14:15], v[24:25], v[20:21]
	v_mul_f64 v[6:7], v[10:11], v[6:7]
	s_nop 0
	v_div_fmas_f64 v[14:15], v[14:15], v[18:19], v[24:25]
	v_div_fixup_f64 v[12:13], v[14:15], v[16:17], v[12:13]
	v_fmac_f64_e32 v[4:5], v[8:9], v[12:13]
	v_fmac_f64_e32 v[2:3], v[6:7], v[12:13]
	v_mov_b64_e32 v[14:15], -1
	v_mov_b64_e32 v[10:11], v[16:17]
.LBB13_7:
	s_or_b64 exec, exec, s[8:9]
	v_mov_b64_e32 v[12:13], v[10:11]
	v_mov_b64_e32 v[16:17], v[14:15]
	v_mov_b64_e32 v[6:7], v[2:3]
	v_mov_b64_e32 v[8:9], v[4:5]
.LBB13_8:
	s_or_b64 exec, exec, s[4:5]
	v_cmp_gt_u32_e32 vcc, 48, v23
	s_nop 1
	v_cndmask_b32_e64 v2, 0, 1, vcc
	v_lshlrev_b32_e32 v2, 4, v2
	v_add_lshl_u32 v20, v2, v22, 2
	s_waitcnt lgkmcnt(7)
	ds_bpermute_b32 v10, v20, v8
	s_waitcnt lgkmcnt(7)
	ds_bpermute_b32 v11, v20, v9
	s_waitcnt lgkmcnt(7)
	ds_bpermute_b32 v2, v20, v6
	s_waitcnt lgkmcnt(7)
	ds_bpermute_b32 v3, v20, v7
	s_waitcnt lgkmcnt(7)
	ds_bpermute_b32 v18, v20, v16
	s_waitcnt lgkmcnt(7)
	ds_bpermute_b32 v19, v20, v17
	s_waitcnt lgkmcnt(7)
	ds_bpermute_b32 v14, v20, v12
	s_waitcnt lgkmcnt(7)
	ds_bpermute_b32 v15, v20, v13
	v_cmp_neq_f64_e32 vcc, 0, v[12:13]
	s_and_saveexec_b64 s[4:5], vcc
	s_cbranch_execz .LBB13_12
; %bb.9:
	s_waitcnt lgkmcnt(0)
	v_cmp_neq_f64_e32 vcc, 0, v[14:15]
	s_and_saveexec_b64 s[8:9], vcc
	s_cbranch_execz .LBB13_11
; %bb.10:
	v_add_f64 v[4:5], v[12:13], v[14:15]
	v_div_scale_f64 v[16:17], s[10:11], v[4:5], v[4:5], v[14:15]
	v_rcp_f64_e32 v[18:19], v[16:17]
	v_add_f64 v[10:11], v[10:11], -v[8:9]
	v_add_f64 v[6:7], v[6:7], v[2:3]
	v_mul_f64 v[2:3], v[10:11], v[10:11]
	v_fma_f64 v[24:25], -v[16:17], v[18:19], 1.0
	v_fmac_f64_e32 v[18:19], v[18:19], v[24:25]
	v_fma_f64 v[24:25], -v[16:17], v[18:19], 1.0
	v_fmac_f64_e32 v[18:19], v[18:19], v[24:25]
	v_div_scale_f64 v[24:25], vcc, v[14:15], v[4:5], v[14:15]
	v_mul_f64 v[26:27], v[24:25], v[18:19]
	v_fma_f64 v[16:17], -v[16:17], v[26:27], v[24:25]
	v_mul_f64 v[2:3], v[12:13], v[2:3]
	s_nop 0
	v_div_fmas_f64 v[16:17], v[16:17], v[18:19], v[26:27]
	v_div_fixup_f64 v[14:15], v[16:17], v[4:5], v[14:15]
	v_fmac_f64_e32 v[8:9], v[10:11], v[14:15]
	v_fmac_f64_e32 v[6:7], v[2:3], v[14:15]
	v_mov_b64_e32 v[16:17], -1
	v_mov_b64_e32 v[12:13], v[4:5]
.LBB13_11:
	s_or_b64 exec, exec, s[8:9]
	v_mov_b64_e32 v[14:15], v[12:13]
	v_mov_b64_e32 v[18:19], v[16:17]
	v_mov_b64_e32 v[2:3], v[6:7]
	v_mov_b64_e32 v[10:11], v[8:9]
.LBB13_12:
	s_or_b64 exec, exec, s[4:5]
	v_cmp_gt_u32_e32 vcc, 56, v23
	s_nop 1
	v_cndmask_b32_e64 v4, 0, 1, vcc
	v_lshlrev_b32_e32 v4, 3, v4
	v_add_lshl_u32 v21, v4, v22, 2
	s_waitcnt lgkmcnt(7)
	ds_bpermute_b32 v6, v21, v10
	s_waitcnt lgkmcnt(7)
	ds_bpermute_b32 v7, v21, v11
	s_waitcnt lgkmcnt(7)
	ds_bpermute_b32 v4, v21, v2
	s_waitcnt lgkmcnt(7)
	ds_bpermute_b32 v5, v21, v3
	s_waitcnt lgkmcnt(7)
	ds_bpermute_b32 v16, v21, v18
	s_waitcnt lgkmcnt(7)
	ds_bpermute_b32 v17, v21, v19
	s_waitcnt lgkmcnt(7)
	ds_bpermute_b32 v12, v21, v14
	s_waitcnt lgkmcnt(7)
	ds_bpermute_b32 v13, v21, v15
	;; [unrolled: 59-line block ×4, first 2 shown]
	v_cmp_neq_f64_e32 vcc, 0, v[10:11]
	s_and_saveexec_b64 s[4:5], vcc
	s_cbranch_execz .LBB13_24
; %bb.21:
	s_waitcnt lgkmcnt(0)
	v_cmp_neq_f64_e32 vcc, 0, v[12:13]
	s_and_saveexec_b64 s[8:9], vcc
	s_cbranch_execz .LBB13_23
; %bb.22:
	v_add_f64 v[16:17], v[10:11], v[12:13]
	v_div_scale_f64 v[14:15], s[10:11], v[16:17], v[16:17], v[12:13]
	v_rcp_f64_e32 v[24:25], v[14:15]
	v_add_f64 v[6:7], v[6:7], -v[8:9]
	v_add_f64 v[2:3], v[2:3], v[4:5]
	v_mul_f64 v[4:5], v[6:7], v[6:7]
	v_fma_f64 v[26:27], -v[14:15], v[24:25], 1.0
	v_fmac_f64_e32 v[24:25], v[24:25], v[26:27]
	v_fma_f64 v[26:27], -v[14:15], v[24:25], 1.0
	v_fmac_f64_e32 v[24:25], v[24:25], v[26:27]
	v_div_scale_f64 v[26:27], vcc, v[12:13], v[16:17], v[12:13]
	v_mul_f64 v[28:29], v[26:27], v[24:25]
	v_fma_f64 v[14:15], -v[14:15], v[28:29], v[26:27]
	v_mul_f64 v[4:5], v[10:11], v[4:5]
	s_nop 0
	v_div_fmas_f64 v[14:15], v[14:15], v[24:25], v[28:29]
	v_div_fixup_f64 v[12:13], v[14:15], v[16:17], v[12:13]
	v_fmac_f64_e32 v[8:9], v[6:7], v[12:13]
	v_fmac_f64_e32 v[2:3], v[4:5], v[12:13]
	v_mov_b64_e32 v[14:15], -1
	v_mov_b64_e32 v[10:11], v[16:17]
.LBB13_23:
	s_or_b64 exec, exec, s[8:9]
	v_mov_b64_e32 v[12:13], v[10:11]
	v_mov_b64_e32 v[16:17], v[14:15]
	;; [unrolled: 1-line block ×4, first 2 shown]
.LBB13_24:
	s_or_b64 exec, exec, s[4:5]
	v_cmp_ne_u32_e32 vcc, 63, v23
	s_nop 1
	v_addc_co_u32_e32 v2, vcc, 0, v22, vcc
	v_lshlrev_b32_e32 v22, 2, v2
	s_waitcnt lgkmcnt(7)
	ds_bpermute_b32 v10, v22, v6
	s_waitcnt lgkmcnt(7)
	ds_bpermute_b32 v11, v22, v7
	;; [unrolled: 2-line block ×8, first 2 shown]
	v_cmp_neq_f64_e32 vcc, 0, v[12:13]
	s_and_saveexec_b64 s[4:5], vcc
	s_cbranch_execz .LBB13_28
; %bb.25:
	s_waitcnt lgkmcnt(0)
	v_cmp_neq_f64_e32 vcc, 0, v[8:9]
	s_and_saveexec_b64 s[8:9], vcc
	s_cbranch_execz .LBB13_27
; %bb.26:
	v_add_f64 v[14:15], v[12:13], v[8:9]
	v_div_scale_f64 v[16:17], s[10:11], v[14:15], v[14:15], v[8:9]
	v_rcp_f64_e32 v[24:25], v[16:17]
	v_add_f64 v[10:11], v[10:11], -v[6:7]
	v_add_f64 v[4:5], v[4:5], v[2:3]
	v_mul_f64 v[2:3], v[10:11], v[10:11]
	v_fma_f64 v[26:27], -v[16:17], v[24:25], 1.0
	v_fmac_f64_e32 v[24:25], v[24:25], v[26:27]
	v_fma_f64 v[26:27], -v[16:17], v[24:25], 1.0
	v_fmac_f64_e32 v[24:25], v[24:25], v[26:27]
	v_div_scale_f64 v[26:27], vcc, v[8:9], v[14:15], v[8:9]
	v_mul_f64 v[28:29], v[26:27], v[24:25]
	v_fma_f64 v[16:17], -v[16:17], v[28:29], v[26:27]
	v_mul_f64 v[2:3], v[12:13], v[2:3]
	s_nop 0
	v_div_fmas_f64 v[16:17], v[16:17], v[24:25], v[28:29]
	v_div_fixup_f64 v[8:9], v[16:17], v[14:15], v[8:9]
	v_fmac_f64_e32 v[6:7], v[10:11], v[8:9]
	v_fmac_f64_e32 v[4:5], v[2:3], v[8:9]
	v_mov_b64_e32 v[16:17], -1
	v_mov_b64_e32 v[12:13], v[14:15]
.LBB13_27:
	s_or_b64 exec, exec, s[8:9]
	v_mov_b64_e32 v[8:9], v[12:13]
	v_mov_b64_e32 v[14:15], v[16:17]
	;; [unrolled: 1-line block ×4, first 2 shown]
.LBB13_28:
	s_or_b64 exec, exec, s[4:5]
	v_and_b32_e32 v4, 63, v0
	v_cmp_eq_u32_e32 vcc, 0, v4
	s_waitcnt lgkmcnt(0)
	s_barrier
	s_and_saveexec_b64 s[4:5], vcc
	s_cbranch_execz .LBB13_30
; %bb.29:
	v_lshrrev_b32_e32 v5, 1, v0
	ds_write2_b64 v5, v[10:11], v[2:3] offset1:1
	ds_write2_b64 v5, v[14:15], v[8:9] offset0:2 offset1:3
.LBB13_30:
	s_or_b64 exec, exec, s[4:5]
	s_waitcnt lgkmcnt(0)
	s_barrier
	s_load_dword s4, s[0:1], 0x34
	v_mov_b64_e32 v[2:3], 0
	v_lshlrev_b32_e32 v8, 5, v4
	v_mov_b64_e32 v[4:5], v[2:3]
	s_waitcnt lgkmcnt(0)
	s_bfe_u32 s4, s4, 0xa0006
	v_cmp_gt_u32_e32 vcc, s4, v0
	s_and_saveexec_b64 s[4:5], vcc
	s_cbranch_execnz .LBB13_36
; %bb.31:
	s_or_b64 exec, exec, s[4:5]
	s_and_saveexec_b64 s[4:5], vcc
	s_cbranch_execnz .LBB13_37
.LBB13_32:
	s_or_b64 exec, exec, s[4:5]
	v_mov_b64_e32 v[6:7], 0
	s_and_saveexec_b64 s[4:5], vcc
	s_cbranch_execnz .LBB13_38
.LBB13_33:
	s_or_b64 exec, exec, s[4:5]
	v_cmp_gt_u32_e32 vcc, 64, v0
	s_and_saveexec_b64 s[4:5], vcc
	s_cbranch_execnz .LBB13_39
.LBB13_34:
	s_or_b64 exec, exec, s[4:5]
	v_cmp_eq_u32_e32 vcc, 0, v0
	s_and_saveexec_b64 s[4:5], vcc
	s_cbranch_execnz .LBB13_64
.LBB13_35:
	s_endpgm
.LBB13_36:
	ds_read_b64 v[4:5], v8
	s_or_b64 exec, exec, s[4:5]
	s_and_saveexec_b64 s[4:5], vcc
	s_cbranch_execz .LBB13_32
.LBB13_37:
	ds_read_b64 v[2:3], v8 offset:8
	s_or_b64 exec, exec, s[4:5]
	v_mov_b64_e32 v[6:7], 0
	s_and_saveexec_b64 s[4:5], vcc
	s_cbranch_execz .LBB13_33
.LBB13_38:
	ds_read_b64 v[6:7], v8 offset:24
	s_or_b64 exec, exec, s[4:5]
	v_cmp_gt_u32_e32 vcc, 64, v0
	s_and_saveexec_b64 s[4:5], vcc
	s_cbranch_execz .LBB13_34
.LBB13_39:
	s_waitcnt lgkmcnt(0)
	ds_bpermute_b32 v10, v1, v4
	ds_bpermute_b32 v11, v1, v5
	;; [unrolled: 1-line block ×6, first 2 shown]
	v_cmp_neq_f64_e32 vcc, 0, v[6:7]
	s_and_saveexec_b64 s[8:9], vcc
	s_cbranch_execz .LBB13_43
; %bb.40:
	s_waitcnt lgkmcnt(0)
	v_cmp_neq_f64_e32 vcc, 0, v[12:13]
	s_and_saveexec_b64 s[10:11], vcc
	s_cbranch_execz .LBB13_42
; %bb.41:
	v_add_f64 v[14:15], v[6:7], v[12:13]
	v_div_scale_f64 v[16:17], s[12:13], v[14:15], v[14:15], v[12:13]
	v_rcp_f64_e32 v[24:25], v[16:17]
	v_add_f64 v[10:11], v[10:11], -v[4:5]
	v_add_f64 v[2:3], v[2:3], v[8:9]
	v_mul_f64 v[8:9], v[10:11], v[10:11]
	v_fma_f64 v[26:27], -v[16:17], v[24:25], 1.0
	v_fmac_f64_e32 v[24:25], v[24:25], v[26:27]
	v_fma_f64 v[26:27], -v[16:17], v[24:25], 1.0
	v_fmac_f64_e32 v[24:25], v[24:25], v[26:27]
	v_div_scale_f64 v[26:27], vcc, v[12:13], v[14:15], v[12:13]
	v_mul_f64 v[28:29], v[26:27], v[24:25]
	v_fma_f64 v[16:17], -v[16:17], v[28:29], v[26:27]
	v_mul_f64 v[6:7], v[6:7], v[8:9]
	s_nop 0
	v_div_fmas_f64 v[16:17], v[16:17], v[24:25], v[28:29]
	v_div_fixup_f64 v[12:13], v[16:17], v[14:15], v[12:13]
	v_fmac_f64_e32 v[4:5], v[10:11], v[12:13]
	v_fmac_f64_e32 v[2:3], v[6:7], v[12:13]
	v_mov_b64_e32 v[6:7], v[14:15]
.LBB13_42:
	s_or_b64 exec, exec, s[10:11]
	v_mov_b64_e32 v[12:13], v[6:7]
	v_mov_b64_e32 v[8:9], v[2:3]
	v_mov_b64_e32 v[10:11], v[4:5]
.LBB13_43:
	s_or_b64 exec, exec, s[8:9]
	s_waitcnt lgkmcnt(5)
	ds_bpermute_b32 v6, v20, v10
	s_waitcnt lgkmcnt(5)
	ds_bpermute_b32 v7, v20, v11
	s_waitcnt lgkmcnt(5)
	ds_bpermute_b32 v2, v20, v8
	s_waitcnt lgkmcnt(5)
	ds_bpermute_b32 v3, v20, v9
	s_waitcnt lgkmcnt(5)
	ds_bpermute_b32 v14, v20, v12
	s_waitcnt lgkmcnt(5)
	ds_bpermute_b32 v15, v20, v13
	v_cmp_neq_f64_e32 vcc, 0, v[12:13]
	s_and_saveexec_b64 s[8:9], vcc
	s_cbranch_execz .LBB13_47
; %bb.44:
	s_waitcnt lgkmcnt(0)
	v_cmp_neq_f64_e32 vcc, 0, v[14:15]
	s_and_saveexec_b64 s[10:11], vcc
	s_cbranch_execz .LBB13_46
; %bb.45:
	v_add_f64 v[4:5], v[12:13], v[14:15]
	v_div_scale_f64 v[16:17], s[12:13], v[4:5], v[4:5], v[14:15]
	v_rcp_f64_e32 v[24:25], v[16:17]
	v_add_f64 v[6:7], v[6:7], -v[10:11]
	v_add_f64 v[8:9], v[8:9], v[2:3]
	v_mul_f64 v[2:3], v[6:7], v[6:7]
	v_fma_f64 v[26:27], -v[16:17], v[24:25], 1.0
	v_fmac_f64_e32 v[24:25], v[24:25], v[26:27]
	v_fma_f64 v[26:27], -v[16:17], v[24:25], 1.0
	v_fmac_f64_e32 v[24:25], v[24:25], v[26:27]
	v_div_scale_f64 v[26:27], vcc, v[14:15], v[4:5], v[14:15]
	v_mul_f64 v[28:29], v[26:27], v[24:25]
	v_fma_f64 v[16:17], -v[16:17], v[28:29], v[26:27]
	v_mul_f64 v[2:3], v[12:13], v[2:3]
	s_nop 0
	v_div_fmas_f64 v[16:17], v[16:17], v[24:25], v[28:29]
	v_div_fixup_f64 v[14:15], v[16:17], v[4:5], v[14:15]
	v_fmac_f64_e32 v[10:11], v[6:7], v[14:15]
	v_fmac_f64_e32 v[8:9], v[2:3], v[14:15]
	v_mov_b64_e32 v[12:13], v[4:5]
.LBB13_46:
	s_or_b64 exec, exec, s[10:11]
	v_mov_b64_e32 v[14:15], v[12:13]
	v_mov_b64_e32 v[2:3], v[8:9]
	v_mov_b64_e32 v[6:7], v[10:11]
.LBB13_47:
	s_or_b64 exec, exec, s[8:9]
	s_waitcnt lgkmcnt(5)
	ds_bpermute_b32 v8, v21, v6
	s_waitcnt lgkmcnt(5)
	ds_bpermute_b32 v9, v21, v7
	s_waitcnt lgkmcnt(5)
	ds_bpermute_b32 v4, v21, v2
	s_waitcnt lgkmcnt(5)
	ds_bpermute_b32 v5, v21, v3
	s_waitcnt lgkmcnt(5)
	ds_bpermute_b32 v10, v21, v14
	s_waitcnt lgkmcnt(5)
	ds_bpermute_b32 v11, v21, v15
	;; [unrolled: 48-line block ×5, first 2 shown]
	v_cmp_neq_f64_e32 vcc, 0, v[12:13]
	s_and_saveexec_b64 s[8:9], vcc
	s_cbranch_execz .LBB13_63
; %bb.60:
	s_waitcnt lgkmcnt(0)
	v_cmp_neq_f64_e32 vcc, 0, v[6:7]
	s_and_saveexec_b64 s[10:11], vcc
	s_cbranch_execz .LBB13_62
; %bb.61:
	v_add_f64 v[14:15], v[12:13], v[6:7]
	v_div_scale_f64 v[16:17], s[12:13], v[14:15], v[14:15], v[6:7]
	v_rcp_f64_e32 v[18:19], v[16:17]
	v_add_f64 v[4:5], v[4:5], -v[10:11]
	v_add_f64 v[8:9], v[8:9], v[2:3]
	v_mul_f64 v[2:3], v[4:5], v[4:5]
	v_fma_f64 v[20:21], -v[16:17], v[18:19], 1.0
	v_fmac_f64_e32 v[18:19], v[18:19], v[20:21]
	v_fma_f64 v[20:21], -v[16:17], v[18:19], 1.0
	v_fmac_f64_e32 v[18:19], v[18:19], v[20:21]
	v_div_scale_f64 v[20:21], vcc, v[6:7], v[14:15], v[6:7]
	v_mul_f64 v[22:23], v[20:21], v[18:19]
	v_fma_f64 v[16:17], -v[16:17], v[22:23], v[20:21]
	v_mul_f64 v[2:3], v[12:13], v[2:3]
	s_nop 0
	v_div_fmas_f64 v[16:17], v[16:17], v[18:19], v[22:23]
	v_div_fixup_f64 v[6:7], v[16:17], v[14:15], v[6:7]
	v_fmac_f64_e32 v[10:11], v[4:5], v[6:7]
	v_fmac_f64_e32 v[8:9], v[2:3], v[6:7]
	v_mov_b64_e32 v[12:13], v[14:15]
.LBB13_62:
	s_or_b64 exec, exec, s[10:11]
	v_mov_b64_e32 v[6:7], v[12:13]
	v_mov_b64_e32 v[2:3], v[8:9]
	;; [unrolled: 1-line block ×3, first 2 shown]
.LBB13_63:
	s_or_b64 exec, exec, s[8:9]
	s_or_b64 exec, exec, s[4:5]
	v_cmp_eq_u32_e32 vcc, 0, v0
	s_and_saveexec_b64 s[4:5], vcc
	s_cbranch_execz .LBB13_35
.LBB13_64:
	s_waitcnt lgkmcnt(0)
	v_max_f64 v[0:1], v[6:7], v[6:7]
	v_max_f64 v[0:1], v[0:1], 0
	v_div_scale_f64 v[6:7], s[4:5], v[0:1], v[0:1], v[2:3]
	v_rcp_f64_e32 v[8:9], v[6:7]
	v_div_scale_f64 v[10:11], vcc, v[2:3], v[0:1], v[2:3]
	s_load_dwordx2 s[0:1], s[0:1], 0x20
	v_fma_f64 v[12:13], -v[6:7], v[8:9], 1.0
	v_fmac_f64_e32 v[8:9], v[8:9], v[12:13]
	v_fma_f64 v[12:13], -v[6:7], v[8:9], 1.0
	v_fmac_f64_e32 v[8:9], v[8:9], v[12:13]
	v_mul_f64 v[12:13], v[10:11], v[8:9]
	v_fma_f64 v[6:7], -v[6:7], v[12:13], v[10:11]
	v_div_fmas_f64 v[6:7], v[6:7], v[8:9], v[12:13]
	v_div_fixup_f64 v[0:1], v[6:7], v[0:1], v[2:3]
	v_fmac_f64_e32 v[0:1], v[4:5], v[4:5]
	v_add_f64 v[0:1], v[0:1], s[6:7]
	v_rsq_f64_e32 v[2:3], v[0:1]
	s_mov_b32 s4, 0
	s_mov_b32 s5, 0x3fd80000
	s_lshl_b64 s[2:3], s[2:3], 3
	v_mul_f64 v[0:1], v[2:3], -v[0:1]
	v_fma_f64 v[0:1], v[0:1], v[2:3], 1.0
	v_mul_f64 v[4:5], v[2:3], v[0:1]
	v_fma_f64 v[0:1], v[0:1], s[4:5], 0.5
	v_fma_f64 v[0:1], v[4:5], v[0:1], v[2:3]
	v_mov_b32_e32 v4, 0x180
	v_cmp_class_f64_e32 vcc, v[2:3], v4
	s_waitcnt lgkmcnt(0)
	s_add_u32 s0, s0, s2
	s_addc_u32 s1, s1, s3
	v_cndmask_b32_e32 v1, v3, v1, vcc
	v_cndmask_b32_e32 v0, v2, v0, vcc
	v_mov_b32_e32 v2, 0
	global_store_dwordx2 v2, v[0:1], s[0:1]
	s_endpgm
	.section	.rodata,"a",@progbits
	.p2align	6, 0x0
	.amdhsa_kernel _ZN2at6native12_GLOBAL__N_124RowwiseMomentsCUDAKernelIddLb1EEEvlT0_PKT_PS3_S7_
		.amdhsa_group_segment_fixed_size 2048
		.amdhsa_private_segment_fixed_size 0
		.amdhsa_kernarg_size 296
		.amdhsa_user_sgpr_count 2
		.amdhsa_user_sgpr_dispatch_ptr 0
		.amdhsa_user_sgpr_queue_ptr 0
		.amdhsa_user_sgpr_kernarg_segment_ptr 1
		.amdhsa_user_sgpr_dispatch_id 0
		.amdhsa_user_sgpr_kernarg_preload_length 0
		.amdhsa_user_sgpr_kernarg_preload_offset 0
		.amdhsa_user_sgpr_private_segment_size 0
		.amdhsa_uses_dynamic_stack 0
		.amdhsa_enable_private_segment 0
		.amdhsa_system_sgpr_workgroup_id_x 1
		.amdhsa_system_sgpr_workgroup_id_y 0
		.amdhsa_system_sgpr_workgroup_id_z 0
		.amdhsa_system_sgpr_workgroup_info 0
		.amdhsa_system_vgpr_workitem_id 0
		.amdhsa_next_free_vgpr 30
		.amdhsa_next_free_sgpr 20
		.amdhsa_accum_offset 32
		.amdhsa_reserve_vcc 1
		.amdhsa_float_round_mode_32 0
		.amdhsa_float_round_mode_16_64 0
		.amdhsa_float_denorm_mode_32 3
		.amdhsa_float_denorm_mode_16_64 3
		.amdhsa_dx10_clamp 1
		.amdhsa_ieee_mode 1
		.amdhsa_fp16_overflow 0
		.amdhsa_tg_split 0
		.amdhsa_exception_fp_ieee_invalid_op 0
		.amdhsa_exception_fp_denorm_src 0
		.amdhsa_exception_fp_ieee_div_zero 0
		.amdhsa_exception_fp_ieee_overflow 0
		.amdhsa_exception_fp_ieee_underflow 0
		.amdhsa_exception_fp_ieee_inexact 0
		.amdhsa_exception_int_div_zero 0
	.end_amdhsa_kernel
	.section	.text._ZN2at6native12_GLOBAL__N_124RowwiseMomentsCUDAKernelIddLb1EEEvlT0_PKT_PS3_S7_,"axG",@progbits,_ZN2at6native12_GLOBAL__N_124RowwiseMomentsCUDAKernelIddLb1EEEvlT0_PKT_PS3_S7_,comdat
.Lfunc_end13:
	.size	_ZN2at6native12_GLOBAL__N_124RowwiseMomentsCUDAKernelIddLb1EEEvlT0_PKT_PS3_S7_, .Lfunc_end13-_ZN2at6native12_GLOBAL__N_124RowwiseMomentsCUDAKernelIddLb1EEEvlT0_PKT_PS3_S7_
                                        ; -- End function
	.section	.AMDGPU.csdata,"",@progbits
; Kernel info:
; codeLenInByte = 4156
; NumSgprs: 26
; NumVgprs: 30
; NumAgprs: 0
; TotalNumVgprs: 30
; ScratchSize: 0
; MemoryBound: 0
; FloatMode: 240
; IeeeMode: 1
; LDSByteSize: 2048 bytes/workgroup (compile time only)
; SGPRBlocks: 3
; VGPRBlocks: 3
; NumSGPRsForWavesPerEU: 26
; NumVGPRsForWavesPerEU: 30
; AccumOffset: 32
; Occupancy: 8
; WaveLimiterHint : 0
; COMPUTE_PGM_RSRC2:SCRATCH_EN: 0
; COMPUTE_PGM_RSRC2:USER_SGPR: 2
; COMPUTE_PGM_RSRC2:TRAP_HANDLER: 0
; COMPUTE_PGM_RSRC2:TGID_X_EN: 1
; COMPUTE_PGM_RSRC2:TGID_Y_EN: 0
; COMPUTE_PGM_RSRC2:TGID_Z_EN: 0
; COMPUTE_PGM_RSRC2:TIDIG_COMP_CNT: 0
; COMPUTE_PGM_RSRC3_GFX90A:ACCUM_OFFSET: 7
; COMPUTE_PGM_RSRC3_GFX90A:TG_SPLIT: 0
	.section	.text._ZN2at6native12_GLOBAL__N_126LayerNormForwardCUDAKernelIddLb1EEEvlPKT_PKT0_S8_S5_S5_PS3_,"axG",@progbits,_ZN2at6native12_GLOBAL__N_126LayerNormForwardCUDAKernelIddLb1EEEvlPKT_PKT0_S8_S5_S5_PS3_,comdat
	.globl	_ZN2at6native12_GLOBAL__N_126LayerNormForwardCUDAKernelIddLb1EEEvlPKT_PKT0_S8_S5_S5_PS3_ ; -- Begin function _ZN2at6native12_GLOBAL__N_126LayerNormForwardCUDAKernelIddLb1EEEvlPKT_PKT0_S8_S5_S5_PS3_
	.p2align	8
	.type	_ZN2at6native12_GLOBAL__N_126LayerNormForwardCUDAKernelIddLb1EEEvlPKT_PKT0_S8_S5_S5_PS3_,@function
_ZN2at6native12_GLOBAL__N_126LayerNormForwardCUDAKernelIddLb1EEEvlPKT_PKT0_S8_S5_S5_PS3_: ; @_ZN2at6native12_GLOBAL__N_126LayerNormForwardCUDAKernelIddLb1EEEvlPKT_PKT0_S8_S5_S5_PS3_
; %bb.0:
	s_load_dwordx4 s[4:7], s[0:1], 0x0
	v_mov_b32_e32 v1, 0
	s_waitcnt lgkmcnt(0)
	v_cmp_gt_i64_e32 vcc, s[4:5], v[0:1]
	s_and_saveexec_b64 s[8:9], vcc
	s_cbranch_execz .LBB14_6
; %bb.1:
	s_load_dwordx4 s[8:11], s[0:1], 0x18
	s_load_dwordx2 s[16:17], s[0:1], 0x30
	s_load_dword s18, s[0:1], 0x44
	s_mov_b32 s3, 0
	s_mul_hi_u32 s19, s4, s2
	s_waitcnt lgkmcnt(0)
	s_cmp_lg_u64 s[10:11], 0
	s_cselect_b64 s[0:1], -1, 0
	s_lshl_b64 s[14:15], s[2:3], 3
	s_add_u32 s8, s8, s14
	s_addc_u32 s9, s9, s15
	s_and_b32 s14, s18, 0xffff
	s_mul_i32 s18, s5, s2
	s_add_i32 s19, s19, s18
	s_mul_i32 s18, s4, s2
	s_lshl_b64 s[18:19], s[18:19], 3
	s_add_u32 s6, s6, s18
	s_addc_u32 s7, s7, s19
	s_lshl_b32 s2, s14, 3
	s_add_u32 s16, s16, s18
	v_cndmask_b32_e64 v4, 0, 1, s[0:1]
	s_mov_b64 s[12:13], 0
	s_mov_b32 s15, s3
	v_lshlrev_b32_e32 v2, 3, v0
	v_mov_b32_e32 v3, v1
	s_addc_u32 s17, s17, s19
	v_cmp_ne_u32_e64 s[0:1], 1, v4
	v_mov_b64_e32 v[4:5], v[0:1]
	s_branch .LBB14_4
.LBB14_2:                               ;   in Loop: Header=BB14_4 Depth=1
	v_lshl_add_u64 v[6:7], s[10:11], 0, v[2:3]
	global_load_dwordx2 v[6:7], v[6:7], off
.LBB14_3:                               ;   in Loop: Header=BB14_4 Depth=1
	v_lshl_add_u64 v[8:9], s[6:7], 0, v[2:3]
	global_load_dwordx2 v[10:11], v1, s[8:9]
	global_load_dwordx2 v[12:13], v[8:9], off
	v_lshl_add_u64 v[4:5], v[4:5], 0, s[14:15]
	v_cmp_le_i64_e32 vcc, s[4:5], v[4:5]
	v_lshl_add_u64 v[8:9], s[16:17], 0, v[2:3]
	s_or_b64 s[12:13], vcc, s[12:13]
	v_lshl_add_u64 v[2:3], v[2:3], 0, s[2:3]
	s_waitcnt vmcnt(0)
	v_mul_f64 v[10:11], v[12:13], v[10:11]
	v_mul_f64 v[6:7], v[6:7], v[10:11]
	global_store_dwordx2 v[8:9], v[6:7], off
	s_andn2_b64 exec, exec, s[12:13]
	s_cbranch_execz .LBB14_6
.LBB14_4:                               ; =>This Inner Loop Header: Depth=1
	s_and_b64 vcc, exec, s[0:1]
	s_cbranch_vccz .LBB14_2
; %bb.5:                                ;   in Loop: Header=BB14_4 Depth=1
	v_mov_b64_e32 v[6:7], 1.0
	s_branch .LBB14_3
.LBB14_6:
	s_endpgm
	.section	.rodata,"a",@progbits
	.p2align	6, 0x0
	.amdhsa_kernel _ZN2at6native12_GLOBAL__N_126LayerNormForwardCUDAKernelIddLb1EEEvlPKT_PKT0_S8_S5_S5_PS3_
		.amdhsa_group_segment_fixed_size 0
		.amdhsa_private_segment_fixed_size 0
		.amdhsa_kernarg_size 312
		.amdhsa_user_sgpr_count 2
		.amdhsa_user_sgpr_dispatch_ptr 0
		.amdhsa_user_sgpr_queue_ptr 0
		.amdhsa_user_sgpr_kernarg_segment_ptr 1
		.amdhsa_user_sgpr_dispatch_id 0
		.amdhsa_user_sgpr_kernarg_preload_length 0
		.amdhsa_user_sgpr_kernarg_preload_offset 0
		.amdhsa_user_sgpr_private_segment_size 0
		.amdhsa_uses_dynamic_stack 0
		.amdhsa_enable_private_segment 0
		.amdhsa_system_sgpr_workgroup_id_x 1
		.amdhsa_system_sgpr_workgroup_id_y 0
		.amdhsa_system_sgpr_workgroup_id_z 0
		.amdhsa_system_sgpr_workgroup_info 0
		.amdhsa_system_vgpr_workitem_id 0
		.amdhsa_next_free_vgpr 14
		.amdhsa_next_free_sgpr 20
		.amdhsa_accum_offset 16
		.amdhsa_reserve_vcc 1
		.amdhsa_float_round_mode_32 0
		.amdhsa_float_round_mode_16_64 0
		.amdhsa_float_denorm_mode_32 3
		.amdhsa_float_denorm_mode_16_64 3
		.amdhsa_dx10_clamp 1
		.amdhsa_ieee_mode 1
		.amdhsa_fp16_overflow 0
		.amdhsa_tg_split 0
		.amdhsa_exception_fp_ieee_invalid_op 0
		.amdhsa_exception_fp_denorm_src 0
		.amdhsa_exception_fp_ieee_div_zero 0
		.amdhsa_exception_fp_ieee_overflow 0
		.amdhsa_exception_fp_ieee_underflow 0
		.amdhsa_exception_fp_ieee_inexact 0
		.amdhsa_exception_int_div_zero 0
	.end_amdhsa_kernel
	.section	.text._ZN2at6native12_GLOBAL__N_126LayerNormForwardCUDAKernelIddLb1EEEvlPKT_PKT0_S8_S5_S5_PS3_,"axG",@progbits,_ZN2at6native12_GLOBAL__N_126LayerNormForwardCUDAKernelIddLb1EEEvlPKT_PKT0_S8_S5_S5_PS3_,comdat
.Lfunc_end14:
	.size	_ZN2at6native12_GLOBAL__N_126LayerNormForwardCUDAKernelIddLb1EEEvlPKT_PKT0_S8_S5_S5_PS3_, .Lfunc_end14-_ZN2at6native12_GLOBAL__N_126LayerNormForwardCUDAKernelIddLb1EEEvlPKT_PKT0_S8_S5_S5_PS3_
                                        ; -- End function
	.section	.AMDGPU.csdata,"",@progbits
; Kernel info:
; codeLenInByte = 296
; NumSgprs: 26
; NumVgprs: 14
; NumAgprs: 0
; TotalNumVgprs: 14
; ScratchSize: 0
; MemoryBound: 0
; FloatMode: 240
; IeeeMode: 1
; LDSByteSize: 0 bytes/workgroup (compile time only)
; SGPRBlocks: 3
; VGPRBlocks: 1
; NumSGPRsForWavesPerEU: 26
; NumVGPRsForWavesPerEU: 14
; AccumOffset: 16
; Occupancy: 8
; WaveLimiterHint : 0
; COMPUTE_PGM_RSRC2:SCRATCH_EN: 0
; COMPUTE_PGM_RSRC2:USER_SGPR: 2
; COMPUTE_PGM_RSRC2:TRAP_HANDLER: 0
; COMPUTE_PGM_RSRC2:TGID_X_EN: 1
; COMPUTE_PGM_RSRC2:TGID_Y_EN: 0
; COMPUTE_PGM_RSRC2:TGID_Z_EN: 0
; COMPUTE_PGM_RSRC2:TIDIG_COMP_CNT: 0
; COMPUTE_PGM_RSRC3_GFX90A:ACCUM_OFFSET: 3
; COMPUTE_PGM_RSRC3_GFX90A:TG_SPLIT: 0
	.section	.text._ZN2at6native12_GLOBAL__N_128vectorized_layer_norm_kernelIffLb1EEEviT0_PKT_S6_S6_PS3_S7_PS4_,"axG",@progbits,_ZN2at6native12_GLOBAL__N_128vectorized_layer_norm_kernelIffLb1EEEviT0_PKT_S6_S6_PS3_S7_PS4_,comdat
	.globl	_ZN2at6native12_GLOBAL__N_128vectorized_layer_norm_kernelIffLb1EEEviT0_PKT_S6_S6_PS3_S7_PS4_ ; -- Begin function _ZN2at6native12_GLOBAL__N_128vectorized_layer_norm_kernelIffLb1EEEviT0_PKT_S6_S6_PS3_S7_PS4_
	.p2align	8
	.type	_ZN2at6native12_GLOBAL__N_128vectorized_layer_norm_kernelIffLb1EEEviT0_PKT_S6_S6_PS3_S7_PS4_,@function
_ZN2at6native12_GLOBAL__N_128vectorized_layer_norm_kernelIffLb1EEEviT0_PKT_S6_S6_PS3_S7_PS4_: ; @_ZN2at6native12_GLOBAL__N_128vectorized_layer_norm_kernelIffLb1EEEviT0_PKT_S6_S6_PS3_S7_PS4_
; %bb.0:
	s_load_dwordx4 s[12:15], s[0:1], 0x0
	s_load_dword s4, s[0:1], 0x44
	v_and_b32_e32 v2, 0x3ff, v0
	v_bfe_u32 v3, v0, 10, 10
	s_mov_b32 s3, 0
	s_waitcnt lgkmcnt(0)
	s_ashr_i32 s5, s12, 31
	s_lshr_b32 s20, s4, 16
	s_and_b32 s4, s4, 0xffff
	s_mul_i32 s16, s20, s4
	v_mul_u32_u24_e32 v0, s4, v3
	v_mad_u32_u24 v14, v3, s4, v2
	s_lshr_b32 s4, s5, 30
	s_add_i32 s4, s12, s4
	s_mul_hi_u32 s6, s12, s2
	s_mul_i32 s7, s5, s2
	s_ashr_i32 s28, s4, 2
	s_add_i32 s19, s6, s7
	s_mul_i32 s18, s12, s2
	v_cmp_gt_i32_e64 s[4:5], s28, v14
	v_mov_b32_e32 v9, 0
	v_add_lshl_u32 v8, v0, v2, 4
	s_and_saveexec_b64 s[6:7], s[4:5]
	s_cbranch_execz .LBB15_4
; %bb.1:
	s_lshl_b64 s[8:9], s[18:19], 2
	s_add_u32 s8, s14, s8
	v_mov_b32_e32 v9, 0
	s_addc_u32 s9, s15, s9
	v_lshl_add_u64 v[0:1], s[8:9], 0, v[8:9]
	s_ashr_i32 s17, s16, 31
	v_lshl_add_u64 v[0:1], v[0:1], 0, 8
	s_lshl_b64 s[10:11], s[16:17], 4
	s_mov_b64 s[8:9], 0
	v_mov_b32_e32 v4, v14
.LBB15_2:                               ; =>This Inner Loop Header: Depth=1
	global_load_dwordx4 v[10:13], v[0:1], off offset:-8
	v_add_u32_e32 v4, s16, v4
	v_cmp_le_i32_e32 vcc, s28, v4
	v_lshl_add_u64 v[0:1], v[0:1], 0, s[10:11]
	s_or_b64 s[8:9], vcc, s[8:9]
	s_waitcnt vmcnt(0)
	v_fmac_f32_e32 v9, v10, v10
	v_fmac_f32_e32 v9, v11, v11
	;; [unrolled: 1-line block ×4, first 2 shown]
	s_andn2_b64 exec, exec, s[8:9]
	s_cbranch_execnz .LBB15_2
; %bb.3:
	s_or_b64 exec, exec, s[8:9]
.LBB15_4:
	s_or_b64 exec, exec, s[6:7]
	v_mbcnt_lo_u32_b32 v0, -1, 0
	v_mbcnt_hi_u32_b32 v1, -1, v0
	v_and_b32_e32 v0, 63, v1
	v_cmp_gt_u32_e32 vcc, 32, v0
	s_cmp_lt_u32 s20, 2
	s_nop 0
	v_cndmask_b32_e64 v4, 0, 1, vcc
	v_lshlrev_b32_e32 v4, 5, v4
	v_add_lshl_u32 v4, v4, v1, 2
	ds_bpermute_b32 v4, v4, v9
	v_cmp_gt_u32_e32 vcc, 48, v0
	s_waitcnt lgkmcnt(0)
	v_add_f32_e32 v4, v9, v4
	v_cndmask_b32_e64 v5, 0, 1, vcc
	v_lshlrev_b32_e32 v5, 4, v5
	v_add_lshl_u32 v5, v5, v1, 2
	ds_bpermute_b32 v5, v5, v4
	v_cmp_gt_u32_e32 vcc, 56, v0
	s_waitcnt lgkmcnt(0)
	v_add_f32_e32 v4, v4, v5
	v_cndmask_b32_e64 v6, 0, 1, vcc
	v_lshlrev_b32_e32 v6, 3, v6
	v_add_lshl_u32 v5, v6, v1, 2
	ds_bpermute_b32 v5, v5, v4
	v_cmp_gt_u32_e32 vcc, 60, v0
	s_waitcnt lgkmcnt(0)
	v_add_f32_e32 v4, v4, v5
	v_cndmask_b32_e64 v6, 0, 1, vcc
	v_lshlrev_b32_e32 v6, 2, v6
	v_add_lshl_u32 v5, v6, v1, 2
	ds_bpermute_b32 v5, v5, v4
	v_cmp_gt_u32_e32 vcc, 62, v0
	s_waitcnt lgkmcnt(0)
	v_add_f32_e32 v4, v4, v5
	v_cndmask_b32_e64 v6, 0, 1, vcc
	v_lshlrev_b32_e32 v6, 1, v6
	v_add_lshl_u32 v5, v6, v1, 2
	ds_bpermute_b32 v5, v5, v4
	v_cmp_ne_u32_e32 vcc, 63, v0
	s_waitcnt lgkmcnt(0)
	v_add_f32_e32 v4, v4, v5
	v_addc_co_u32_e32 v0, vcc, 0, v1, vcc
	v_lshlrev_b32_e32 v0, 2, v0
	ds_bpermute_b32 v0, v0, v4
	s_waitcnt lgkmcnt(0)
	v_add_f32_e32 v0, v4, v0
	s_cbranch_scc0 .LBB15_6
; %bb.5:
	v_lshlrev_b32_e32 v1, 2, v1
	v_and_b32_e32 v1, 0x100, v1
	ds_bpermute_b32 v4, v1, v0
	v_cvt_f32_i32_e32 v5, s12
	v_mov_b32_e32 v6, 0
	ds_bpermute_b32 v10, v1, v6
	s_waitcnt lgkmcnt(1)
	v_div_scale_f32 v7, s[6:7], v5, v5, v4
	v_rcp_f32_e32 v9, v7
	v_div_scale_f32 v1, vcc, v4, v5, v4
	v_fma_f32 v6, -v7, v9, 1.0
	v_fmac_f32_e32 v9, v6, v9
	v_mul_f32_e32 v6, v1, v9
	v_fma_f32 v11, -v7, v6, v1
	v_fmac_f32_e32 v6, v11, v9
	v_fma_f32 v1, -v7, v6, v1
	v_div_fmas_f32 v1, v1, v9, v6
	v_div_fixup_f32 v11, v1, v5, v4
	s_cbranch_execz .LBB15_7
	s_branch .LBB15_17
.LBB15_6:
                                        ; implicit-def: $vgpr10_vgpr11
.LBB15_7:
	s_lshl_b32 s6, s20, 2
	s_add_i32 s10, s6, 0
	v_cmp_eq_u32_e32 vcc, 0, v2
	v_mov_b32_e32 v1, 0
	v_lshl_add_u32 v4, v3, 3, 0
.LBB15_8:                               ; =>This Inner Loop Header: Depth=1
	s_lshr_b32 s11, s20, 1
	s_and_b32 s8, s20, 0xfffe
	v_cmp_le_u32_e64 s[6:7], s11, v3
	v_cmp_gt_u32_e64 s[8:9], s8, v3
	s_and_b64 s[6:7], s[6:7], s[8:9]
	s_and_b64 s[8:9], vcc, s[6:7]
	s_and_saveexec_b64 s[6:7], s[8:9]
	s_cbranch_execz .LBB15_10
; %bb.9:                                ;   in Loop: Header=BB15_8 Depth=1
	v_subrev_u32_e32 v5, s11, v3
	v_lshl_add_u32 v6, v5, 3, 0
	v_lshl_add_u32 v5, v5, 2, s10
	ds_write2_b32 v6, v1, v0 offset1:1
	ds_write_b32 v5, v1
.LBB15_10:                              ;   in Loop: Header=BB15_8 Depth=1
	s_or_b64 exec, exec, s[6:7]
	v_cmp_gt_u32_e64 s[6:7], s11, v3
	s_and_b64 s[8:9], vcc, s[6:7]
	s_waitcnt lgkmcnt(0)
	s_barrier
	s_and_saveexec_b64 s[6:7], s[8:9]
	s_cbranch_execz .LBB15_12
; %bb.11:                               ;   in Loop: Header=BB15_8 Depth=1
	ds_read_b32 v5, v4 offset:4
	s_waitcnt lgkmcnt(0)
	v_add_f32_e32 v0, v0, v5
.LBB15_12:                              ;   in Loop: Header=BB15_8 Depth=1
	s_or_b64 exec, exec, s[6:7]
	s_cmp_lt_u32 s20, 4
	s_barrier
	s_cbranch_scc1 .LBB15_14
; %bb.13:                               ;   in Loop: Header=BB15_8 Depth=1
	s_mov_b32 s20, s11
	s_branch .LBB15_8
.LBB15_14:
	v_or_b32_e32 v1, v2, v3
	v_cmp_eq_u32_e32 vcc, 0, v1
	s_and_saveexec_b64 s[6:7], vcc
	s_cbranch_execz .LBB15_16
; %bb.15:
	v_cvt_f32_i32_e32 v1, s12
	v_div_scale_f32 v2, s[8:9], v1, v1, v0
	v_rcp_f32_e32 v3, v2
	v_div_scale_f32 v4, vcc, v0, v1, v0
	v_fma_f32 v5, -v2, v3, 1.0
	v_fmac_f32_e32 v3, v5, v3
	v_mul_f32_e32 v5, v4, v3
	v_fma_f32 v6, -v2, v5, v4
	v_fmac_f32_e32 v5, v6, v3
	v_fma_f32 v2, -v2, v5, v4
	v_div_fmas_f32 v2, v2, v3, v5
	v_div_fixup_f32 v0, v2, v1, v0
	v_mov_b32_e32 v1, 0
	ds_write2_b32 v1, v1, v0 offset1:1
.LBB15_16:
	s_or_b64 exec, exec, s[6:7]
	v_mov_b32_e32 v0, 0
	s_waitcnt lgkmcnt(0)
	s_barrier
	ds_read2_b32 v[10:11], v0 offset1:1
.LBB15_17:
	s_waitcnt lgkmcnt(0)
	v_add_f32_e32 v0, s13, v11
	s_mov_b32 s6, 0x800000
	v_mul_f32_e32 v1, 0x4b800000, v0
	v_cmp_gt_f32_e32 vcc, s6, v0
	s_load_dwordx4 s[8:11], s[0:1], 0x28
	s_nop 0
	v_cndmask_b32_e32 v0, v0, v1, vcc
	v_rsq_f32_e32 v0, v0
	s_nop 0
	v_mul_f32_e32 v1, 0x45800000, v0
	v_cndmask_b32_e32 v12, v0, v1, vcc
	s_and_saveexec_b64 s[12:13], s[4:5]
	s_cbranch_execz .LBB15_32
; %bb.18:
	s_load_dwordx4 s[4:7], s[0:1], 0x10
	s_mov_b64 s[20:21], 0
	v_mov_b32_e32 v13, v12
	v_mov_b32_e32 v11, v10
	;; [unrolled: 1-line block ×3, first 2 shown]
	s_waitcnt lgkmcnt(0)
	s_cmp_eq_u64 s[4:5], 0
	s_cselect_b64 s[22:23], -1, 0
	s_cmp_eq_u64 s[6:7], 0
	s_cselect_b64 s[0:1], -1, 0
	s_lshl_b64 s[26:27], s[18:19], 2
	s_add_u32 s10, s10, s26
	s_addc_u32 s11, s11, s27
	s_ashr_i32 s17, s16, 31
	s_or_b64 s[18:19], s[22:23], s[0:1]
	s_lshl_b64 s[24:25], s[16:17], 4
	v_cndmask_b32_e64 v0, 0, 1, s[0:1]
	s_add_u32 s0, s26, s14
	s_addc_u32 s1, s27, s15
	s_add_u32 s14, s0, 8
	s_addc_u32 s15, s1, 0
	;; [unrolled: 2-line block ×3, first 2 shown]
	v_cmp_ne_u32_e64 s[0:1], 1, v0
	v_mov_b32_e32 v15, v14
	s_branch .LBB15_20
.LBB15_19:                              ;   in Loop: Header=BB15_20 Depth=1
	v_add_u32_e32 v15, s16, v15
	v_cmp_le_i32_e32 vcc, s28, v15
	s_waitcnt vmcnt(0)
	v_lshl_add_u64 v[0:1], s[10:11], 0, v[8:9]
	s_or_b64 s[20:21], vcc, s[20:21]
	v_lshl_add_u64 v[8:9], v[8:9], 0, s[24:25]
	global_store_dwordx4 v[0:1], v[4:7], off
	s_andn2_b64 exec, exec, s[20:21]
	s_cbranch_execz .LBB15_32
.LBB15_20:                              ; =>This Inner Loop Header: Depth=1
	v_lshl_add_u64 v[0:1], s[14:15], 0, v[8:9]
	global_load_dwordx4 v[0:3], v[0:1], off offset:-8
	s_and_b64 vcc, exec, s[18:19]
	s_cbranch_vccz .LBB15_24
; %bb.21:                               ;   in Loop: Header=BB15_20 Depth=1
	s_and_b64 vcc, exec, s[22:23]
	s_cbranch_vccz .LBB15_25
; %bb.22:                               ;   in Loop: Header=BB15_20 Depth=1
	s_and_b64 vcc, exec, s[0:1]
	s_cbranch_vccnz .LBB15_26
; %bb.23:                               ;   in Loop: Header=BB15_20 Depth=1
	s_waitcnt vmcnt(0)
	v_pk_mul_f32 v[4:5], v[12:13], v[0:1]
	v_pk_mul_f32 v[6:7], v[12:13], v[2:3]
	s_cbranch_execz .LBB15_27
	s_branch .LBB15_28
.LBB15_24:                              ;   in Loop: Header=BB15_20 Depth=1
                                        ; implicit-def: $vgpr6_vgpr7
	s_branch .LBB15_31
.LBB15_25:                              ;   in Loop: Header=BB15_20 Depth=1
                                        ; implicit-def: $vgpr6_vgpr7
	s_branch .LBB15_29
.LBB15_26:                              ;   in Loop: Header=BB15_20 Depth=1
                                        ; implicit-def: $vgpr6_vgpr7
.LBB15_27:                              ;   in Loop: Header=BB15_20 Depth=1
	v_lshl_add_u64 v[4:5], s[6:7], 0, v[8:9]
	global_load_dwordx4 v[4:7], v[4:5], off
	s_waitcnt vmcnt(1)
	v_pk_add_f32 v[16:17], v[0:1], v[10:11] neg_lo:[0,1] neg_hi:[0,1]
	v_pk_add_f32 v[18:19], v[2:3], v[10:11] neg_lo:[0,1] neg_hi:[0,1]
	s_waitcnt vmcnt(0)
	v_pk_fma_f32 v[4:5], v[12:13], v[16:17], v[4:5]
	v_pk_fma_f32 v[6:7], v[12:13], v[18:19], v[6:7]
.LBB15_28:                              ;   in Loop: Header=BB15_20 Depth=1
	s_cbranch_execnz .LBB15_30
.LBB15_29:                              ;   in Loop: Header=BB15_20 Depth=1
	v_lshl_add_u64 v[4:5], s[4:5], 0, v[8:9]
	global_load_dwordx4 v[4:7], v[4:5], off offset:-8
	s_waitcnt vmcnt(1)
	v_pk_mul_f32 v[16:17], v[12:13], v[0:1]
	v_pk_mul_f32 v[18:19], v[12:13], v[2:3]
	s_waitcnt vmcnt(0)
	v_pk_mul_f32 v[4:5], v[16:17], v[4:5]
	v_pk_mul_f32 v[6:7], v[18:19], v[6:7]
.LBB15_30:                              ;   in Loop: Header=BB15_20 Depth=1
	s_cbranch_execnz .LBB15_19
.LBB15_31:                              ;   in Loop: Header=BB15_20 Depth=1
	v_lshl_add_u64 v[4:5], s[4:5], 0, v[8:9]
	global_load_dwordx4 v[4:7], v[4:5], off offset:-8
	s_waitcnt vmcnt(1)
	v_pk_mul_f32 v[0:1], v[12:13], v[0:1]
	v_pk_mul_f32 v[2:3], v[12:13], v[2:3]
	s_waitcnt vmcnt(0)
	v_pk_mul_f32 v[4:5], v[0:1], v[4:5]
	v_pk_mul_f32 v[6:7], v[2:3], v[6:7]
	s_branch .LBB15_19
.LBB15_32:
	s_or_b64 exec, exec, s[12:13]
	v_cmp_eq_u32_e32 vcc, 0, v14
	s_and_saveexec_b64 s[0:1], vcc
	s_cbranch_execz .LBB15_34
; %bb.33:
	s_lshl_b64 s[0:1], s[2:3], 2
	s_waitcnt lgkmcnt(0)
	s_add_u32 s0, s8, s0
	s_addc_u32 s1, s9, s1
	v_mov_b32_e32 v0, 0
	global_store_dword v0, v12, s[0:1]
.LBB15_34:
	s_endpgm
	.section	.rodata,"a",@progbits
	.p2align	6, 0x0
	.amdhsa_kernel _ZN2at6native12_GLOBAL__N_128vectorized_layer_norm_kernelIffLb1EEEviT0_PKT_S6_S6_PS3_S7_PS4_
		.amdhsa_group_segment_fixed_size 0
		.amdhsa_private_segment_fixed_size 0
		.amdhsa_kernarg_size 312
		.amdhsa_user_sgpr_count 2
		.amdhsa_user_sgpr_dispatch_ptr 0
		.amdhsa_user_sgpr_queue_ptr 0
		.amdhsa_user_sgpr_kernarg_segment_ptr 1
		.amdhsa_user_sgpr_dispatch_id 0
		.amdhsa_user_sgpr_kernarg_preload_length 0
		.amdhsa_user_sgpr_kernarg_preload_offset 0
		.amdhsa_user_sgpr_private_segment_size 0
		.amdhsa_uses_dynamic_stack 0
		.amdhsa_enable_private_segment 0
		.amdhsa_system_sgpr_workgroup_id_x 1
		.amdhsa_system_sgpr_workgroup_id_y 0
		.amdhsa_system_sgpr_workgroup_id_z 0
		.amdhsa_system_sgpr_workgroup_info 0
		.amdhsa_system_vgpr_workitem_id 1
		.amdhsa_next_free_vgpr 20
		.amdhsa_next_free_sgpr 29
		.amdhsa_accum_offset 20
		.amdhsa_reserve_vcc 1
		.amdhsa_float_round_mode_32 0
		.amdhsa_float_round_mode_16_64 0
		.amdhsa_float_denorm_mode_32 3
		.amdhsa_float_denorm_mode_16_64 3
		.amdhsa_dx10_clamp 1
		.amdhsa_ieee_mode 1
		.amdhsa_fp16_overflow 0
		.amdhsa_tg_split 0
		.amdhsa_exception_fp_ieee_invalid_op 0
		.amdhsa_exception_fp_denorm_src 0
		.amdhsa_exception_fp_ieee_div_zero 0
		.amdhsa_exception_fp_ieee_overflow 0
		.amdhsa_exception_fp_ieee_underflow 0
		.amdhsa_exception_fp_ieee_inexact 0
		.amdhsa_exception_int_div_zero 0
	.end_amdhsa_kernel
	.section	.text._ZN2at6native12_GLOBAL__N_128vectorized_layer_norm_kernelIffLb1EEEviT0_PKT_S6_S6_PS3_S7_PS4_,"axG",@progbits,_ZN2at6native12_GLOBAL__N_128vectorized_layer_norm_kernelIffLb1EEEviT0_PKT_S6_S6_PS3_S7_PS4_,comdat
.Lfunc_end15:
	.size	_ZN2at6native12_GLOBAL__N_128vectorized_layer_norm_kernelIffLb1EEEviT0_PKT_S6_S6_PS3_S7_PS4_, .Lfunc_end15-_ZN2at6native12_GLOBAL__N_128vectorized_layer_norm_kernelIffLb1EEEviT0_PKT_S6_S6_PS3_S7_PS4_
                                        ; -- End function
	.section	.AMDGPU.csdata,"",@progbits
; Kernel info:
; codeLenInByte = 1464
; NumSgprs: 35
; NumVgprs: 20
; NumAgprs: 0
; TotalNumVgprs: 20
; ScratchSize: 0
; MemoryBound: 0
; FloatMode: 240
; IeeeMode: 1
; LDSByteSize: 0 bytes/workgroup (compile time only)
; SGPRBlocks: 4
; VGPRBlocks: 2
; NumSGPRsForWavesPerEU: 35
; NumVGPRsForWavesPerEU: 20
; AccumOffset: 20
; Occupancy: 8
; WaveLimiterHint : 0
; COMPUTE_PGM_RSRC2:SCRATCH_EN: 0
; COMPUTE_PGM_RSRC2:USER_SGPR: 2
; COMPUTE_PGM_RSRC2:TRAP_HANDLER: 0
; COMPUTE_PGM_RSRC2:TGID_X_EN: 1
; COMPUTE_PGM_RSRC2:TGID_Y_EN: 0
; COMPUTE_PGM_RSRC2:TGID_Z_EN: 0
; COMPUTE_PGM_RSRC2:TIDIG_COMP_CNT: 1
; COMPUTE_PGM_RSRC3_GFX90A:ACCUM_OFFSET: 4
; COMPUTE_PGM_RSRC3_GFX90A:TG_SPLIT: 0
	.section	.text._ZN2at6native12_GLOBAL__N_124RowwiseMomentsCUDAKernelIffLb1EEEvlT0_PKT_PS3_S7_,"axG",@progbits,_ZN2at6native12_GLOBAL__N_124RowwiseMomentsCUDAKernelIffLb1EEEvlT0_PKT_PS3_S7_,comdat
	.globl	_ZN2at6native12_GLOBAL__N_124RowwiseMomentsCUDAKernelIffLb1EEEvlT0_PKT_PS3_S7_ ; -- Begin function _ZN2at6native12_GLOBAL__N_124RowwiseMomentsCUDAKernelIffLb1EEEvlT0_PKT_PS3_S7_
	.p2align	8
	.type	_ZN2at6native12_GLOBAL__N_124RowwiseMomentsCUDAKernelIffLb1EEEvlT0_PKT_PS3_S7_,@function
_ZN2at6native12_GLOBAL__N_124RowwiseMomentsCUDAKernelIffLb1EEEvlT0_PKT_PS3_S7_: ; @_ZN2at6native12_GLOBAL__N_124RowwiseMomentsCUDAKernelIffLb1EEEvlT0_PKT_PS3_S7_
; %bb.0:
	s_load_dwordx2 s[4:5], s[0:1], 0x0
	s_mov_b32 s3, 0
	v_mov_b32_e32 v1, 0
	s_mov_b32 s6, s3
	s_mov_b32 s7, s3
	s_waitcnt lgkmcnt(0)
	v_cmp_gt_i64_e32 vcc, s[4:5], v[0:1]
	v_mov_b64_e32 v[2:3], s[6:7]
	v_mov_b64_e32 v[4:5], 0
	s_and_saveexec_b64 s[6:7], vcc
	s_cbranch_execz .LBB16_4
; %bb.1:
	s_load_dword s8, s[0:1], 0x34
	s_load_dwordx2 s[10:11], s[0:1], 0x10
	s_mul_i32 s12, s5, s2
	s_mul_hi_u32 s13, s4, s2
	s_add_i32 s13, s13, s12
	s_mul_i32 s12, s4, s2
	s_waitcnt lgkmcnt(0)
	s_and_b32 s8, s8, 0xffff
	s_lshl_b64 s[12:13], s[12:13], 2
	s_add_u32 s10, s10, s12
	v_lshlrev_b32_e32 v6, 2, v0
	v_mov_b32_e32 v7, 0
	s_addc_u32 s11, s11, s13
	s_mov_b32 s9, s3
	v_lshl_add_u64 v[8:9], s[10:11], 0, v[6:7]
	s_lshl_b32 s10, s8, 2
	s_mov_b32 s11, s3
	s_mov_b64 s[12:13], 0
	v_mov_b64_e32 v[10:11], v[0:1]
	s_mov_b64 s[14:15], 0
	v_mov_b32_e32 v3, v7
.LBB16_2:                               ; =>This Inner Loop Header: Depth=1
	global_load_dword v2, v[8:9], off
	s_add_u32 s14, s14, 1
	s_addc_u32 s15, s15, 0
	s_flbit_i32_b32 s16, s15
	s_min_u32 s18, s16, 32
	s_lshl_b64 s[16:17], s[14:15], s18
	s_min_u32 s16, s16, 1
	s_or_b32 s16, s17, s16
	v_cvt_f32_u32_e32 v1, s16
	s_sub_i32 s18, 32, s18
	v_lshl_add_u64 v[10:11], v[10:11], 0, s[8:9]
	v_cmp_le_i64_e32 vcc, s[4:5], v[10:11]
	v_ldexp_f32 v1, v1, s18
	s_or_b64 s[12:13], vcc, s[12:13]
	v_lshl_add_u64 v[8:9], v[8:9], 0, s[10:11]
	v_mov_b64_e32 v[4:5], s[14:15]
	s_waitcnt vmcnt(0)
	v_sub_f32_e32 v6, v2, v3
	v_div_scale_f32 v12, s[16:17], v1, v1, v6
	v_rcp_f32_e32 v13, v12
	v_div_scale_f32 v14, vcc, v6, v1, v6
	v_fma_f32 v15, -v12, v13, 1.0
	v_fmac_f32_e32 v13, v15, v13
	v_mul_f32_e32 v15, v14, v13
	v_fma_f32 v16, -v12, v15, v14
	v_fmac_f32_e32 v15, v16, v13
	v_fma_f32 v12, -v12, v15, v14
	v_div_fmas_f32 v12, v12, v13, v15
	v_div_fixup_f32 v12, v12, v1, v6
	v_add_f32_e32 v3, v3, v12
	v_sub_f32_e32 v2, v2, v3
	v_fmac_f32_e32 v7, v6, v2
	s_andn2_b64 exec, exec, s[12:13]
	s_cbranch_execnz .LBB16_2
; %bb.3:
	s_or_b64 exec, exec, s[12:13]
	v_mov_b32_e32 v2, v7
.LBB16_4:
	s_or_b64 exec, exec, s[6:7]
	v_mbcnt_lo_u32_b32 v6, -1, 0
	v_mbcnt_hi_u32_b32 v14, -1, v6
	v_and_b32_e32 v15, 63, v14
	v_cmp_gt_u32_e32 vcc, 32, v15
	s_nop 1
	v_cndmask_b32_e64 v6, 0, 1, vcc
	v_lshlrev_b32_e32 v6, 5, v6
	v_add_lshl_u32 v10, v6, v14, 2
	ds_bpermute_b32 v7, v10, v3
	ds_bpermute_b32 v6, v10, v2
	;; [unrolled: 1-line block ×5, first 2 shown]
	v_cmp_neq_f32_e32 vcc, 0, v1
	s_and_saveexec_b64 s[4:5], vcc
	s_xor_b64 s[4:5], exec, s[4:5]
	s_cbranch_execz .LBB16_8
; %bb.5:
	s_waitcnt lgkmcnt(0)
	v_cmp_neq_f32_e32 vcc, 0, v11
	s_and_saveexec_b64 s[6:7], vcc
	s_cbranch_execz .LBB16_7
; %bb.6:
	v_add_f32_e32 v9, v1, v11
	v_div_scale_f32 v8, s[8:9], v9, v9, v11
	v_rcp_f32_e32 v12, v8
	v_pk_add_f32 v[4:5], v[6:7], v[2:3] neg_lo:[0,1] neg_hi:[0,1]
	v_pk_add_f32 v[6:7], v[2:3], v[6:7]
	v_mul_f32_e32 v2, v5, v5
	v_fma_f32 v4, -v8, v12, 1.0
	v_fmac_f32_e32 v12, v4, v12
	v_div_scale_f32 v4, vcc, v11, v9, v11
	v_mul_f32_e32 v13, v4, v12
	v_fma_f32 v16, -v8, v13, v4
	v_fmac_f32_e32 v13, v16, v12
	v_fma_f32 v4, -v8, v13, v4
	v_div_fmas_f32 v4, v4, v12, v13
	v_div_fixup_f32 v8, v4, v9, v11
	v_mul_f32_e32 v4, v1, v2
	v_mov_b32_e32 v7, v3
	v_pk_fma_f32 v[2:3], v[4:5], v[8:9], v[6:7] op_sel_hi:[1,0,1]
	v_mov_b64_e32 v[4:5], -1
	v_mov_b32_e32 v1, v9
.LBB16_7:
	s_or_b64 exec, exec, s[6:7]
                                        ; implicit-def: $vgpr6_vgpr7
                                        ; implicit-def: $vgpr8
                                        ; implicit-def: $vgpr11
.LBB16_8:
	s_andn2_saveexec_b64 s[4:5], s[4:5]
	s_cbranch_execz .LBB16_10
; %bb.9:
	s_waitcnt lgkmcnt(0)
	v_mov_b32_e32 v1, v11
	v_mov_b64_e32 v[4:5], v[8:9]
	v_mov_b64_e32 v[2:3], v[6:7]
.LBB16_10:
	s_or_b64 exec, exec, s[4:5]
	v_cmp_gt_u32_e32 vcc, 48, v15
	s_waitcnt lgkmcnt(3)
	s_nop 0
	v_cndmask_b32_e64 v6, 0, 1, vcc
	v_lshlrev_b32_e32 v6, 4, v6
	s_waitcnt lgkmcnt(0)
	v_add_lshl_u32 v11, v6, v14, 2
	ds_bpermute_b32 v7, v11, v3
	ds_bpermute_b32 v6, v11, v2
	;; [unrolled: 1-line block ×5, first 2 shown]
	v_cmp_neq_f32_e32 vcc, 0, v1
	s_and_saveexec_b64 s[4:5], vcc
	s_xor_b64 s[4:5], exec, s[4:5]
	s_cbranch_execz .LBB16_14
; %bb.11:
	s_waitcnt lgkmcnt(0)
	v_cmp_neq_f32_e32 vcc, 0, v12
	s_and_saveexec_b64 s[6:7], vcc
	s_cbranch_execz .LBB16_13
; %bb.12:
	v_add_f32_e32 v9, v1, v12
	v_div_scale_f32 v8, s[8:9], v9, v9, v12
	v_rcp_f32_e32 v13, v8
	v_pk_add_f32 v[4:5], v[6:7], v[2:3] neg_lo:[0,1] neg_hi:[0,1]
	v_pk_add_f32 v[6:7], v[2:3], v[6:7]
	v_mul_f32_e32 v2, v5, v5
	v_fma_f32 v4, -v8, v13, 1.0
	v_fmac_f32_e32 v13, v4, v13
	v_div_scale_f32 v4, vcc, v12, v9, v12
	v_mul_f32_e32 v16, v4, v13
	v_fma_f32 v17, -v8, v16, v4
	v_fmac_f32_e32 v16, v17, v13
	v_fma_f32 v4, -v8, v16, v4
	v_div_fmas_f32 v4, v4, v13, v16
	v_div_fixup_f32 v8, v4, v9, v12
	v_mul_f32_e32 v4, v1, v2
	v_mov_b32_e32 v7, v3
	v_pk_fma_f32 v[2:3], v[4:5], v[8:9], v[6:7] op_sel_hi:[1,0,1]
	v_mov_b64_e32 v[4:5], -1
	v_mov_b32_e32 v1, v9
.LBB16_13:
	s_or_b64 exec, exec, s[6:7]
                                        ; implicit-def: $vgpr6_vgpr7
                                        ; implicit-def: $vgpr8
                                        ; implicit-def: $vgpr12
.LBB16_14:
	s_andn2_saveexec_b64 s[4:5], s[4:5]
	s_cbranch_execz .LBB16_16
; %bb.15:
	s_waitcnt lgkmcnt(0)
	v_mov_b32_e32 v1, v12
	v_mov_b64_e32 v[4:5], v[8:9]
	v_mov_b64_e32 v[2:3], v[6:7]
.LBB16_16:
	s_or_b64 exec, exec, s[4:5]
	v_cmp_gt_u32_e32 vcc, 56, v15
	s_waitcnt lgkmcnt(3)
	s_nop 0
	v_cndmask_b32_e64 v6, 0, 1, vcc
	v_lshlrev_b32_e32 v6, 3, v6
	s_waitcnt lgkmcnt(0)
	v_add_lshl_u32 v12, v6, v14, 2
	ds_bpermute_b32 v7, v12, v3
	ds_bpermute_b32 v6, v12, v2
	;; [unrolled: 1-line block ×5, first 2 shown]
	v_cmp_neq_f32_e32 vcc, 0, v1
	s_and_saveexec_b64 s[4:5], vcc
	s_xor_b64 s[4:5], exec, s[4:5]
	s_cbranch_execz .LBB16_20
; %bb.17:
	s_waitcnt lgkmcnt(0)
	v_cmp_neq_f32_e32 vcc, 0, v13
	s_and_saveexec_b64 s[6:7], vcc
	s_cbranch_execz .LBB16_19
; %bb.18:
	v_add_f32_e32 v9, v1, v13
	v_div_scale_f32 v8, s[8:9], v9, v9, v13
	v_rcp_f32_e32 v16, v8
	v_pk_add_f32 v[4:5], v[6:7], v[2:3] neg_lo:[0,1] neg_hi:[0,1]
	v_pk_add_f32 v[6:7], v[2:3], v[6:7]
	v_mul_f32_e32 v2, v5, v5
	v_fma_f32 v4, -v8, v16, 1.0
	v_fmac_f32_e32 v16, v4, v16
	v_div_scale_f32 v4, vcc, v13, v9, v13
	v_mul_f32_e32 v17, v4, v16
	v_fma_f32 v18, -v8, v17, v4
	v_fmac_f32_e32 v17, v18, v16
	v_fma_f32 v4, -v8, v17, v4
	v_div_fmas_f32 v4, v4, v16, v17
	v_div_fixup_f32 v8, v4, v9, v13
	v_mul_f32_e32 v4, v1, v2
	v_mov_b32_e32 v7, v3
	v_pk_fma_f32 v[2:3], v[4:5], v[8:9], v[6:7] op_sel_hi:[1,0,1]
	v_mov_b64_e32 v[4:5], -1
	v_mov_b32_e32 v1, v9
.LBB16_19:
	s_or_b64 exec, exec, s[6:7]
                                        ; implicit-def: $vgpr6_vgpr7
                                        ; implicit-def: $vgpr8
                                        ; implicit-def: $vgpr13
.LBB16_20:
	s_andn2_saveexec_b64 s[4:5], s[4:5]
	s_cbranch_execz .LBB16_22
; %bb.21:
	s_waitcnt lgkmcnt(0)
	v_mov_b32_e32 v1, v13
	v_mov_b64_e32 v[4:5], v[8:9]
	v_mov_b64_e32 v[2:3], v[6:7]
.LBB16_22:
	s_or_b64 exec, exec, s[4:5]
	v_cmp_gt_u32_e32 vcc, 60, v15
	s_waitcnt lgkmcnt(3)
	s_nop 0
	v_cndmask_b32_e64 v6, 0, 1, vcc
	v_lshlrev_b32_e32 v6, 2, v6
	s_waitcnt lgkmcnt(0)
	v_add_lshl_u32 v13, v6, v14, 2
	ds_bpermute_b32 v7, v13, v3
	ds_bpermute_b32 v6, v13, v2
	;; [unrolled: 1-line block ×5, first 2 shown]
	v_cmp_neq_f32_e32 vcc, 0, v1
	s_and_saveexec_b64 s[4:5], vcc
	s_xor_b64 s[4:5], exec, s[4:5]
	s_cbranch_execz .LBB16_26
; %bb.23:
	s_waitcnt lgkmcnt(0)
	v_cmp_neq_f32_e32 vcc, 0, v16
	s_and_saveexec_b64 s[6:7], vcc
	s_cbranch_execz .LBB16_25
; %bb.24:
	v_add_f32_e32 v9, v1, v16
	v_div_scale_f32 v8, s[8:9], v9, v9, v16
	v_rcp_f32_e32 v17, v8
	v_pk_add_f32 v[4:5], v[6:7], v[2:3] neg_lo:[0,1] neg_hi:[0,1]
	v_pk_add_f32 v[6:7], v[2:3], v[6:7]
	v_mul_f32_e32 v2, v5, v5
	v_fma_f32 v4, -v8, v17, 1.0
	v_fmac_f32_e32 v17, v4, v17
	v_div_scale_f32 v4, vcc, v16, v9, v16
	v_mul_f32_e32 v18, v4, v17
	v_fma_f32 v19, -v8, v18, v4
	v_fmac_f32_e32 v18, v19, v17
	v_fma_f32 v4, -v8, v18, v4
	v_div_fmas_f32 v4, v4, v17, v18
	v_div_fixup_f32 v8, v4, v9, v16
	v_mul_f32_e32 v4, v1, v2
	v_mov_b32_e32 v7, v3
	v_pk_fma_f32 v[2:3], v[4:5], v[8:9], v[6:7] op_sel_hi:[1,0,1]
	v_mov_b64_e32 v[4:5], -1
	v_mov_b32_e32 v1, v9
.LBB16_25:
	s_or_b64 exec, exec, s[6:7]
                                        ; implicit-def: $vgpr6_vgpr7
                                        ; implicit-def: $vgpr8
                                        ; implicit-def: $vgpr16
.LBB16_26:
	s_andn2_saveexec_b64 s[4:5], s[4:5]
	s_cbranch_execz .LBB16_28
; %bb.27:
	s_waitcnt lgkmcnt(0)
	v_mov_b32_e32 v1, v16
	v_mov_b64_e32 v[4:5], v[8:9]
	v_mov_b64_e32 v[2:3], v[6:7]
.LBB16_28:
	s_or_b64 exec, exec, s[4:5]
	v_cmp_gt_u32_e32 vcc, 62, v15
	s_waitcnt lgkmcnt(3)
	s_nop 0
	v_cndmask_b32_e64 v6, 0, 1, vcc
	v_lshlrev_b32_e32 v6, 1, v6
	s_waitcnt lgkmcnt(0)
	v_add_lshl_u32 v16, v6, v14, 2
	ds_bpermute_b32 v7, v16, v3
	ds_bpermute_b32 v6, v16, v2
	;; [unrolled: 1-line block ×5, first 2 shown]
	v_cmp_neq_f32_e32 vcc, 0, v1
	s_and_saveexec_b64 s[4:5], vcc
	s_xor_b64 s[4:5], exec, s[4:5]
	s_cbranch_execz .LBB16_32
; %bb.29:
	s_waitcnt lgkmcnt(0)
	v_cmp_neq_f32_e32 vcc, 0, v17
	s_and_saveexec_b64 s[6:7], vcc
	s_cbranch_execz .LBB16_31
; %bb.30:
	v_add_f32_e32 v9, v1, v17
	v_div_scale_f32 v8, s[8:9], v9, v9, v17
	v_rcp_f32_e32 v18, v8
	v_pk_add_f32 v[4:5], v[6:7], v[2:3] neg_lo:[0,1] neg_hi:[0,1]
	v_pk_add_f32 v[6:7], v[2:3], v[6:7]
	v_mul_f32_e32 v2, v5, v5
	v_fma_f32 v4, -v8, v18, 1.0
	v_fmac_f32_e32 v18, v4, v18
	v_div_scale_f32 v4, vcc, v17, v9, v17
	v_mul_f32_e32 v19, v4, v18
	v_fma_f32 v20, -v8, v19, v4
	v_fmac_f32_e32 v19, v20, v18
	v_fma_f32 v4, -v8, v19, v4
	v_div_fmas_f32 v4, v4, v18, v19
	v_div_fixup_f32 v8, v4, v9, v17
	v_mul_f32_e32 v4, v1, v2
	v_mov_b32_e32 v7, v3
	v_pk_fma_f32 v[2:3], v[4:5], v[8:9], v[6:7] op_sel_hi:[1,0,1]
	v_mov_b64_e32 v[4:5], -1
	v_mov_b32_e32 v1, v9
.LBB16_31:
	s_or_b64 exec, exec, s[6:7]
                                        ; implicit-def: $vgpr6_vgpr7
                                        ; implicit-def: $vgpr8
                                        ; implicit-def: $vgpr17
.LBB16_32:
	s_andn2_saveexec_b64 s[4:5], s[4:5]
	s_cbranch_execz .LBB16_34
; %bb.33:
	s_waitcnt lgkmcnt(0)
	v_mov_b32_e32 v1, v17
	v_mov_b64_e32 v[4:5], v[8:9]
	v_mov_b64_e32 v[2:3], v[6:7]
.LBB16_34:
	s_or_b64 exec, exec, s[4:5]
	v_cmp_ne_u32_e32 vcc, 63, v15
	s_waitcnt lgkmcnt(3)
	s_nop 0
	v_addc_co_u32_e32 v6, vcc, 0, v14, vcc
	v_lshlrev_b32_e32 v14, 2, v6
	ds_bpermute_b32 v7, v14, v3
	ds_bpermute_b32 v6, v14, v2
	s_waitcnt lgkmcnt(4)
	ds_bpermute_b32 v8, v14, v4
	s_waitcnt lgkmcnt(4)
	ds_bpermute_b32 v9, v14, v5
	ds_bpermute_b32 v15, v14, v1
	v_cmp_neq_f32_e32 vcc, 0, v1
	s_and_saveexec_b64 s[4:5], vcc
	s_xor_b64 s[4:5], exec, s[4:5]
	s_cbranch_execz .LBB16_38
; %bb.35:
	s_waitcnt lgkmcnt(0)
	v_cmp_neq_f32_e32 vcc, 0, v15
	s_and_saveexec_b64 s[6:7], vcc
	s_cbranch_execz .LBB16_37
; %bb.36:
	v_add_f32_e32 v9, v1, v15
	v_div_scale_f32 v8, s[8:9], v9, v9, v15
	v_rcp_f32_e32 v17, v8
	v_pk_add_f32 v[4:5], v[6:7], v[2:3] neg_lo:[0,1] neg_hi:[0,1]
	v_pk_add_f32 v[6:7], v[2:3], v[6:7]
	v_mul_f32_e32 v2, v5, v5
	v_fma_f32 v4, -v8, v17, 1.0
	v_fmac_f32_e32 v17, v4, v17
	v_div_scale_f32 v4, vcc, v15, v9, v15
	v_mul_f32_e32 v18, v4, v17
	v_fma_f32 v19, -v8, v18, v4
	v_fmac_f32_e32 v18, v19, v17
	v_fma_f32 v4, -v8, v18, v4
	v_div_fmas_f32 v4, v4, v17, v18
	v_div_fixup_f32 v8, v4, v9, v15
	v_mul_f32_e32 v4, v1, v2
	v_mov_b32_e32 v7, v3
	v_pk_fma_f32 v[2:3], v[4:5], v[8:9], v[6:7] op_sel_hi:[1,0,1]
	v_mov_b64_e32 v[4:5], -1
	v_mov_b32_e32 v1, v9
.LBB16_37:
	s_or_b64 exec, exec, s[6:7]
                                        ; implicit-def: $vgpr6_vgpr7
                                        ; implicit-def: $vgpr8
                                        ; implicit-def: $vgpr15
.LBB16_38:
	s_andn2_saveexec_b64 s[4:5], s[4:5]
	s_cbranch_execz .LBB16_40
; %bb.39:
	s_waitcnt lgkmcnt(0)
	v_mov_b32_e32 v1, v15
	v_mov_b64_e32 v[4:5], v[8:9]
	v_mov_b64_e32 v[2:3], v[6:7]
.LBB16_40:
	s_or_b64 exec, exec, s[4:5]
	s_waitcnt lgkmcnt(3)
	v_and_b32_e32 v6, 63, v0
	v_cmp_eq_u32_e32 vcc, 0, v6
	s_waitcnt lgkmcnt(0)
	s_barrier
	s_and_saveexec_b64 s[4:5], vcc
	s_cbranch_execz .LBB16_42
; %bb.41:
	v_lshrrev_b32_e32 v7, 6, v0
	v_mul_u32_u24_e32 v7, 24, v7
	v_mov_b32_e32 v8, v3
	v_mov_b32_e32 v9, v2
	ds_write2_b64 v7, v[8:9], v[4:5] offset1:1
	ds_write_b32 v7, v1 offset:16
.LBB16_42:
	s_or_b64 exec, exec, s[4:5]
	s_waitcnt lgkmcnt(0)
	s_barrier
	s_load_dword s4, s[0:1], 0x34
	v_mul_u32_u24_e32 v4, 24, v6
	v_mov_b32_e32 v2, 0
	v_mov_b32_e32 v1, 0
	s_waitcnt lgkmcnt(0)
	s_bfe_u32 s4, s4, 0xa0006
	v_cmp_gt_u32_e32 vcc, s4, v0
	s_and_saveexec_b64 s[4:5], vcc
	s_cbranch_execnz .LBB16_48
; %bb.43:
	s_or_b64 exec, exec, s[4:5]
	s_and_saveexec_b64 s[4:5], vcc
	s_cbranch_execnz .LBB16_49
.LBB16_44:
	s_or_b64 exec, exec, s[4:5]
	v_mov_b32_e32 v3, 0
	s_and_saveexec_b64 s[4:5], vcc
	s_cbranch_execnz .LBB16_50
.LBB16_45:
	s_or_b64 exec, exec, s[4:5]
	v_cmp_gt_u32_e32 vcc, 64, v0
	s_and_saveexec_b64 s[4:5], vcc
	s_cbranch_execnz .LBB16_51
.LBB16_46:
	s_or_b64 exec, exec, s[4:5]
	v_cmp_eq_u32_e32 vcc, 0, v0
	s_and_saveexec_b64 s[4:5], vcc
	s_cbranch_execnz .LBB16_76
.LBB16_47:
	s_endpgm
.LBB16_48:
	ds_read_b32 v1, v4
	s_or_b64 exec, exec, s[4:5]
	s_and_saveexec_b64 s[4:5], vcc
	s_cbranch_execz .LBB16_44
.LBB16_49:
	ds_read_b32 v2, v4 offset:4
	s_or_b64 exec, exec, s[4:5]
	v_mov_b32_e32 v3, 0
	s_and_saveexec_b64 s[4:5], vcc
	s_cbranch_execz .LBB16_45
.LBB16_50:
	ds_read_b32 v3, v4 offset:16
	s_or_b64 exec, exec, s[4:5]
	v_cmp_gt_u32_e32 vcc, 64, v0
	s_and_saveexec_b64 s[4:5], vcc
	s_cbranch_execz .LBB16_46
.LBB16_51:
	s_waitcnt lgkmcnt(0)
	ds_bpermute_b32 v6, v10, v1
	ds_bpermute_b32 v4, v10, v2
	;; [unrolled: 1-line block ×3, first 2 shown]
	v_cmp_neq_f32_e32 vcc, 0, v3
	s_and_saveexec_b64 s[6:7], vcc
	s_cbranch_execz .LBB16_55
; %bb.52:
	s_waitcnt lgkmcnt(0)
	v_cmp_neq_f32_e32 vcc, 0, v5
	s_and_saveexec_b64 s[8:9], vcc
	s_cbranch_execz .LBB16_54
; %bb.53:
	v_sub_f32_e32 v6, v6, v1
	v_mul_f32_e32 v7, v6, v6
	v_mul_f32_e32 v7, v3, v7
	v_add_f32_e32 v3, v3, v5
	v_div_scale_f32 v8, s[10:11], v3, v3, v5
	v_rcp_f32_e32 v9, v8
	v_add_f32_e32 v2, v2, v4
	v_fma_f32 v4, -v8, v9, 1.0
	v_fmac_f32_e32 v9, v4, v9
	v_div_scale_f32 v4, vcc, v5, v3, v5
	v_mul_f32_e32 v10, v4, v9
	v_fma_f32 v15, -v8, v10, v4
	v_fmac_f32_e32 v10, v15, v9
	v_fma_f32 v4, -v8, v10, v4
	v_div_fmas_f32 v4, v4, v9, v10
	v_div_fixup_f32 v4, v4, v3, v5
	v_fmac_f32_e32 v1, v6, v4
	v_fmac_f32_e32 v2, v7, v4
.LBB16_54:
	s_or_b64 exec, exec, s[8:9]
	v_mov_b32_e32 v6, v1
	v_mov_b64_e32 v[4:5], v[2:3]
.LBB16_55:
	s_or_b64 exec, exec, s[6:7]
	s_waitcnt lgkmcnt(2)
	ds_bpermute_b32 v1, v11, v6
	s_waitcnt lgkmcnt(2)
	ds_bpermute_b32 v2, v11, v4
	s_waitcnt lgkmcnt(2)
	ds_bpermute_b32 v3, v11, v5
	v_cmp_neq_f32_e32 vcc, 0, v5
	s_and_saveexec_b64 s[6:7], vcc
	s_cbranch_execz .LBB16_59
; %bb.56:
	s_waitcnt lgkmcnt(0)
	v_cmp_neq_f32_e32 vcc, 0, v3
	s_and_saveexec_b64 s[8:9], vcc
	s_cbranch_execz .LBB16_58
; %bb.57:
	v_pk_add_f32 v[8:9], v[4:5], v[2:3]
	v_sub_f32_e32 v1, v1, v6
	v_div_scale_f32 v2, s[10:11], v9, v9, v3
	v_rcp_f32_e32 v4, v2
	v_mul_f32_e32 v7, v1, v1
	v_mul_f32_e32 v5, v5, v7
	v_fma_f32 v7, -v2, v4, 1.0
	v_fmac_f32_e32 v4, v7, v4
	v_div_scale_f32 v7, vcc, v3, v9, v3
	v_mul_f32_e32 v10, v7, v4
	v_fma_f32 v11, -v2, v10, v7
	v_fmac_f32_e32 v10, v11, v4
	v_fma_f32 v2, -v2, v10, v7
	v_div_fmas_f32 v2, v2, v4, v10
	v_div_fixup_f32 v2, v2, v9, v3
	v_fma_f32 v8, v5, v2, v8
	v_fmac_f32_e32 v6, v1, v2
	v_mov_b64_e32 v[4:5], v[8:9]
.LBB16_58:
	s_or_b64 exec, exec, s[8:9]
	v_mov_b32_e32 v1, v6
	v_mov_b64_e32 v[2:3], v[4:5]
.LBB16_59:
	s_or_b64 exec, exec, s[6:7]
	s_waitcnt lgkmcnt(2)
	ds_bpermute_b32 v6, v12, v1
	s_waitcnt lgkmcnt(2)
	ds_bpermute_b32 v4, v12, v2
	s_waitcnt lgkmcnt(2)
	ds_bpermute_b32 v5, v12, v3
	v_cmp_neq_f32_e32 vcc, 0, v3
	s_and_saveexec_b64 s[6:7], vcc
	s_cbranch_execz .LBB16_63
; %bb.60:
	s_waitcnt lgkmcnt(0)
	v_cmp_neq_f32_e32 vcc, 0, v5
	s_and_saveexec_b64 s[8:9], vcc
	s_cbranch_execz .LBB16_62
; %bb.61:
	v_pk_add_f32 v[8:9], v[2:3], v[4:5]
	v_sub_f32_e32 v6, v6, v1
	v_div_scale_f32 v2, s[10:11], v9, v9, v5
	v_rcp_f32_e32 v4, v2
	v_mul_f32_e32 v7, v6, v6
	v_mul_f32_e32 v3, v3, v7
	v_fma_f32 v7, -v2, v4, 1.0
	v_fmac_f32_e32 v4, v7, v4
	v_div_scale_f32 v7, vcc, v5, v9, v5
	v_mul_f32_e32 v10, v7, v4
	v_fma_f32 v11, -v2, v10, v7
	v_fmac_f32_e32 v10, v11, v4
	v_fma_f32 v2, -v2, v10, v7
	v_div_fmas_f32 v2, v2, v4, v10
	v_div_fixup_f32 v2, v2, v9, v5
	v_fma_f32 v8, v3, v2, v8
	v_fmac_f32_e32 v1, v6, v2
	v_mov_b64_e32 v[2:3], v[8:9]
.LBB16_62:
	s_or_b64 exec, exec, s[8:9]
	v_mov_b32_e32 v6, v1
	v_mov_b64_e32 v[4:5], v[2:3]
.LBB16_63:
	;; [unrolled: 39-line block ×4, first 2 shown]
	s_or_b64 exec, exec, s[6:7]
	s_waitcnt lgkmcnt(2)
	ds_bpermute_b32 v1, v14, v6
	s_waitcnt lgkmcnt(2)
	ds_bpermute_b32 v2, v14, v4
	;; [unrolled: 2-line block ×3, first 2 shown]
	v_cmp_neq_f32_e32 vcc, 0, v5
	s_and_saveexec_b64 s[6:7], vcc
	s_cbranch_execz .LBB16_75
; %bb.72:
	s_waitcnt lgkmcnt(0)
	v_cmp_neq_f32_e32 vcc, 0, v3
	s_and_saveexec_b64 s[8:9], vcc
	s_cbranch_execz .LBB16_74
; %bb.73:
	v_pk_add_f32 v[8:9], v[4:5], v[2:3]
	v_sub_f32_e32 v1, v1, v6
	v_div_scale_f32 v2, s[10:11], v9, v9, v3
	v_rcp_f32_e32 v4, v2
	v_mul_f32_e32 v7, v1, v1
	v_mul_f32_e32 v5, v5, v7
	v_fma_f32 v7, -v2, v4, 1.0
	v_fmac_f32_e32 v4, v7, v4
	v_div_scale_f32 v7, vcc, v3, v9, v3
	v_mul_f32_e32 v10, v7, v4
	v_fma_f32 v11, -v2, v10, v7
	v_fmac_f32_e32 v10, v11, v4
	v_fma_f32 v2, -v2, v10, v7
	v_div_fmas_f32 v2, v2, v4, v10
	v_div_fixup_f32 v2, v2, v9, v3
	v_fma_f32 v8, v5, v2, v8
	v_fmac_f32_e32 v6, v1, v2
	v_mov_b64_e32 v[4:5], v[8:9]
.LBB16_74:
	s_or_b64 exec, exec, s[8:9]
	v_mov_b64_e32 v[2:3], v[4:5]
	v_mov_b32_e32 v1, v6
.LBB16_75:
	s_or_b64 exec, exec, s[6:7]
	s_or_b64 exec, exec, s[4:5]
	v_cmp_eq_u32_e32 vcc, 0, v0
	s_and_saveexec_b64 s[4:5], vcc
	s_cbranch_execz .LBB16_47
.LBB16_76:
	s_waitcnt lgkmcnt(0)
	v_max_f32_e32 v0, v3, v3
	v_max_f32_e32 v0, 0, v0
	v_div_scale_f32 v3, s[4:5], v0, v0, v2
	v_rcp_f32_e32 v4, v3
	s_load_dword s6, s[0:1], 0x8
	s_load_dwordx2 s[4:5], s[0:1], 0x20
	s_mov_b32 s0, 0x800000
	v_fma_f32 v5, -v3, v4, 1.0
	v_fmac_f32_e32 v4, v5, v4
	v_div_scale_f32 v5, vcc, v2, v0, v2
	v_mul_f32_e32 v6, v5, v4
	v_fma_f32 v7, -v3, v6, v5
	v_fmac_f32_e32 v6, v7, v4
	v_fma_f32 v3, -v3, v6, v5
	v_div_fmas_f32 v3, v3, v4, v6
	v_div_fixup_f32 v0, v3, v0, v2
	v_fmac_f32_e32 v0, v1, v1
	s_waitcnt lgkmcnt(0)
	v_add_f32_e32 v0, s6, v0
	v_mul_f32_e32 v1, 0x4b800000, v0
	v_cmp_gt_f32_e32 vcc, s0, v0
	s_lshl_b64 s[0:1], s[2:3], 2
	s_add_u32 s0, s4, s0
	v_cndmask_b32_e32 v0, v0, v1, vcc
	v_rsq_f32_e32 v0, v0
	s_addc_u32 s1, s5, s1
	v_mul_f32_e32 v1, 0x45800000, v0
	v_cndmask_b32_e32 v0, v0, v1, vcc
	v_mov_b32_e32 v1, 0
	global_store_dword v1, v0, s[0:1]
	s_endpgm
	.section	.rodata,"a",@progbits
	.p2align	6, 0x0
	.amdhsa_kernel _ZN2at6native12_GLOBAL__N_124RowwiseMomentsCUDAKernelIffLb1EEEvlT0_PKT_PS3_S7_
		.amdhsa_group_segment_fixed_size 1536
		.amdhsa_private_segment_fixed_size 0
		.amdhsa_kernarg_size 296
		.amdhsa_user_sgpr_count 2
		.amdhsa_user_sgpr_dispatch_ptr 0
		.amdhsa_user_sgpr_queue_ptr 0
		.amdhsa_user_sgpr_kernarg_segment_ptr 1
		.amdhsa_user_sgpr_dispatch_id 0
		.amdhsa_user_sgpr_kernarg_preload_length 0
		.amdhsa_user_sgpr_kernarg_preload_offset 0
		.amdhsa_user_sgpr_private_segment_size 0
		.amdhsa_uses_dynamic_stack 0
		.amdhsa_enable_private_segment 0
		.amdhsa_system_sgpr_workgroup_id_x 1
		.amdhsa_system_sgpr_workgroup_id_y 0
		.amdhsa_system_sgpr_workgroup_id_z 0
		.amdhsa_system_sgpr_workgroup_info 0
		.amdhsa_system_vgpr_workitem_id 0
		.amdhsa_next_free_vgpr 21
		.amdhsa_next_free_sgpr 19
		.amdhsa_accum_offset 24
		.amdhsa_reserve_vcc 1
		.amdhsa_float_round_mode_32 0
		.amdhsa_float_round_mode_16_64 0
		.amdhsa_float_denorm_mode_32 3
		.amdhsa_float_denorm_mode_16_64 3
		.amdhsa_dx10_clamp 1
		.amdhsa_ieee_mode 1
		.amdhsa_fp16_overflow 0
		.amdhsa_tg_split 0
		.amdhsa_exception_fp_ieee_invalid_op 0
		.amdhsa_exception_fp_denorm_src 0
		.amdhsa_exception_fp_ieee_div_zero 0
		.amdhsa_exception_fp_ieee_overflow 0
		.amdhsa_exception_fp_ieee_underflow 0
		.amdhsa_exception_fp_ieee_inexact 0
		.amdhsa_exception_int_div_zero 0
	.end_amdhsa_kernel
	.section	.text._ZN2at6native12_GLOBAL__N_124RowwiseMomentsCUDAKernelIffLb1EEEvlT0_PKT_PS3_S7_,"axG",@progbits,_ZN2at6native12_GLOBAL__N_124RowwiseMomentsCUDAKernelIffLb1EEEvlT0_PKT_PS3_S7_,comdat
.Lfunc_end16:
	.size	_ZN2at6native12_GLOBAL__N_124RowwiseMomentsCUDAKernelIffLb1EEEvlT0_PKT_PS3_S7_, .Lfunc_end16-_ZN2at6native12_GLOBAL__N_124RowwiseMomentsCUDAKernelIffLb1EEEvlT0_PKT_PS3_S7_
                                        ; -- End function
	.section	.AMDGPU.csdata,"",@progbits
; Kernel info:
; codeLenInByte = 3460
; NumSgprs: 25
; NumVgprs: 21
; NumAgprs: 0
; TotalNumVgprs: 21
; ScratchSize: 0
; MemoryBound: 0
; FloatMode: 240
; IeeeMode: 1
; LDSByteSize: 1536 bytes/workgroup (compile time only)
; SGPRBlocks: 3
; VGPRBlocks: 2
; NumSGPRsForWavesPerEU: 25
; NumVGPRsForWavesPerEU: 21
; AccumOffset: 24
; Occupancy: 8
; WaveLimiterHint : 0
; COMPUTE_PGM_RSRC2:SCRATCH_EN: 0
; COMPUTE_PGM_RSRC2:USER_SGPR: 2
; COMPUTE_PGM_RSRC2:TRAP_HANDLER: 0
; COMPUTE_PGM_RSRC2:TGID_X_EN: 1
; COMPUTE_PGM_RSRC2:TGID_Y_EN: 0
; COMPUTE_PGM_RSRC2:TGID_Z_EN: 0
; COMPUTE_PGM_RSRC2:TIDIG_COMP_CNT: 0
; COMPUTE_PGM_RSRC3_GFX90A:ACCUM_OFFSET: 5
; COMPUTE_PGM_RSRC3_GFX90A:TG_SPLIT: 0
	.section	.text._ZN2at6native12_GLOBAL__N_126LayerNormForwardCUDAKernelIffLb1EEEvlPKT_PKT0_S8_S5_S5_PS3_,"axG",@progbits,_ZN2at6native12_GLOBAL__N_126LayerNormForwardCUDAKernelIffLb1EEEvlPKT_PKT0_S8_S5_S5_PS3_,comdat
	.globl	_ZN2at6native12_GLOBAL__N_126LayerNormForwardCUDAKernelIffLb1EEEvlPKT_PKT0_S8_S5_S5_PS3_ ; -- Begin function _ZN2at6native12_GLOBAL__N_126LayerNormForwardCUDAKernelIffLb1EEEvlPKT_PKT0_S8_S5_S5_PS3_
	.p2align	8
	.type	_ZN2at6native12_GLOBAL__N_126LayerNormForwardCUDAKernelIffLb1EEEvlPKT_PKT0_S8_S5_S5_PS3_,@function
_ZN2at6native12_GLOBAL__N_126LayerNormForwardCUDAKernelIffLb1EEEvlPKT_PKT0_S8_S5_S5_PS3_: ; @_ZN2at6native12_GLOBAL__N_126LayerNormForwardCUDAKernelIffLb1EEEvlPKT_PKT0_S8_S5_S5_PS3_
; %bb.0:
	s_load_dwordx4 s[4:7], s[0:1], 0x0
	v_mov_b32_e32 v1, 0
	s_waitcnt lgkmcnt(0)
	v_cmp_gt_i64_e32 vcc, s[4:5], v[0:1]
	s_and_saveexec_b64 s[8:9], vcc
	s_cbranch_execz .LBB17_6
; %bb.1:
	s_load_dwordx4 s[8:11], s[0:1], 0x18
	s_load_dwordx2 s[16:17], s[0:1], 0x30
	s_load_dword s18, s[0:1], 0x44
	s_mov_b32 s3, 0
	s_mul_hi_u32 s19, s4, s2
	s_waitcnt lgkmcnt(0)
	s_cmp_lg_u64 s[10:11], 0
	s_cselect_b64 s[0:1], -1, 0
	s_lshl_b64 s[14:15], s[2:3], 2
	s_add_u32 s8, s8, s14
	s_addc_u32 s9, s9, s15
	s_and_b32 s14, s18, 0xffff
	s_mul_i32 s18, s5, s2
	s_add_i32 s19, s19, s18
	s_mul_i32 s18, s4, s2
	s_lshl_b64 s[18:19], s[18:19], 2
	s_add_u32 s6, s6, s18
	s_addc_u32 s7, s7, s19
	s_lshl_b32 s2, s14, 2
	s_add_u32 s16, s16, s18
	v_cndmask_b32_e64 v4, 0, 1, s[0:1]
	s_mov_b64 s[12:13], 0
	s_mov_b32 s15, s3
	v_lshlrev_b32_e32 v2, 2, v0
	v_mov_b32_e32 v3, v1
	s_addc_u32 s17, s17, s19
	v_cmp_ne_u32_e64 s[0:1], 1, v4
	v_mov_b64_e32 v[4:5], v[0:1]
	s_branch .LBB17_4
.LBB17_2:                               ;   in Loop: Header=BB17_4 Depth=1
	v_lshl_add_u64 v[6:7], s[10:11], 0, v[2:3]
	global_load_dword v0, v[6:7], off
.LBB17_3:                               ;   in Loop: Header=BB17_4 Depth=1
	v_lshl_add_u64 v[6:7], s[6:7], 0, v[2:3]
	global_load_dword v8, v1, s[8:9]
	global_load_dword v9, v[6:7], off
	v_lshl_add_u64 v[4:5], v[4:5], 0, s[14:15]
	v_cmp_le_i64_e32 vcc, s[4:5], v[4:5]
	v_lshl_add_u64 v[6:7], s[16:17], 0, v[2:3]
	s_or_b64 s[12:13], vcc, s[12:13]
	v_lshl_add_u64 v[2:3], v[2:3], 0, s[2:3]
	s_waitcnt vmcnt(0)
	v_mul_f32_e32 v8, v9, v8
	v_mul_f32_e32 v0, v0, v8
	global_store_dword v[6:7], v0, off
	s_andn2_b64 exec, exec, s[12:13]
	s_cbranch_execz .LBB17_6
.LBB17_4:                               ; =>This Inner Loop Header: Depth=1
	s_and_b64 vcc, exec, s[0:1]
	s_cbranch_vccz .LBB17_2
; %bb.5:                                ;   in Loop: Header=BB17_4 Depth=1
	v_mov_b32_e32 v0, 1.0
	s_branch .LBB17_3
.LBB17_6:
	s_endpgm
	.section	.rodata,"a",@progbits
	.p2align	6, 0x0
	.amdhsa_kernel _ZN2at6native12_GLOBAL__N_126LayerNormForwardCUDAKernelIffLb1EEEvlPKT_PKT0_S8_S5_S5_PS3_
		.amdhsa_group_segment_fixed_size 0
		.amdhsa_private_segment_fixed_size 0
		.amdhsa_kernarg_size 312
		.amdhsa_user_sgpr_count 2
		.amdhsa_user_sgpr_dispatch_ptr 0
		.amdhsa_user_sgpr_queue_ptr 0
		.amdhsa_user_sgpr_kernarg_segment_ptr 1
		.amdhsa_user_sgpr_dispatch_id 0
		.amdhsa_user_sgpr_kernarg_preload_length 0
		.amdhsa_user_sgpr_kernarg_preload_offset 0
		.amdhsa_user_sgpr_private_segment_size 0
		.amdhsa_uses_dynamic_stack 0
		.amdhsa_enable_private_segment 0
		.amdhsa_system_sgpr_workgroup_id_x 1
		.amdhsa_system_sgpr_workgroup_id_y 0
		.amdhsa_system_sgpr_workgroup_id_z 0
		.amdhsa_system_sgpr_workgroup_info 0
		.amdhsa_system_vgpr_workitem_id 0
		.amdhsa_next_free_vgpr 10
		.amdhsa_next_free_sgpr 20
		.amdhsa_accum_offset 12
		.amdhsa_reserve_vcc 1
		.amdhsa_float_round_mode_32 0
		.amdhsa_float_round_mode_16_64 0
		.amdhsa_float_denorm_mode_32 3
		.amdhsa_float_denorm_mode_16_64 3
		.amdhsa_dx10_clamp 1
		.amdhsa_ieee_mode 1
		.amdhsa_fp16_overflow 0
		.amdhsa_tg_split 0
		.amdhsa_exception_fp_ieee_invalid_op 0
		.amdhsa_exception_fp_denorm_src 0
		.amdhsa_exception_fp_ieee_div_zero 0
		.amdhsa_exception_fp_ieee_overflow 0
		.amdhsa_exception_fp_ieee_underflow 0
		.amdhsa_exception_fp_ieee_inexact 0
		.amdhsa_exception_int_div_zero 0
	.end_amdhsa_kernel
	.section	.text._ZN2at6native12_GLOBAL__N_126LayerNormForwardCUDAKernelIffLb1EEEvlPKT_PKT0_S8_S5_S5_PS3_,"axG",@progbits,_ZN2at6native12_GLOBAL__N_126LayerNormForwardCUDAKernelIffLb1EEEvlPKT_PKT0_S8_S5_S5_PS3_,comdat
.Lfunc_end17:
	.size	_ZN2at6native12_GLOBAL__N_126LayerNormForwardCUDAKernelIffLb1EEEvlPKT_PKT0_S8_S5_S5_PS3_, .Lfunc_end17-_ZN2at6native12_GLOBAL__N_126LayerNormForwardCUDAKernelIffLb1EEEvlPKT_PKT0_S8_S5_S5_PS3_
                                        ; -- End function
	.section	.AMDGPU.csdata,"",@progbits
; Kernel info:
; codeLenInByte = 288
; NumSgprs: 26
; NumVgprs: 10
; NumAgprs: 0
; TotalNumVgprs: 10
; ScratchSize: 0
; MemoryBound: 0
; FloatMode: 240
; IeeeMode: 1
; LDSByteSize: 0 bytes/workgroup (compile time only)
; SGPRBlocks: 3
; VGPRBlocks: 1
; NumSGPRsForWavesPerEU: 26
; NumVGPRsForWavesPerEU: 10
; AccumOffset: 12
; Occupancy: 8
; WaveLimiterHint : 0
; COMPUTE_PGM_RSRC2:SCRATCH_EN: 0
; COMPUTE_PGM_RSRC2:USER_SGPR: 2
; COMPUTE_PGM_RSRC2:TRAP_HANDLER: 0
; COMPUTE_PGM_RSRC2:TGID_X_EN: 1
; COMPUTE_PGM_RSRC2:TGID_Y_EN: 0
; COMPUTE_PGM_RSRC2:TGID_Z_EN: 0
; COMPUTE_PGM_RSRC2:TIDIG_COMP_CNT: 0
; COMPUTE_PGM_RSRC3_GFX90A:ACCUM_OFFSET: 2
; COMPUTE_PGM_RSRC3_GFX90A:TG_SPLIT: 0
	.section	.text._ZN2at6native12_GLOBAL__N_128vectorized_layer_norm_kernelIN3c104HalfEfLb1EEEviT0_PKT_S8_S8_PS5_S9_PS6_,"axG",@progbits,_ZN2at6native12_GLOBAL__N_128vectorized_layer_norm_kernelIN3c104HalfEfLb1EEEviT0_PKT_S8_S8_PS5_S9_PS6_,comdat
	.globl	_ZN2at6native12_GLOBAL__N_128vectorized_layer_norm_kernelIN3c104HalfEfLb1EEEviT0_PKT_S8_S8_PS5_S9_PS6_ ; -- Begin function _ZN2at6native12_GLOBAL__N_128vectorized_layer_norm_kernelIN3c104HalfEfLb1EEEviT0_PKT_S8_S8_PS5_S9_PS6_
	.p2align	8
	.type	_ZN2at6native12_GLOBAL__N_128vectorized_layer_norm_kernelIN3c104HalfEfLb1EEEviT0_PKT_S8_S8_PS5_S9_PS6_,@function
_ZN2at6native12_GLOBAL__N_128vectorized_layer_norm_kernelIN3c104HalfEfLb1EEEviT0_PKT_S8_S8_PS5_S9_PS6_: ; @_ZN2at6native12_GLOBAL__N_128vectorized_layer_norm_kernelIN3c104HalfEfLb1EEEviT0_PKT_S8_S8_PS5_S9_PS6_
; %bb.0:
	s_load_dwordx4 s[12:15], s[0:1], 0x0
	s_load_dword s4, s[0:1], 0x44
	v_and_b32_e32 v2, 0x3ff, v0
	v_bfe_u32 v3, v0, 10, 10
	s_mov_b32 s3, 0
	s_waitcnt lgkmcnt(0)
	s_ashr_i32 s5, s12, 31
	s_lshr_b32 s20, s4, 16
	s_and_b32 s4, s4, 0xffff
	s_mul_i32 s16, s20, s4
	v_mul_u32_u24_e32 v0, s4, v3
	v_mad_u32_u24 v16, v3, s4, v2
	s_lshr_b32 s4, s5, 30
	s_add_i32 s4, s12, s4
	s_mul_hi_u32 s6, s12, s2
	s_mul_i32 s7, s5, s2
	s_ashr_i32 s28, s4, 2
	s_add_i32 s19, s6, s7
	s_mul_i32 s18, s12, s2
	v_cmp_gt_i32_e64 s[4:5], s28, v16
	v_mov_b32_e32 v9, 0
	v_add_lshl_u32 v8, v0, v2, 3
	s_and_saveexec_b64 s[6:7], s[4:5]
	s_cbranch_execz .LBB18_4
; %bb.1:
	s_lshl_b64 s[8:9], s[18:19], 1
	s_add_u32 s8, s14, s8
	v_mov_b32_e32 v9, 0
	s_addc_u32 s9, s15, s9
	v_lshl_add_u64 v[0:1], s[8:9], 0, v[8:9]
	s_ashr_i32 s17, s16, 31
	v_lshl_add_u64 v[0:1], v[0:1], 0, 4
	s_lshl_b64 s[10:11], s[16:17], 3
	s_mov_b64 s[8:9], 0
	v_mov_b32_e32 v4, v16
.LBB18_2:                               ; =>This Inner Loop Header: Depth=1
	global_load_dwordx2 v[6:7], v[0:1], off offset:-4
	v_add_u32_e32 v4, s16, v4
	v_cmp_le_i32_e32 vcc, s28, v4
	v_lshl_add_u64 v[0:1], v[0:1], 0, s[10:11]
	s_or_b64 s[8:9], vcc, s[8:9]
	s_waitcnt vmcnt(0)
	v_fma_mix_f32 v5, v6, v6, v9 op_sel_hi:[1,1,0]
	s_nop 0
	v_fma_mix_f32 v5, v6, v6, v5 op_sel:[1,1,0] op_sel_hi:[1,1,0]
	s_nop 0
	v_fma_mix_f32 v5, v7, v7, v5 op_sel_hi:[1,1,0]
	s_nop 0
	v_fma_mix_f32 v9, v7, v7, v5 op_sel:[1,1,0] op_sel_hi:[1,1,0]
	s_andn2_b64 exec, exec, s[8:9]
	s_cbranch_execnz .LBB18_2
; %bb.3:
	s_or_b64 exec, exec, s[8:9]
.LBB18_4:
	s_or_b64 exec, exec, s[6:7]
	v_mbcnt_lo_u32_b32 v0, -1, 0
	v_mbcnt_hi_u32_b32 v0, -1, v0
	v_and_b32_e32 v1, 63, v0
	v_cmp_gt_u32_e32 vcc, 32, v1
	s_cmp_lt_u32 s20, 2
	s_nop 0
	v_cndmask_b32_e64 v4, 0, 1, vcc
	v_lshlrev_b32_e32 v4, 5, v4
	v_add_lshl_u32 v4, v4, v0, 2
	ds_bpermute_b32 v4, v4, v9
	v_cmp_gt_u32_e32 vcc, 48, v1
	s_waitcnt lgkmcnt(0)
	v_add_f32_e32 v4, v9, v4
	v_cndmask_b32_e64 v5, 0, 1, vcc
	v_lshlrev_b32_e32 v5, 4, v5
	v_add_lshl_u32 v5, v5, v0, 2
	ds_bpermute_b32 v5, v5, v4
	v_cmp_gt_u32_e32 vcc, 56, v1
	s_waitcnt lgkmcnt(0)
	v_add_f32_e32 v4, v4, v5
	v_cndmask_b32_e64 v6, 0, 1, vcc
	v_lshlrev_b32_e32 v6, 3, v6
	v_add_lshl_u32 v5, v6, v0, 2
	ds_bpermute_b32 v5, v5, v4
	v_cmp_gt_u32_e32 vcc, 60, v1
	s_waitcnt lgkmcnt(0)
	v_add_f32_e32 v4, v4, v5
	v_cndmask_b32_e64 v6, 0, 1, vcc
	v_lshlrev_b32_e32 v6, 2, v6
	v_add_lshl_u32 v5, v6, v0, 2
	ds_bpermute_b32 v5, v5, v4
	v_cmp_gt_u32_e32 vcc, 62, v1
	s_waitcnt lgkmcnt(0)
	v_add_f32_e32 v4, v4, v5
	v_cndmask_b32_e64 v6, 0, 1, vcc
	v_lshlrev_b32_e32 v6, 1, v6
	v_add_lshl_u32 v5, v6, v0, 2
	ds_bpermute_b32 v5, v5, v4
	v_cmp_ne_u32_e32 vcc, 63, v1
	s_waitcnt lgkmcnt(0)
	v_add_f32_e32 v4, v4, v5
	v_addc_co_u32_e32 v1, vcc, 0, v0, vcc
	v_lshlrev_b32_e32 v1, 2, v1
	ds_bpermute_b32 v1, v1, v4
	s_waitcnt lgkmcnt(0)
	v_add_f32_e32 v4, v4, v1
	s_cbranch_scc0 .LBB18_6
; %bb.5:
	v_lshlrev_b32_e32 v0, 2, v0
	v_and_b32_e32 v0, 0x100, v0
	ds_bpermute_b32 v1, v0, v4
	v_cvt_f32_i32_e32 v5, s12
	v_mov_b32_e32 v6, 0
	ds_bpermute_b32 v0, v0, v6
	s_waitcnt lgkmcnt(1)
	v_div_scale_f32 v7, s[6:7], v5, v5, v1
	v_rcp_f32_e32 v9, v7
	v_div_scale_f32 v6, vcc, v1, v5, v1
	v_fma_f32 v10, -v7, v9, 1.0
	v_fmac_f32_e32 v9, v10, v9
	v_mul_f32_e32 v10, v6, v9
	v_fma_f32 v11, -v7, v10, v6
	v_fmac_f32_e32 v10, v11, v9
	v_fma_f32 v6, -v7, v10, v6
	v_div_fmas_f32 v6, v6, v9, v10
	v_div_fixup_f32 v1, v6, v5, v1
	s_cbranch_execz .LBB18_7
	s_branch .LBB18_17
.LBB18_6:
                                        ; implicit-def: $vgpr0_vgpr1
.LBB18_7:
	s_lshl_b32 s6, s20, 2
	s_add_i32 s10, s6, 0
	v_cmp_eq_u32_e32 vcc, 0, v2
	s_waitcnt lgkmcnt(0)
	v_mov_b32_e32 v0, 0
	v_lshl_add_u32 v1, v3, 3, 0
.LBB18_8:                               ; =>This Inner Loop Header: Depth=1
	s_lshr_b32 s11, s20, 1
	s_and_b32 s8, s20, 0xfffe
	v_cmp_le_u32_e64 s[6:7], s11, v3
	v_cmp_gt_u32_e64 s[8:9], s8, v3
	s_and_b64 s[6:7], s[6:7], s[8:9]
	s_and_b64 s[8:9], vcc, s[6:7]
	s_and_saveexec_b64 s[6:7], s[8:9]
	s_cbranch_execz .LBB18_10
; %bb.9:                                ;   in Loop: Header=BB18_8 Depth=1
	v_subrev_u32_e32 v5, s11, v3
	v_lshl_add_u32 v6, v5, 3, 0
	v_lshl_add_u32 v5, v5, 2, s10
	ds_write2_b32 v6, v0, v4 offset1:1
	ds_write_b32 v5, v0
.LBB18_10:                              ;   in Loop: Header=BB18_8 Depth=1
	s_or_b64 exec, exec, s[6:7]
	v_cmp_gt_u32_e64 s[6:7], s11, v3
	s_and_b64 s[8:9], vcc, s[6:7]
	s_waitcnt lgkmcnt(0)
	s_barrier
	s_and_saveexec_b64 s[6:7], s[8:9]
	s_cbranch_execz .LBB18_12
; %bb.11:                               ;   in Loop: Header=BB18_8 Depth=1
	ds_read_b32 v5, v1 offset:4
	s_waitcnt lgkmcnt(0)
	v_add_f32_e32 v4, v4, v5
.LBB18_12:                              ;   in Loop: Header=BB18_8 Depth=1
	s_or_b64 exec, exec, s[6:7]
	s_cmp_lt_u32 s20, 4
	s_barrier
	s_cbranch_scc1 .LBB18_14
; %bb.13:                               ;   in Loop: Header=BB18_8 Depth=1
	s_mov_b32 s20, s11
	s_branch .LBB18_8
.LBB18_14:
	v_or_b32_e32 v0, v2, v3
	v_cmp_eq_u32_e32 vcc, 0, v0
	s_and_saveexec_b64 s[6:7], vcc
	s_cbranch_execz .LBB18_16
; %bb.15:
	v_cvt_f32_i32_e32 v0, s12
	v_div_scale_f32 v1, s[8:9], v0, v0, v4
	v_rcp_f32_e32 v2, v1
	v_div_scale_f32 v3, vcc, v4, v0, v4
	v_fma_f32 v5, -v1, v2, 1.0
	v_fmac_f32_e32 v2, v5, v2
	v_mul_f32_e32 v5, v3, v2
	v_fma_f32 v6, -v1, v5, v3
	v_fmac_f32_e32 v5, v6, v2
	v_fma_f32 v1, -v1, v5, v3
	v_div_fmas_f32 v1, v1, v2, v5
	v_div_fixup_f32 v0, v1, v0, v4
	v_mov_b32_e32 v1, 0
	ds_write2_b32 v1, v1, v0 offset1:1
.LBB18_16:
	s_or_b64 exec, exec, s[6:7]
	v_mov_b32_e32 v0, 0
	s_waitcnt lgkmcnt(0)
	s_barrier
	ds_read2_b32 v[0:1], v0 offset1:1
.LBB18_17:
	s_waitcnt lgkmcnt(0)
	v_add_f32_e32 v1, s13, v1
	s_mov_b32 s6, 0x800000
	v_mul_f32_e32 v2, 0x4b800000, v1
	v_cmp_gt_f32_e32 vcc, s6, v1
	s_load_dwordx4 s[8:11], s[0:1], 0x28
	s_nop 0
	v_cndmask_b32_e32 v1, v1, v2, vcc
	v_rsq_f32_e32 v1, v1
	s_nop 0
	v_mul_f32_e32 v2, 0x45800000, v1
	v_cndmask_b32_e32 v10, v1, v2, vcc
	s_and_saveexec_b64 s[12:13], s[4:5]
	s_cbranch_execz .LBB18_32
; %bb.18:
	s_load_dwordx4 s[4:7], s[0:1], 0x10
	s_mov_b64 s[20:21], 0
	v_mov_b32_e32 v11, v10
	v_mov_b32_e32 v12, v10
	;; [unrolled: 1-line block ×3, first 2 shown]
	s_waitcnt lgkmcnt(0)
	s_cmp_eq_u64 s[4:5], 0
	s_cselect_b64 s[22:23], -1, 0
	s_cmp_eq_u64 s[6:7], 0
	s_cselect_b64 s[0:1], -1, 0
	s_lshl_b64 s[18:19], s[18:19], 1
	s_add_u32 s10, s10, s18
	s_addc_u32 s11, s11, s19
	s_add_u32 s14, s14, s18
	v_cndmask_b32_e64 v4, 0, 1, s[0:1]
	s_addc_u32 s15, s15, s19
	s_ashr_i32 s17, s16, 31
	s_or_b64 s[18:19], s[22:23], s[0:1]
	v_mov_b32_e32 v1, v0
	v_mov_b32_e32 v2, v0
	;; [unrolled: 1-line block ×4, first 2 shown]
	s_lshl_b64 s[24:25], s[16:17], 3
	v_cmp_ne_u32_e64 s[0:1], 1, v4
	v_mov_b32_e32 v17, v16
	s_branch .LBB18_20
.LBB18_19:                              ;   in Loop: Header=BB18_20 Depth=1
	v_cvt_f16_f32_e32 v7, v7
	v_cvt_f16_f32_e32 v6, v6
	s_waitcnt vmcnt(0)
	v_cvt_f16_f32_e32 v14, v5
	v_cvt_f16_f32_e32 v4, v4
	v_add_u32_e32 v17, s16, v17
	v_cmp_le_i32_e32 vcc, s28, v17
	v_pack_b32_f16 v5, v6, v7
	v_pack_b32_f16 v4, v4, v14
	v_lshl_add_u64 v[6:7], s[10:11], 0, v[8:9]
	s_or_b64 s[20:21], vcc, s[20:21]
	v_lshl_add_u64 v[8:9], v[8:9], 0, s[24:25]
	global_store_dwordx2 v[6:7], v[4:5], off
	s_andn2_b64 exec, exec, s[20:21]
	s_cbranch_execz .LBB18_32
.LBB18_20:                              ; =>This Inner Loop Header: Depth=1
	v_lshl_add_u64 v[4:5], s[14:15], 0, v[8:9]
	global_load_dwordx2 v[14:15], v[4:5], off
	s_and_b64 vcc, exec, s[18:19]
	s_cbranch_vccz .LBB18_24
; %bb.21:                               ;   in Loop: Header=BB18_20 Depth=1
	s_and_b64 vcc, exec, s[22:23]
	s_cbranch_vccz .LBB18_25
; %bb.22:                               ;   in Loop: Header=BB18_20 Depth=1
	s_and_b64 vcc, exec, s[0:1]
	s_cbranch_vccnz .LBB18_26
; %bb.23:                               ;   in Loop: Header=BB18_20 Depth=1
	s_waitcnt vmcnt(0)
	v_cvt_f32_f16_sdwa v5, v14 dst_sel:DWORD dst_unused:UNUSED_PAD src0_sel:WORD_1
	v_cvt_f32_f16_sdwa v7, v15 dst_sel:DWORD dst_unused:UNUSED_PAD src0_sel:WORD_1
	v_cvt_f32_f16_e32 v6, v15
	v_cvt_f32_f16_e32 v4, v14
	v_pk_mul_f32 v[6:7], v[12:13], v[6:7]
	v_pk_mul_f32 v[4:5], v[10:11], v[4:5]
	s_cbranch_execz .LBB18_27
	s_branch .LBB18_28
.LBB18_24:                              ;   in Loop: Header=BB18_20 Depth=1
                                        ; implicit-def: $vgpr4_vgpr5_vgpr6_vgpr7
	s_branch .LBB18_31
.LBB18_25:                              ;   in Loop: Header=BB18_20 Depth=1
                                        ; implicit-def: $vgpr4_vgpr5_vgpr6_vgpr7
	s_branch .LBB18_29
.LBB18_26:                              ;   in Loop: Header=BB18_20 Depth=1
                                        ; implicit-def: $vgpr4_vgpr5_vgpr6_vgpr7
.LBB18_27:                              ;   in Loop: Header=BB18_20 Depth=1
	v_lshl_add_u64 v[4:5], s[6:7], 0, v[8:9]
	global_load_dwordx2 v[4:5], v[4:5], off
	s_waitcnt vmcnt(1)
	v_cvt_f32_f16_e32 v6, v14
	v_cvt_f32_f16_sdwa v7, v14 dst_sel:DWORD dst_unused:UNUSED_PAD src0_sel:WORD_1
	v_cvt_f32_f16_sdwa v22, v15 dst_sel:DWORD dst_unused:UNUSED_PAD src0_sel:WORD_1
	v_cvt_f32_f16_e32 v23, v15
	v_sub_f32_e32 v18, v6, v0
	v_sub_f32_e32 v19, v7, v1
	s_waitcnt vmcnt(0)
	v_cvt_f32_f16_e32 v20, v4
	v_cvt_f32_f16_e32 v6, v5
	v_cvt_f32_f16_sdwa v7, v5 dst_sel:DWORD dst_unused:UNUSED_PAD src0_sel:WORD_1
	v_cvt_f32_f16_sdwa v21, v4 dst_sel:DWORD dst_unused:UNUSED_PAD src0_sel:WORD_1
	v_sub_f32_e32 v4, v23, v2
	v_sub_f32_e32 v5, v22, v3
	v_pk_fma_f32 v[6:7], v[12:13], v[4:5], v[6:7]
	v_pk_fma_f32 v[4:5], v[10:11], v[18:19], v[20:21]
.LBB18_28:                              ;   in Loop: Header=BB18_20 Depth=1
	s_cbranch_execnz .LBB18_30
.LBB18_29:                              ;   in Loop: Header=BB18_20 Depth=1
	v_lshl_add_u64 v[4:5], s[4:5], 0, v[8:9]
	global_load_dwordx2 v[4:5], v[4:5], off
	s_waitcnt vmcnt(1)
	v_cvt_f32_f16_sdwa v7, v14 dst_sel:DWORD dst_unused:UNUSED_PAD src0_sel:WORD_1
	v_cvt_f32_f16_sdwa v19, v15 dst_sel:DWORD dst_unused:UNUSED_PAD src0_sel:WORD_1
	v_cvt_f32_f16_e32 v6, v14
	v_cvt_f32_f16_e32 v18, v15
	s_waitcnt vmcnt(0)
	v_cvt_f32_f16_e32 v20, v4
	v_cvt_f32_f16_e32 v22, v5
	v_cvt_f32_f16_sdwa v23, v5 dst_sel:DWORD dst_unused:UNUSED_PAD src0_sel:WORD_1
	v_cvt_f32_f16_sdwa v21, v4 dst_sel:DWORD dst_unused:UNUSED_PAD src0_sel:WORD_1
	v_pk_mul_f32 v[4:5], v[12:13], v[18:19]
	v_pk_mul_f32 v[18:19], v[10:11], v[6:7]
	;; [unrolled: 1-line block ×4, first 2 shown]
.LBB18_30:                              ;   in Loop: Header=BB18_20 Depth=1
	s_cbranch_execnz .LBB18_19
.LBB18_31:                              ;   in Loop: Header=BB18_20 Depth=1
	v_lshl_add_u64 v[4:5], s[4:5], 0, v[8:9]
	global_load_dwordx2 v[4:5], v[4:5], off
	s_waitcnt vmcnt(1)
	v_cvt_f32_f16_sdwa v7, v14 dst_sel:DWORD dst_unused:UNUSED_PAD src0_sel:WORD_1
	v_cvt_f32_f16_sdwa v19, v15 dst_sel:DWORD dst_unused:UNUSED_PAD src0_sel:WORD_1
	v_cvt_f32_f16_e32 v6, v14
	v_cvt_f32_f16_e32 v18, v15
	s_waitcnt vmcnt(0)
	v_cvt_f32_f16_e32 v14, v4
	v_cvt_f32_f16_e32 v20, v5
	v_cvt_f32_f16_sdwa v21, v5 dst_sel:DWORD dst_unused:UNUSED_PAD src0_sel:WORD_1
	v_cvt_f32_f16_sdwa v15, v4 dst_sel:DWORD dst_unused:UNUSED_PAD src0_sel:WORD_1
	v_pk_mul_f32 v[4:5], v[12:13], v[18:19]
	v_pk_mul_f32 v[18:19], v[10:11], v[6:7]
	;; [unrolled: 1-line block ×4, first 2 shown]
	s_branch .LBB18_19
.LBB18_32:
	s_or_b64 exec, exec, s[12:13]
	v_cmp_eq_u32_e32 vcc, 0, v16
	s_and_saveexec_b64 s[0:1], vcc
	s_cbranch_execz .LBB18_34
; %bb.33:
	s_lshl_b64 s[0:1], s[2:3], 2
	s_waitcnt lgkmcnt(0)
	s_add_u32 s0, s8, s0
	s_addc_u32 s1, s9, s1
	v_mov_b32_e32 v0, 0
	global_store_dword v0, v10, s[0:1]
.LBB18_34:
	s_endpgm
	.section	.rodata,"a",@progbits
	.p2align	6, 0x0
	.amdhsa_kernel _ZN2at6native12_GLOBAL__N_128vectorized_layer_norm_kernelIN3c104HalfEfLb1EEEviT0_PKT_S8_S8_PS5_S9_PS6_
		.amdhsa_group_segment_fixed_size 0
		.amdhsa_private_segment_fixed_size 0
		.amdhsa_kernarg_size 312
		.amdhsa_user_sgpr_count 2
		.amdhsa_user_sgpr_dispatch_ptr 0
		.amdhsa_user_sgpr_queue_ptr 0
		.amdhsa_user_sgpr_kernarg_segment_ptr 1
		.amdhsa_user_sgpr_dispatch_id 0
		.amdhsa_user_sgpr_kernarg_preload_length 0
		.amdhsa_user_sgpr_kernarg_preload_offset 0
		.amdhsa_user_sgpr_private_segment_size 0
		.amdhsa_uses_dynamic_stack 0
		.amdhsa_enable_private_segment 0
		.amdhsa_system_sgpr_workgroup_id_x 1
		.amdhsa_system_sgpr_workgroup_id_y 0
		.amdhsa_system_sgpr_workgroup_id_z 0
		.amdhsa_system_sgpr_workgroup_info 0
		.amdhsa_system_vgpr_workitem_id 1
		.amdhsa_next_free_vgpr 24
		.amdhsa_next_free_sgpr 29
		.amdhsa_accum_offset 24
		.amdhsa_reserve_vcc 1
		.amdhsa_float_round_mode_32 0
		.amdhsa_float_round_mode_16_64 0
		.amdhsa_float_denorm_mode_32 3
		.amdhsa_float_denorm_mode_16_64 3
		.amdhsa_dx10_clamp 1
		.amdhsa_ieee_mode 1
		.amdhsa_fp16_overflow 0
		.amdhsa_tg_split 0
		.amdhsa_exception_fp_ieee_invalid_op 0
		.amdhsa_exception_fp_denorm_src 0
		.amdhsa_exception_fp_ieee_div_zero 0
		.amdhsa_exception_fp_ieee_overflow 0
		.amdhsa_exception_fp_ieee_underflow 0
		.amdhsa_exception_fp_ieee_inexact 0
		.amdhsa_exception_int_div_zero 0
	.end_amdhsa_kernel
	.section	.text._ZN2at6native12_GLOBAL__N_128vectorized_layer_norm_kernelIN3c104HalfEfLb1EEEviT0_PKT_S8_S8_PS5_S9_PS6_,"axG",@progbits,_ZN2at6native12_GLOBAL__N_128vectorized_layer_norm_kernelIN3c104HalfEfLb1EEEviT0_PKT_S8_S8_PS5_S9_PS6_,comdat
.Lfunc_end18:
	.size	_ZN2at6native12_GLOBAL__N_128vectorized_layer_norm_kernelIN3c104HalfEfLb1EEEviT0_PKT_S8_S8_PS5_S9_PS6_, .Lfunc_end18-_ZN2at6native12_GLOBAL__N_128vectorized_layer_norm_kernelIN3c104HalfEfLb1EEEviT0_PKT_S8_S8_PS5_S9_PS6_
                                        ; -- End function
	.section	.AMDGPU.csdata,"",@progbits
; Kernel info:
; codeLenInByte = 1696
; NumSgprs: 35
; NumVgprs: 24
; NumAgprs: 0
; TotalNumVgprs: 24
; ScratchSize: 0
; MemoryBound: 0
; FloatMode: 240
; IeeeMode: 1
; LDSByteSize: 0 bytes/workgroup (compile time only)
; SGPRBlocks: 4
; VGPRBlocks: 2
; NumSGPRsForWavesPerEU: 35
; NumVGPRsForWavesPerEU: 24
; AccumOffset: 24
; Occupancy: 8
; WaveLimiterHint : 0
; COMPUTE_PGM_RSRC2:SCRATCH_EN: 0
; COMPUTE_PGM_RSRC2:USER_SGPR: 2
; COMPUTE_PGM_RSRC2:TRAP_HANDLER: 0
; COMPUTE_PGM_RSRC2:TGID_X_EN: 1
; COMPUTE_PGM_RSRC2:TGID_Y_EN: 0
; COMPUTE_PGM_RSRC2:TGID_Z_EN: 0
; COMPUTE_PGM_RSRC2:TIDIG_COMP_CNT: 1
; COMPUTE_PGM_RSRC3_GFX90A:ACCUM_OFFSET: 5
; COMPUTE_PGM_RSRC3_GFX90A:TG_SPLIT: 0
	.section	.text._ZN2at6native12_GLOBAL__N_124RowwiseMomentsCUDAKernelIN3c104HalfEfLb1EEEvlT0_PKT_PS5_S9_,"axG",@progbits,_ZN2at6native12_GLOBAL__N_124RowwiseMomentsCUDAKernelIN3c104HalfEfLb1EEEvlT0_PKT_PS5_S9_,comdat
	.globl	_ZN2at6native12_GLOBAL__N_124RowwiseMomentsCUDAKernelIN3c104HalfEfLb1EEEvlT0_PKT_PS5_S9_ ; -- Begin function _ZN2at6native12_GLOBAL__N_124RowwiseMomentsCUDAKernelIN3c104HalfEfLb1EEEvlT0_PKT_PS5_S9_
	.p2align	8
	.type	_ZN2at6native12_GLOBAL__N_124RowwiseMomentsCUDAKernelIN3c104HalfEfLb1EEEvlT0_PKT_PS5_S9_,@function
_ZN2at6native12_GLOBAL__N_124RowwiseMomentsCUDAKernelIN3c104HalfEfLb1EEEvlT0_PKT_PS5_S9_: ; @_ZN2at6native12_GLOBAL__N_124RowwiseMomentsCUDAKernelIN3c104HalfEfLb1EEEvlT0_PKT_PS5_S9_
; %bb.0:
	s_load_dwordx2 s[4:5], s[0:1], 0x0
	s_mov_b32 s3, 0
	v_mov_b32_e32 v1, 0
	s_mov_b32 s6, s3
	s_mov_b32 s7, s3
	s_waitcnt lgkmcnt(0)
	v_cmp_gt_i64_e32 vcc, s[4:5], v[0:1]
	v_mov_b64_e32 v[2:3], s[6:7]
	v_mov_b64_e32 v[4:5], 0
	s_and_saveexec_b64 s[6:7], vcc
	s_cbranch_execz .LBB19_4
; %bb.1:
	s_load_dword s8, s[0:1], 0x34
	s_load_dwordx2 s[10:11], s[0:1], 0x10
	s_mul_i32 s12, s5, s2
	s_mul_hi_u32 s13, s4, s2
	s_add_i32 s13, s13, s12
	s_mul_i32 s12, s4, s2
	s_waitcnt lgkmcnt(0)
	s_and_b32 s8, s8, 0xffff
	s_lshl_b64 s[12:13], s[12:13], 1
	s_add_u32 s10, s10, s12
	v_lshlrev_b32_e32 v6, 1, v0
	v_mov_b32_e32 v7, 0
	s_addc_u32 s11, s11, s13
	s_mov_b32 s9, s3
	v_lshl_add_u64 v[8:9], s[10:11], 0, v[6:7]
	s_lshl_b32 s10, s8, 1
	s_mov_b32 s11, s3
	s_mov_b64 s[12:13], 0
	v_mov_b64_e32 v[10:11], v[0:1]
	s_mov_b64 s[14:15], 0
	v_mov_b32_e32 v3, v7
.LBB19_2:                               ; =>This Inner Loop Header: Depth=1
	global_load_ushort v1, v[8:9], off
	s_add_u32 s14, s14, 1
	s_addc_u32 s15, s15, 0
	s_flbit_i32_b32 s16, s15
	s_min_u32 s18, s16, 32
	s_lshl_b64 s[16:17], s[14:15], s18
	s_min_u32 s16, s16, 1
	s_or_b32 s16, s17, s16
	v_cvt_f32_u32_e32 v2, s16
	s_sub_i32 s18, 32, s18
	v_lshl_add_u64 v[10:11], v[10:11], 0, s[8:9]
	v_cmp_le_i64_e32 vcc, s[4:5], v[10:11]
	s_or_b64 s[12:13], vcc, s[12:13]
	v_lshl_add_u64 v[8:9], v[8:9], 0, s[10:11]
	v_mov_b64_e32 v[4:5], s[14:15]
	s_waitcnt vmcnt(0)
	v_cvt_f32_f16_e32 v6, v1
	v_ldexp_f32 v1, v2, s18
	v_sub_f32_e32 v2, v6, v3
	v_div_scale_f32 v12, s[16:17], v1, v1, v2
	v_rcp_f32_e32 v13, v12
	v_div_scale_f32 v14, vcc, v2, v1, v2
	v_fma_f32 v15, -v12, v13, 1.0
	v_fmac_f32_e32 v13, v15, v13
	v_mul_f32_e32 v15, v14, v13
	v_fma_f32 v16, -v12, v15, v14
	v_fmac_f32_e32 v15, v16, v13
	v_fma_f32 v12, -v12, v15, v14
	v_div_fmas_f32 v12, v12, v13, v15
	v_div_fixup_f32 v12, v12, v1, v2
	v_add_f32_e32 v3, v3, v12
	v_sub_f32_e32 v6, v6, v3
	v_fmac_f32_e32 v7, v2, v6
	s_andn2_b64 exec, exec, s[12:13]
	s_cbranch_execnz .LBB19_2
; %bb.3:
	s_or_b64 exec, exec, s[12:13]
	v_mov_b32_e32 v2, v7
.LBB19_4:
	s_or_b64 exec, exec, s[6:7]
	v_mbcnt_lo_u32_b32 v6, -1, 0
	v_mbcnt_hi_u32_b32 v14, -1, v6
	v_and_b32_e32 v15, 63, v14
	v_cmp_gt_u32_e32 vcc, 32, v15
	s_nop 1
	v_cndmask_b32_e64 v6, 0, 1, vcc
	v_lshlrev_b32_e32 v6, 5, v6
	v_add_lshl_u32 v10, v6, v14, 2
	ds_bpermute_b32 v7, v10, v3
	ds_bpermute_b32 v6, v10, v2
	;; [unrolled: 1-line block ×5, first 2 shown]
	v_cmp_neq_f32_e32 vcc, 0, v1
	s_and_saveexec_b64 s[4:5], vcc
	s_xor_b64 s[4:5], exec, s[4:5]
	s_cbranch_execz .LBB19_8
; %bb.5:
	s_waitcnt lgkmcnt(0)
	v_cmp_neq_f32_e32 vcc, 0, v11
	s_and_saveexec_b64 s[6:7], vcc
	s_cbranch_execz .LBB19_7
; %bb.6:
	v_add_f32_e32 v9, v1, v11
	v_div_scale_f32 v8, s[8:9], v9, v9, v11
	v_rcp_f32_e32 v12, v8
	v_pk_add_f32 v[4:5], v[6:7], v[2:3] neg_lo:[0,1] neg_hi:[0,1]
	v_pk_add_f32 v[6:7], v[2:3], v[6:7]
	v_mul_f32_e32 v2, v5, v5
	v_fma_f32 v4, -v8, v12, 1.0
	v_fmac_f32_e32 v12, v4, v12
	v_div_scale_f32 v4, vcc, v11, v9, v11
	v_mul_f32_e32 v13, v4, v12
	v_fma_f32 v16, -v8, v13, v4
	v_fmac_f32_e32 v13, v16, v12
	v_fma_f32 v4, -v8, v13, v4
	v_div_fmas_f32 v4, v4, v12, v13
	v_div_fixup_f32 v8, v4, v9, v11
	v_mul_f32_e32 v4, v1, v2
	v_mov_b32_e32 v7, v3
	v_pk_fma_f32 v[2:3], v[4:5], v[8:9], v[6:7] op_sel_hi:[1,0,1]
	v_mov_b64_e32 v[4:5], -1
	v_mov_b32_e32 v1, v9
.LBB19_7:
	s_or_b64 exec, exec, s[6:7]
                                        ; implicit-def: $vgpr6_vgpr7
                                        ; implicit-def: $vgpr8
                                        ; implicit-def: $vgpr11
.LBB19_8:
	s_andn2_saveexec_b64 s[4:5], s[4:5]
	s_cbranch_execz .LBB19_10
; %bb.9:
	s_waitcnt lgkmcnt(0)
	v_mov_b32_e32 v1, v11
	v_mov_b64_e32 v[4:5], v[8:9]
	v_mov_b64_e32 v[2:3], v[6:7]
.LBB19_10:
	s_or_b64 exec, exec, s[4:5]
	v_cmp_gt_u32_e32 vcc, 48, v15
	s_waitcnt lgkmcnt(3)
	s_nop 0
	v_cndmask_b32_e64 v6, 0, 1, vcc
	v_lshlrev_b32_e32 v6, 4, v6
	s_waitcnt lgkmcnt(0)
	v_add_lshl_u32 v11, v6, v14, 2
	ds_bpermute_b32 v7, v11, v3
	ds_bpermute_b32 v6, v11, v2
	;; [unrolled: 1-line block ×5, first 2 shown]
	v_cmp_neq_f32_e32 vcc, 0, v1
	s_and_saveexec_b64 s[4:5], vcc
	s_xor_b64 s[4:5], exec, s[4:5]
	s_cbranch_execz .LBB19_14
; %bb.11:
	s_waitcnt lgkmcnt(0)
	v_cmp_neq_f32_e32 vcc, 0, v12
	s_and_saveexec_b64 s[6:7], vcc
	s_cbranch_execz .LBB19_13
; %bb.12:
	v_add_f32_e32 v9, v1, v12
	v_div_scale_f32 v8, s[8:9], v9, v9, v12
	v_rcp_f32_e32 v13, v8
	v_pk_add_f32 v[4:5], v[6:7], v[2:3] neg_lo:[0,1] neg_hi:[0,1]
	v_pk_add_f32 v[6:7], v[2:3], v[6:7]
	v_mul_f32_e32 v2, v5, v5
	v_fma_f32 v4, -v8, v13, 1.0
	v_fmac_f32_e32 v13, v4, v13
	v_div_scale_f32 v4, vcc, v12, v9, v12
	v_mul_f32_e32 v16, v4, v13
	v_fma_f32 v17, -v8, v16, v4
	v_fmac_f32_e32 v16, v17, v13
	v_fma_f32 v4, -v8, v16, v4
	v_div_fmas_f32 v4, v4, v13, v16
	v_div_fixup_f32 v8, v4, v9, v12
	v_mul_f32_e32 v4, v1, v2
	v_mov_b32_e32 v7, v3
	v_pk_fma_f32 v[2:3], v[4:5], v[8:9], v[6:7] op_sel_hi:[1,0,1]
	v_mov_b64_e32 v[4:5], -1
	v_mov_b32_e32 v1, v9
.LBB19_13:
	s_or_b64 exec, exec, s[6:7]
                                        ; implicit-def: $vgpr6_vgpr7
                                        ; implicit-def: $vgpr8
                                        ; implicit-def: $vgpr12
.LBB19_14:
	s_andn2_saveexec_b64 s[4:5], s[4:5]
	s_cbranch_execz .LBB19_16
; %bb.15:
	s_waitcnt lgkmcnt(0)
	v_mov_b32_e32 v1, v12
	v_mov_b64_e32 v[4:5], v[8:9]
	v_mov_b64_e32 v[2:3], v[6:7]
.LBB19_16:
	s_or_b64 exec, exec, s[4:5]
	v_cmp_gt_u32_e32 vcc, 56, v15
	s_waitcnt lgkmcnt(3)
	s_nop 0
	v_cndmask_b32_e64 v6, 0, 1, vcc
	v_lshlrev_b32_e32 v6, 3, v6
	s_waitcnt lgkmcnt(0)
	v_add_lshl_u32 v12, v6, v14, 2
	ds_bpermute_b32 v7, v12, v3
	ds_bpermute_b32 v6, v12, v2
	;; [unrolled: 1-line block ×5, first 2 shown]
	v_cmp_neq_f32_e32 vcc, 0, v1
	s_and_saveexec_b64 s[4:5], vcc
	s_xor_b64 s[4:5], exec, s[4:5]
	s_cbranch_execz .LBB19_20
; %bb.17:
	s_waitcnt lgkmcnt(0)
	v_cmp_neq_f32_e32 vcc, 0, v13
	s_and_saveexec_b64 s[6:7], vcc
	s_cbranch_execz .LBB19_19
; %bb.18:
	v_add_f32_e32 v9, v1, v13
	v_div_scale_f32 v8, s[8:9], v9, v9, v13
	v_rcp_f32_e32 v16, v8
	v_pk_add_f32 v[4:5], v[6:7], v[2:3] neg_lo:[0,1] neg_hi:[0,1]
	v_pk_add_f32 v[6:7], v[2:3], v[6:7]
	v_mul_f32_e32 v2, v5, v5
	v_fma_f32 v4, -v8, v16, 1.0
	v_fmac_f32_e32 v16, v4, v16
	v_div_scale_f32 v4, vcc, v13, v9, v13
	v_mul_f32_e32 v17, v4, v16
	v_fma_f32 v18, -v8, v17, v4
	v_fmac_f32_e32 v17, v18, v16
	v_fma_f32 v4, -v8, v17, v4
	v_div_fmas_f32 v4, v4, v16, v17
	v_div_fixup_f32 v8, v4, v9, v13
	v_mul_f32_e32 v4, v1, v2
	v_mov_b32_e32 v7, v3
	v_pk_fma_f32 v[2:3], v[4:5], v[8:9], v[6:7] op_sel_hi:[1,0,1]
	v_mov_b64_e32 v[4:5], -1
	v_mov_b32_e32 v1, v9
.LBB19_19:
	s_or_b64 exec, exec, s[6:7]
                                        ; implicit-def: $vgpr6_vgpr7
                                        ; implicit-def: $vgpr8
                                        ; implicit-def: $vgpr13
.LBB19_20:
	s_andn2_saveexec_b64 s[4:5], s[4:5]
	s_cbranch_execz .LBB19_22
; %bb.21:
	s_waitcnt lgkmcnt(0)
	v_mov_b32_e32 v1, v13
	v_mov_b64_e32 v[4:5], v[8:9]
	v_mov_b64_e32 v[2:3], v[6:7]
.LBB19_22:
	s_or_b64 exec, exec, s[4:5]
	v_cmp_gt_u32_e32 vcc, 60, v15
	s_waitcnt lgkmcnt(3)
	s_nop 0
	v_cndmask_b32_e64 v6, 0, 1, vcc
	v_lshlrev_b32_e32 v6, 2, v6
	s_waitcnt lgkmcnt(0)
	v_add_lshl_u32 v13, v6, v14, 2
	ds_bpermute_b32 v7, v13, v3
	ds_bpermute_b32 v6, v13, v2
	;; [unrolled: 1-line block ×5, first 2 shown]
	v_cmp_neq_f32_e32 vcc, 0, v1
	s_and_saveexec_b64 s[4:5], vcc
	s_xor_b64 s[4:5], exec, s[4:5]
	s_cbranch_execz .LBB19_26
; %bb.23:
	s_waitcnt lgkmcnt(0)
	v_cmp_neq_f32_e32 vcc, 0, v16
	s_and_saveexec_b64 s[6:7], vcc
	s_cbranch_execz .LBB19_25
; %bb.24:
	v_add_f32_e32 v9, v1, v16
	v_div_scale_f32 v8, s[8:9], v9, v9, v16
	v_rcp_f32_e32 v17, v8
	v_pk_add_f32 v[4:5], v[6:7], v[2:3] neg_lo:[0,1] neg_hi:[0,1]
	v_pk_add_f32 v[6:7], v[2:3], v[6:7]
	v_mul_f32_e32 v2, v5, v5
	v_fma_f32 v4, -v8, v17, 1.0
	v_fmac_f32_e32 v17, v4, v17
	v_div_scale_f32 v4, vcc, v16, v9, v16
	v_mul_f32_e32 v18, v4, v17
	v_fma_f32 v19, -v8, v18, v4
	v_fmac_f32_e32 v18, v19, v17
	v_fma_f32 v4, -v8, v18, v4
	v_div_fmas_f32 v4, v4, v17, v18
	v_div_fixup_f32 v8, v4, v9, v16
	v_mul_f32_e32 v4, v1, v2
	v_mov_b32_e32 v7, v3
	v_pk_fma_f32 v[2:3], v[4:5], v[8:9], v[6:7] op_sel_hi:[1,0,1]
	v_mov_b64_e32 v[4:5], -1
	v_mov_b32_e32 v1, v9
.LBB19_25:
	s_or_b64 exec, exec, s[6:7]
                                        ; implicit-def: $vgpr6_vgpr7
                                        ; implicit-def: $vgpr8
                                        ; implicit-def: $vgpr16
.LBB19_26:
	s_andn2_saveexec_b64 s[4:5], s[4:5]
	s_cbranch_execz .LBB19_28
; %bb.27:
	s_waitcnt lgkmcnt(0)
	v_mov_b32_e32 v1, v16
	v_mov_b64_e32 v[4:5], v[8:9]
	v_mov_b64_e32 v[2:3], v[6:7]
.LBB19_28:
	s_or_b64 exec, exec, s[4:5]
	v_cmp_gt_u32_e32 vcc, 62, v15
	s_waitcnt lgkmcnt(3)
	s_nop 0
	v_cndmask_b32_e64 v6, 0, 1, vcc
	v_lshlrev_b32_e32 v6, 1, v6
	s_waitcnt lgkmcnt(0)
	v_add_lshl_u32 v16, v6, v14, 2
	ds_bpermute_b32 v7, v16, v3
	ds_bpermute_b32 v6, v16, v2
	;; [unrolled: 1-line block ×5, first 2 shown]
	v_cmp_neq_f32_e32 vcc, 0, v1
	s_and_saveexec_b64 s[4:5], vcc
	s_xor_b64 s[4:5], exec, s[4:5]
	s_cbranch_execz .LBB19_32
; %bb.29:
	s_waitcnt lgkmcnt(0)
	v_cmp_neq_f32_e32 vcc, 0, v17
	s_and_saveexec_b64 s[6:7], vcc
	s_cbranch_execz .LBB19_31
; %bb.30:
	v_add_f32_e32 v9, v1, v17
	v_div_scale_f32 v8, s[8:9], v9, v9, v17
	v_rcp_f32_e32 v18, v8
	v_pk_add_f32 v[4:5], v[6:7], v[2:3] neg_lo:[0,1] neg_hi:[0,1]
	v_pk_add_f32 v[6:7], v[2:3], v[6:7]
	v_mul_f32_e32 v2, v5, v5
	v_fma_f32 v4, -v8, v18, 1.0
	v_fmac_f32_e32 v18, v4, v18
	v_div_scale_f32 v4, vcc, v17, v9, v17
	v_mul_f32_e32 v19, v4, v18
	v_fma_f32 v20, -v8, v19, v4
	v_fmac_f32_e32 v19, v20, v18
	v_fma_f32 v4, -v8, v19, v4
	v_div_fmas_f32 v4, v4, v18, v19
	v_div_fixup_f32 v8, v4, v9, v17
	v_mul_f32_e32 v4, v1, v2
	v_mov_b32_e32 v7, v3
	v_pk_fma_f32 v[2:3], v[4:5], v[8:9], v[6:7] op_sel_hi:[1,0,1]
	v_mov_b64_e32 v[4:5], -1
	v_mov_b32_e32 v1, v9
.LBB19_31:
	s_or_b64 exec, exec, s[6:7]
                                        ; implicit-def: $vgpr6_vgpr7
                                        ; implicit-def: $vgpr8
                                        ; implicit-def: $vgpr17
.LBB19_32:
	s_andn2_saveexec_b64 s[4:5], s[4:5]
	s_cbranch_execz .LBB19_34
; %bb.33:
	s_waitcnt lgkmcnt(0)
	v_mov_b32_e32 v1, v17
	v_mov_b64_e32 v[4:5], v[8:9]
	v_mov_b64_e32 v[2:3], v[6:7]
.LBB19_34:
	s_or_b64 exec, exec, s[4:5]
	v_cmp_ne_u32_e32 vcc, 63, v15
	s_waitcnt lgkmcnt(3)
	s_nop 0
	v_addc_co_u32_e32 v6, vcc, 0, v14, vcc
	v_lshlrev_b32_e32 v14, 2, v6
	ds_bpermute_b32 v7, v14, v3
	ds_bpermute_b32 v6, v14, v2
	s_waitcnt lgkmcnt(4)
	ds_bpermute_b32 v8, v14, v4
	s_waitcnt lgkmcnt(4)
	ds_bpermute_b32 v9, v14, v5
	ds_bpermute_b32 v15, v14, v1
	v_cmp_neq_f32_e32 vcc, 0, v1
	s_and_saveexec_b64 s[4:5], vcc
	s_xor_b64 s[4:5], exec, s[4:5]
	s_cbranch_execz .LBB19_38
; %bb.35:
	s_waitcnt lgkmcnt(0)
	v_cmp_neq_f32_e32 vcc, 0, v15
	s_and_saveexec_b64 s[6:7], vcc
	s_cbranch_execz .LBB19_37
; %bb.36:
	v_add_f32_e32 v9, v1, v15
	v_div_scale_f32 v8, s[8:9], v9, v9, v15
	v_rcp_f32_e32 v17, v8
	v_pk_add_f32 v[4:5], v[6:7], v[2:3] neg_lo:[0,1] neg_hi:[0,1]
	v_pk_add_f32 v[6:7], v[2:3], v[6:7]
	v_mul_f32_e32 v2, v5, v5
	v_fma_f32 v4, -v8, v17, 1.0
	v_fmac_f32_e32 v17, v4, v17
	v_div_scale_f32 v4, vcc, v15, v9, v15
	v_mul_f32_e32 v18, v4, v17
	v_fma_f32 v19, -v8, v18, v4
	v_fmac_f32_e32 v18, v19, v17
	v_fma_f32 v4, -v8, v18, v4
	v_div_fmas_f32 v4, v4, v17, v18
	v_div_fixup_f32 v8, v4, v9, v15
	v_mul_f32_e32 v4, v1, v2
	v_mov_b32_e32 v7, v3
	v_pk_fma_f32 v[2:3], v[4:5], v[8:9], v[6:7] op_sel_hi:[1,0,1]
	v_mov_b64_e32 v[4:5], -1
	v_mov_b32_e32 v1, v9
.LBB19_37:
	s_or_b64 exec, exec, s[6:7]
                                        ; implicit-def: $vgpr6_vgpr7
                                        ; implicit-def: $vgpr8
                                        ; implicit-def: $vgpr15
.LBB19_38:
	s_andn2_saveexec_b64 s[4:5], s[4:5]
	s_cbranch_execz .LBB19_40
; %bb.39:
	s_waitcnt lgkmcnt(0)
	v_mov_b32_e32 v1, v15
	v_mov_b64_e32 v[4:5], v[8:9]
	v_mov_b64_e32 v[2:3], v[6:7]
.LBB19_40:
	s_or_b64 exec, exec, s[4:5]
	s_waitcnt lgkmcnt(3)
	v_and_b32_e32 v6, 63, v0
	v_cmp_eq_u32_e32 vcc, 0, v6
	s_waitcnt lgkmcnt(0)
	s_barrier
	s_and_saveexec_b64 s[4:5], vcc
	s_cbranch_execz .LBB19_42
; %bb.41:
	v_lshrrev_b32_e32 v7, 6, v0
	v_mul_u32_u24_e32 v7, 24, v7
	v_mov_b32_e32 v8, v3
	v_mov_b32_e32 v9, v2
	ds_write2_b64 v7, v[8:9], v[4:5] offset1:1
	ds_write_b32 v7, v1 offset:16
.LBB19_42:
	s_or_b64 exec, exec, s[4:5]
	s_waitcnt lgkmcnt(0)
	s_barrier
	s_load_dword s4, s[0:1], 0x34
	v_mul_u32_u24_e32 v4, 24, v6
	v_mov_b32_e32 v2, 0
	v_mov_b32_e32 v1, 0
	s_waitcnt lgkmcnt(0)
	s_bfe_u32 s4, s4, 0xa0006
	v_cmp_gt_u32_e32 vcc, s4, v0
	s_and_saveexec_b64 s[4:5], vcc
	s_cbranch_execnz .LBB19_48
; %bb.43:
	s_or_b64 exec, exec, s[4:5]
	s_and_saveexec_b64 s[4:5], vcc
	s_cbranch_execnz .LBB19_49
.LBB19_44:
	s_or_b64 exec, exec, s[4:5]
	v_mov_b32_e32 v3, 0
	s_and_saveexec_b64 s[4:5], vcc
	s_cbranch_execnz .LBB19_50
.LBB19_45:
	s_or_b64 exec, exec, s[4:5]
	v_cmp_gt_u32_e32 vcc, 64, v0
	s_and_saveexec_b64 s[4:5], vcc
	s_cbranch_execnz .LBB19_51
.LBB19_46:
	s_or_b64 exec, exec, s[4:5]
	v_cmp_eq_u32_e32 vcc, 0, v0
	s_and_saveexec_b64 s[4:5], vcc
	s_cbranch_execnz .LBB19_76
.LBB19_47:
	s_endpgm
.LBB19_48:
	ds_read_b32 v1, v4
	s_or_b64 exec, exec, s[4:5]
	s_and_saveexec_b64 s[4:5], vcc
	s_cbranch_execz .LBB19_44
.LBB19_49:
	ds_read_b32 v2, v4 offset:4
	s_or_b64 exec, exec, s[4:5]
	v_mov_b32_e32 v3, 0
	s_and_saveexec_b64 s[4:5], vcc
	s_cbranch_execz .LBB19_45
.LBB19_50:
	ds_read_b32 v3, v4 offset:16
	s_or_b64 exec, exec, s[4:5]
	v_cmp_gt_u32_e32 vcc, 64, v0
	s_and_saveexec_b64 s[4:5], vcc
	s_cbranch_execz .LBB19_46
.LBB19_51:
	s_waitcnt lgkmcnt(0)
	ds_bpermute_b32 v6, v10, v1
	ds_bpermute_b32 v4, v10, v2
	;; [unrolled: 1-line block ×3, first 2 shown]
	v_cmp_neq_f32_e32 vcc, 0, v3
	s_and_saveexec_b64 s[6:7], vcc
	s_cbranch_execz .LBB19_55
; %bb.52:
	s_waitcnt lgkmcnt(0)
	v_cmp_neq_f32_e32 vcc, 0, v5
	s_and_saveexec_b64 s[8:9], vcc
	s_cbranch_execz .LBB19_54
; %bb.53:
	v_sub_f32_e32 v6, v6, v1
	v_mul_f32_e32 v7, v6, v6
	v_mul_f32_e32 v7, v3, v7
	v_add_f32_e32 v3, v3, v5
	v_div_scale_f32 v8, s[10:11], v3, v3, v5
	v_rcp_f32_e32 v9, v8
	v_add_f32_e32 v2, v2, v4
	v_fma_f32 v4, -v8, v9, 1.0
	v_fmac_f32_e32 v9, v4, v9
	v_div_scale_f32 v4, vcc, v5, v3, v5
	v_mul_f32_e32 v10, v4, v9
	v_fma_f32 v15, -v8, v10, v4
	v_fmac_f32_e32 v10, v15, v9
	v_fma_f32 v4, -v8, v10, v4
	v_div_fmas_f32 v4, v4, v9, v10
	v_div_fixup_f32 v4, v4, v3, v5
	v_fmac_f32_e32 v1, v6, v4
	v_fmac_f32_e32 v2, v7, v4
.LBB19_54:
	s_or_b64 exec, exec, s[8:9]
	v_mov_b32_e32 v6, v1
	v_mov_b64_e32 v[4:5], v[2:3]
.LBB19_55:
	s_or_b64 exec, exec, s[6:7]
	s_waitcnt lgkmcnt(2)
	ds_bpermute_b32 v1, v11, v6
	s_waitcnt lgkmcnt(2)
	ds_bpermute_b32 v2, v11, v4
	s_waitcnt lgkmcnt(2)
	ds_bpermute_b32 v3, v11, v5
	v_cmp_neq_f32_e32 vcc, 0, v5
	s_and_saveexec_b64 s[6:7], vcc
	s_cbranch_execz .LBB19_59
; %bb.56:
	s_waitcnt lgkmcnt(0)
	v_cmp_neq_f32_e32 vcc, 0, v3
	s_and_saveexec_b64 s[8:9], vcc
	s_cbranch_execz .LBB19_58
; %bb.57:
	v_pk_add_f32 v[8:9], v[4:5], v[2:3]
	v_sub_f32_e32 v1, v1, v6
	v_div_scale_f32 v2, s[10:11], v9, v9, v3
	v_rcp_f32_e32 v4, v2
	v_mul_f32_e32 v7, v1, v1
	v_mul_f32_e32 v5, v5, v7
	v_fma_f32 v7, -v2, v4, 1.0
	v_fmac_f32_e32 v4, v7, v4
	v_div_scale_f32 v7, vcc, v3, v9, v3
	v_mul_f32_e32 v10, v7, v4
	v_fma_f32 v11, -v2, v10, v7
	v_fmac_f32_e32 v10, v11, v4
	v_fma_f32 v2, -v2, v10, v7
	v_div_fmas_f32 v2, v2, v4, v10
	v_div_fixup_f32 v2, v2, v9, v3
	v_fma_f32 v8, v5, v2, v8
	v_fmac_f32_e32 v6, v1, v2
	v_mov_b64_e32 v[4:5], v[8:9]
.LBB19_58:
	s_or_b64 exec, exec, s[8:9]
	v_mov_b32_e32 v1, v6
	v_mov_b64_e32 v[2:3], v[4:5]
.LBB19_59:
	s_or_b64 exec, exec, s[6:7]
	s_waitcnt lgkmcnt(2)
	ds_bpermute_b32 v6, v12, v1
	s_waitcnt lgkmcnt(2)
	ds_bpermute_b32 v4, v12, v2
	s_waitcnt lgkmcnt(2)
	ds_bpermute_b32 v5, v12, v3
	v_cmp_neq_f32_e32 vcc, 0, v3
	s_and_saveexec_b64 s[6:7], vcc
	s_cbranch_execz .LBB19_63
; %bb.60:
	s_waitcnt lgkmcnt(0)
	v_cmp_neq_f32_e32 vcc, 0, v5
	s_and_saveexec_b64 s[8:9], vcc
	s_cbranch_execz .LBB19_62
; %bb.61:
	v_pk_add_f32 v[8:9], v[2:3], v[4:5]
	v_sub_f32_e32 v6, v6, v1
	v_div_scale_f32 v2, s[10:11], v9, v9, v5
	v_rcp_f32_e32 v4, v2
	v_mul_f32_e32 v7, v6, v6
	v_mul_f32_e32 v3, v3, v7
	v_fma_f32 v7, -v2, v4, 1.0
	v_fmac_f32_e32 v4, v7, v4
	v_div_scale_f32 v7, vcc, v5, v9, v5
	v_mul_f32_e32 v10, v7, v4
	v_fma_f32 v11, -v2, v10, v7
	v_fmac_f32_e32 v10, v11, v4
	v_fma_f32 v2, -v2, v10, v7
	v_div_fmas_f32 v2, v2, v4, v10
	v_div_fixup_f32 v2, v2, v9, v5
	v_fma_f32 v8, v3, v2, v8
	v_fmac_f32_e32 v1, v6, v2
	v_mov_b64_e32 v[2:3], v[8:9]
.LBB19_62:
	s_or_b64 exec, exec, s[8:9]
	v_mov_b32_e32 v6, v1
	v_mov_b64_e32 v[4:5], v[2:3]
.LBB19_63:
	;; [unrolled: 39-line block ×4, first 2 shown]
	s_or_b64 exec, exec, s[6:7]
	s_waitcnt lgkmcnt(2)
	ds_bpermute_b32 v1, v14, v6
	s_waitcnt lgkmcnt(2)
	ds_bpermute_b32 v2, v14, v4
	s_waitcnt lgkmcnt(2)
	ds_bpermute_b32 v3, v14, v5
	v_cmp_neq_f32_e32 vcc, 0, v5
	s_and_saveexec_b64 s[6:7], vcc
	s_cbranch_execz .LBB19_75
; %bb.72:
	s_waitcnt lgkmcnt(0)
	v_cmp_neq_f32_e32 vcc, 0, v3
	s_and_saveexec_b64 s[8:9], vcc
	s_cbranch_execz .LBB19_74
; %bb.73:
	v_pk_add_f32 v[8:9], v[4:5], v[2:3]
	v_sub_f32_e32 v1, v1, v6
	v_div_scale_f32 v2, s[10:11], v9, v9, v3
	v_rcp_f32_e32 v4, v2
	v_mul_f32_e32 v7, v1, v1
	v_mul_f32_e32 v5, v5, v7
	v_fma_f32 v7, -v2, v4, 1.0
	v_fmac_f32_e32 v4, v7, v4
	v_div_scale_f32 v7, vcc, v3, v9, v3
	v_mul_f32_e32 v10, v7, v4
	v_fma_f32 v11, -v2, v10, v7
	v_fmac_f32_e32 v10, v11, v4
	v_fma_f32 v2, -v2, v10, v7
	v_div_fmas_f32 v2, v2, v4, v10
	v_div_fixup_f32 v2, v2, v9, v3
	v_fma_f32 v8, v5, v2, v8
	v_fmac_f32_e32 v6, v1, v2
	v_mov_b64_e32 v[4:5], v[8:9]
.LBB19_74:
	s_or_b64 exec, exec, s[8:9]
	v_mov_b64_e32 v[2:3], v[4:5]
	v_mov_b32_e32 v1, v6
.LBB19_75:
	s_or_b64 exec, exec, s[6:7]
	s_or_b64 exec, exec, s[4:5]
	v_cmp_eq_u32_e32 vcc, 0, v0
	s_and_saveexec_b64 s[4:5], vcc
	s_cbranch_execz .LBB19_47
.LBB19_76:
	s_waitcnt lgkmcnt(0)
	v_max_f32_e32 v0, v3, v3
	v_max_f32_e32 v0, 0, v0
	v_div_scale_f32 v3, s[4:5], v0, v0, v2
	v_rcp_f32_e32 v4, v3
	s_load_dword s6, s[0:1], 0x8
	s_load_dwordx2 s[4:5], s[0:1], 0x20
	s_mov_b32 s0, 0x800000
	v_fma_f32 v5, -v3, v4, 1.0
	v_fmac_f32_e32 v4, v5, v4
	v_div_scale_f32 v5, vcc, v2, v0, v2
	v_mul_f32_e32 v6, v5, v4
	v_fma_f32 v7, -v3, v6, v5
	v_fmac_f32_e32 v6, v7, v4
	v_fma_f32 v3, -v3, v6, v5
	v_div_fmas_f32 v3, v3, v4, v6
	v_div_fixup_f32 v0, v3, v0, v2
	v_fmac_f32_e32 v0, v1, v1
	s_waitcnt lgkmcnt(0)
	v_add_f32_e32 v0, s6, v0
	v_mul_f32_e32 v1, 0x4b800000, v0
	v_cmp_gt_f32_e32 vcc, s0, v0
	s_lshl_b64 s[0:1], s[2:3], 2
	s_add_u32 s0, s4, s0
	v_cndmask_b32_e32 v0, v0, v1, vcc
	v_rsq_f32_e32 v0, v0
	s_addc_u32 s1, s5, s1
	v_mul_f32_e32 v1, 0x45800000, v0
	v_cndmask_b32_e32 v0, v0, v1, vcc
	v_mov_b32_e32 v1, 0
	global_store_dword v1, v0, s[0:1]
	s_endpgm
	.section	.rodata,"a",@progbits
	.p2align	6, 0x0
	.amdhsa_kernel _ZN2at6native12_GLOBAL__N_124RowwiseMomentsCUDAKernelIN3c104HalfEfLb1EEEvlT0_PKT_PS5_S9_
		.amdhsa_group_segment_fixed_size 1536
		.amdhsa_private_segment_fixed_size 0
		.amdhsa_kernarg_size 296
		.amdhsa_user_sgpr_count 2
		.amdhsa_user_sgpr_dispatch_ptr 0
		.amdhsa_user_sgpr_queue_ptr 0
		.amdhsa_user_sgpr_kernarg_segment_ptr 1
		.amdhsa_user_sgpr_dispatch_id 0
		.amdhsa_user_sgpr_kernarg_preload_length 0
		.amdhsa_user_sgpr_kernarg_preload_offset 0
		.amdhsa_user_sgpr_private_segment_size 0
		.amdhsa_uses_dynamic_stack 0
		.amdhsa_enable_private_segment 0
		.amdhsa_system_sgpr_workgroup_id_x 1
		.amdhsa_system_sgpr_workgroup_id_y 0
		.amdhsa_system_sgpr_workgroup_id_z 0
		.amdhsa_system_sgpr_workgroup_info 0
		.amdhsa_system_vgpr_workitem_id 0
		.amdhsa_next_free_vgpr 21
		.amdhsa_next_free_sgpr 19
		.amdhsa_accum_offset 24
		.amdhsa_reserve_vcc 1
		.amdhsa_float_round_mode_32 0
		.amdhsa_float_round_mode_16_64 0
		.amdhsa_float_denorm_mode_32 3
		.amdhsa_float_denorm_mode_16_64 3
		.amdhsa_dx10_clamp 1
		.amdhsa_ieee_mode 1
		.amdhsa_fp16_overflow 0
		.amdhsa_tg_split 0
		.amdhsa_exception_fp_ieee_invalid_op 0
		.amdhsa_exception_fp_denorm_src 0
		.amdhsa_exception_fp_ieee_div_zero 0
		.amdhsa_exception_fp_ieee_overflow 0
		.amdhsa_exception_fp_ieee_underflow 0
		.amdhsa_exception_fp_ieee_inexact 0
		.amdhsa_exception_int_div_zero 0
	.end_amdhsa_kernel
	.section	.text._ZN2at6native12_GLOBAL__N_124RowwiseMomentsCUDAKernelIN3c104HalfEfLb1EEEvlT0_PKT_PS5_S9_,"axG",@progbits,_ZN2at6native12_GLOBAL__N_124RowwiseMomentsCUDAKernelIN3c104HalfEfLb1EEEvlT0_PKT_PS5_S9_,comdat
.Lfunc_end19:
	.size	_ZN2at6native12_GLOBAL__N_124RowwiseMomentsCUDAKernelIN3c104HalfEfLb1EEEvlT0_PKT_PS5_S9_, .Lfunc_end19-_ZN2at6native12_GLOBAL__N_124RowwiseMomentsCUDAKernelIN3c104HalfEfLb1EEEvlT0_PKT_PS5_S9_
                                        ; -- End function
	.section	.AMDGPU.csdata,"",@progbits
; Kernel info:
; codeLenInByte = 3464
; NumSgprs: 25
; NumVgprs: 21
; NumAgprs: 0
; TotalNumVgprs: 21
; ScratchSize: 0
; MemoryBound: 0
; FloatMode: 240
; IeeeMode: 1
; LDSByteSize: 1536 bytes/workgroup (compile time only)
; SGPRBlocks: 3
; VGPRBlocks: 2
; NumSGPRsForWavesPerEU: 25
; NumVGPRsForWavesPerEU: 21
; AccumOffset: 24
; Occupancy: 8
; WaveLimiterHint : 0
; COMPUTE_PGM_RSRC2:SCRATCH_EN: 0
; COMPUTE_PGM_RSRC2:USER_SGPR: 2
; COMPUTE_PGM_RSRC2:TRAP_HANDLER: 0
; COMPUTE_PGM_RSRC2:TGID_X_EN: 1
; COMPUTE_PGM_RSRC2:TGID_Y_EN: 0
; COMPUTE_PGM_RSRC2:TGID_Z_EN: 0
; COMPUTE_PGM_RSRC2:TIDIG_COMP_CNT: 0
; COMPUTE_PGM_RSRC3_GFX90A:ACCUM_OFFSET: 5
; COMPUTE_PGM_RSRC3_GFX90A:TG_SPLIT: 0
	.section	.text._ZN2at6native12_GLOBAL__N_126LayerNormForwardCUDAKernelIN3c104HalfEfLb1EEEvlPKT_PKT0_SA_S7_S7_PS5_,"axG",@progbits,_ZN2at6native12_GLOBAL__N_126LayerNormForwardCUDAKernelIN3c104HalfEfLb1EEEvlPKT_PKT0_SA_S7_S7_PS5_,comdat
	.globl	_ZN2at6native12_GLOBAL__N_126LayerNormForwardCUDAKernelIN3c104HalfEfLb1EEEvlPKT_PKT0_SA_S7_S7_PS5_ ; -- Begin function _ZN2at6native12_GLOBAL__N_126LayerNormForwardCUDAKernelIN3c104HalfEfLb1EEEvlPKT_PKT0_SA_S7_S7_PS5_
	.p2align	8
	.type	_ZN2at6native12_GLOBAL__N_126LayerNormForwardCUDAKernelIN3c104HalfEfLb1EEEvlPKT_PKT0_SA_S7_S7_PS5_,@function
_ZN2at6native12_GLOBAL__N_126LayerNormForwardCUDAKernelIN3c104HalfEfLb1EEEvlPKT_PKT0_SA_S7_S7_PS5_: ; @_ZN2at6native12_GLOBAL__N_126LayerNormForwardCUDAKernelIN3c104HalfEfLb1EEEvlPKT_PKT0_SA_S7_S7_PS5_
; %bb.0:
	s_load_dwordx4 s[4:7], s[0:1], 0x0
	v_mov_b32_e32 v1, 0
	s_waitcnt lgkmcnt(0)
	v_cmp_gt_i64_e32 vcc, s[4:5], v[0:1]
	s_and_saveexec_b64 s[8:9], vcc
	s_cbranch_execz .LBB20_6
; %bb.1:
	s_load_dwordx4 s[8:11], s[0:1], 0x18
	s_load_dwordx2 s[14:15], s[0:1], 0x30
	s_load_dword s18, s[0:1], 0x44
	s_mov_b32 s3, 0
	s_mov_b64 s[12:13], 0
	s_waitcnt lgkmcnt(0)
	s_cmp_lg_u64 s[10:11], 0
	s_cselect_b64 s[0:1], -1, 0
	s_lshl_b64 s[16:17], s[2:3], 2
	s_add_u32 s8, s8, s16
	s_addc_u32 s9, s9, s17
	s_load_dword s16, s[8:9], 0x0
	s_and_b32 s8, s18, 0xffff
	s_mul_i32 s17, s5, s2
	s_mul_hi_u32 s18, s4, s2
	s_add_i32 s19, s18, s17
	s_mul_i32 s18, s4, s2
	s_lshl_b64 s[18:19], s[18:19], 1
	s_add_u32 s6, s6, s18
	s_addc_u32 s7, s7, s19
	s_lshl_b32 s2, s8, 1
	s_add_u32 s14, s14, s18
	v_cndmask_b32_e64 v4, 0, 1, s[0:1]
	s_mov_b32 s9, s3
	v_lshlrev_b32_e32 v2, 1, v0
	v_mov_b32_e32 v3, v1
	s_addc_u32 s15, s15, s19
	v_cmp_ne_u32_e64 s[0:1], 1, v4
	s_branch .LBB20_4
.LBB20_2:                               ;   in Loop: Header=BB20_4 Depth=1
	v_lshl_add_u64 v[4:5], s[10:11], 0, v[2:3]
	global_load_ushort v4, v[4:5], off
	s_waitcnt vmcnt(0)
	v_cvt_f32_f16_e32 v4, v4
.LBB20_3:                               ;   in Loop: Header=BB20_4 Depth=1
	v_lshl_add_u64 v[6:7], s[6:7], 0, v[2:3]
	global_load_ushort v5, v[6:7], off
	v_lshl_add_u64 v[0:1], v[0:1], 0, s[8:9]
	v_cmp_le_i64_e32 vcc, s[4:5], v[0:1]
	v_lshl_add_u64 v[6:7], s[14:15], 0, v[2:3]
	s_or_b64 s[12:13], vcc, s[12:13]
	v_lshl_add_u64 v[2:3], v[2:3], 0, s[2:3]
	s_waitcnt vmcnt(0)
	v_cvt_f32_f16_e32 v5, v5
	s_waitcnt lgkmcnt(0)
	v_mul_f32_e32 v5, s16, v5
	v_fma_mixlo_f16 v4, v4, v5, 0
	global_store_short v[6:7], v4, off
	s_andn2_b64 exec, exec, s[12:13]
	s_cbranch_execz .LBB20_6
.LBB20_4:                               ; =>This Inner Loop Header: Depth=1
	s_and_b64 vcc, exec, s[0:1]
	s_cbranch_vccz .LBB20_2
; %bb.5:                                ;   in Loop: Header=BB20_4 Depth=1
	v_mov_b32_e32 v4, 1.0
	s_branch .LBB20_3
.LBB20_6:
	s_endpgm
	.section	.rodata,"a",@progbits
	.p2align	6, 0x0
	.amdhsa_kernel _ZN2at6native12_GLOBAL__N_126LayerNormForwardCUDAKernelIN3c104HalfEfLb1EEEvlPKT_PKT0_SA_S7_S7_PS5_
		.amdhsa_group_segment_fixed_size 0
		.amdhsa_private_segment_fixed_size 0
		.amdhsa_kernarg_size 312
		.amdhsa_user_sgpr_count 2
		.amdhsa_user_sgpr_dispatch_ptr 0
		.amdhsa_user_sgpr_queue_ptr 0
		.amdhsa_user_sgpr_kernarg_segment_ptr 1
		.amdhsa_user_sgpr_dispatch_id 0
		.amdhsa_user_sgpr_kernarg_preload_length 0
		.amdhsa_user_sgpr_kernarg_preload_offset 0
		.amdhsa_user_sgpr_private_segment_size 0
		.amdhsa_uses_dynamic_stack 0
		.amdhsa_enable_private_segment 0
		.amdhsa_system_sgpr_workgroup_id_x 1
		.amdhsa_system_sgpr_workgroup_id_y 0
		.amdhsa_system_sgpr_workgroup_id_z 0
		.amdhsa_system_sgpr_workgroup_info 0
		.amdhsa_system_vgpr_workitem_id 0
		.amdhsa_next_free_vgpr 8
		.amdhsa_next_free_sgpr 20
		.amdhsa_accum_offset 8
		.amdhsa_reserve_vcc 1
		.amdhsa_float_round_mode_32 0
		.amdhsa_float_round_mode_16_64 0
		.amdhsa_float_denorm_mode_32 3
		.amdhsa_float_denorm_mode_16_64 3
		.amdhsa_dx10_clamp 1
		.amdhsa_ieee_mode 1
		.amdhsa_fp16_overflow 0
		.amdhsa_tg_split 0
		.amdhsa_exception_fp_ieee_invalid_op 0
		.amdhsa_exception_fp_denorm_src 0
		.amdhsa_exception_fp_ieee_div_zero 0
		.amdhsa_exception_fp_ieee_overflow 0
		.amdhsa_exception_fp_ieee_underflow 0
		.amdhsa_exception_fp_ieee_inexact 0
		.amdhsa_exception_int_div_zero 0
	.end_amdhsa_kernel
	.section	.text._ZN2at6native12_GLOBAL__N_126LayerNormForwardCUDAKernelIN3c104HalfEfLb1EEEvlPKT_PKT0_SA_S7_S7_PS5_,"axG",@progbits,_ZN2at6native12_GLOBAL__N_126LayerNormForwardCUDAKernelIN3c104HalfEfLb1EEEvlPKT_PKT0_SA_S7_S7_PS5_,comdat
.Lfunc_end20:
	.size	_ZN2at6native12_GLOBAL__N_126LayerNormForwardCUDAKernelIN3c104HalfEfLb1EEEvlPKT_PKT0_SA_S7_S7_PS5_, .Lfunc_end20-_ZN2at6native12_GLOBAL__N_126LayerNormForwardCUDAKernelIN3c104HalfEfLb1EEEvlPKT_PKT0_SA_S7_S7_PS5_
                                        ; -- End function
	.section	.AMDGPU.csdata,"",@progbits
; Kernel info:
; codeLenInByte = 304
; NumSgprs: 26
; NumVgprs: 8
; NumAgprs: 0
; TotalNumVgprs: 8
; ScratchSize: 0
; MemoryBound: 0
; FloatMode: 240
; IeeeMode: 1
; LDSByteSize: 0 bytes/workgroup (compile time only)
; SGPRBlocks: 3
; VGPRBlocks: 0
; NumSGPRsForWavesPerEU: 26
; NumVGPRsForWavesPerEU: 8
; AccumOffset: 8
; Occupancy: 8
; WaveLimiterHint : 0
; COMPUTE_PGM_RSRC2:SCRATCH_EN: 0
; COMPUTE_PGM_RSRC2:USER_SGPR: 2
; COMPUTE_PGM_RSRC2:TRAP_HANDLER: 0
; COMPUTE_PGM_RSRC2:TGID_X_EN: 1
; COMPUTE_PGM_RSRC2:TGID_Y_EN: 0
; COMPUTE_PGM_RSRC2:TGID_Z_EN: 0
; COMPUTE_PGM_RSRC2:TIDIG_COMP_CNT: 0
; COMPUTE_PGM_RSRC3_GFX90A:ACCUM_OFFSET: 1
; COMPUTE_PGM_RSRC3_GFX90A:TG_SPLIT: 0
	.section	.text._ZN2at6native12_GLOBAL__N_128vectorized_layer_norm_kernelIN3c108BFloat16EfLb1EEEviT0_PKT_S8_S8_PS5_S9_PS6_,"axG",@progbits,_ZN2at6native12_GLOBAL__N_128vectorized_layer_norm_kernelIN3c108BFloat16EfLb1EEEviT0_PKT_S8_S8_PS5_S9_PS6_,comdat
	.globl	_ZN2at6native12_GLOBAL__N_128vectorized_layer_norm_kernelIN3c108BFloat16EfLb1EEEviT0_PKT_S8_S8_PS5_S9_PS6_ ; -- Begin function _ZN2at6native12_GLOBAL__N_128vectorized_layer_norm_kernelIN3c108BFloat16EfLb1EEEviT0_PKT_S8_S8_PS5_S9_PS6_
	.p2align	8
	.type	_ZN2at6native12_GLOBAL__N_128vectorized_layer_norm_kernelIN3c108BFloat16EfLb1EEEviT0_PKT_S8_S8_PS5_S9_PS6_,@function
_ZN2at6native12_GLOBAL__N_128vectorized_layer_norm_kernelIN3c108BFloat16EfLb1EEEviT0_PKT_S8_S8_PS5_S9_PS6_: ; @_ZN2at6native12_GLOBAL__N_128vectorized_layer_norm_kernelIN3c108BFloat16EfLb1EEEviT0_PKT_S8_S8_PS5_S9_PS6_
; %bb.0:
	s_load_dwordx4 s[12:15], s[0:1], 0x0
	s_load_dword s4, s[0:1], 0x44
	v_and_b32_e32 v4, 0x3ff, v0
	v_bfe_u32 v5, v0, 10, 10
	s_mov_b32 s3, 0
	s_waitcnt lgkmcnt(0)
	s_ashr_i32 s5, s12, 31
	s_lshr_b32 s18, s4, 16
	s_and_b32 s4, s4, 0xffff
	s_mul_i32 s16, s18, s4
	v_mul_u32_u24_e32 v0, s4, v5
	v_mad_u32_u24 v6, v5, s4, v4
	s_lshr_b32 s4, s5, 30
	s_add_i32 s4, s12, s4
	s_mul_hi_u32 s6, s12, s2
	s_mul_i32 s7, s5, s2
	s_ashr_i32 s28, s4, 2
	s_add_i32 s23, s6, s7
	s_mul_i32 s22, s12, s2
	v_cmp_gt_i32_e64 s[4:5], s28, v6
	v_mov_b32_e32 v1, 0
	v_add_lshl_u32 v0, v0, v4, 3
	s_and_saveexec_b64 s[6:7], s[4:5]
	s_cbranch_execz .LBB21_4
; %bb.1:
	s_lshl_b64 s[8:9], s[22:23], 1
	s_add_u32 s8, s14, s8
	v_mov_b32_e32 v1, 0
	s_addc_u32 s9, s15, s9
	s_ashr_i32 s17, s16, 31
	v_lshl_add_u64 v[2:3], s[8:9], 0, v[0:1]
	s_lshl_b64 s[10:11], s[16:17], 3
	s_mov_b64 s[8:9], 0
	v_mov_b32_e32 v7, v6
.LBB21_2:                               ; =>This Inner Loop Header: Depth=1
	global_load_dwordx2 v[8:9], v[2:3], off
	v_add_u32_e32 v7, s16, v7
	v_cmp_le_i32_e32 vcc, s28, v7
	v_lshl_add_u64 v[2:3], v[2:3], 0, s[10:11]
	s_or_b64 s[8:9], vcc, s[8:9]
	s_waitcnt vmcnt(0)
	v_lshlrev_b32_e32 v11, 16, v8
	v_and_b32_e32 v10, 0xffff0000, v8
	v_alignbit_b32 v8, v9, v8, 16
	v_fmac_f32_e32 v1, v11, v11
	v_and_b32_e32 v8, 0xffff0000, v8
	v_fmac_f32_e32 v1, v10, v10
	v_and_b32_e32 v9, 0xffff0000, v9
	v_fmac_f32_e32 v1, v8, v8
	v_fmac_f32_e32 v1, v9, v9
	s_andn2_b64 exec, exec, s[8:9]
	s_cbranch_execnz .LBB21_2
; %bb.3:
	s_or_b64 exec, exec, s[8:9]
.LBB21_4:
	s_or_b64 exec, exec, s[6:7]
	v_mbcnt_lo_u32_b32 v2, -1, 0
	v_mbcnt_hi_u32_b32 v2, -1, v2
	v_and_b32_e32 v3, 63, v2
	v_cmp_gt_u32_e32 vcc, 32, v3
	s_cmp_lt_u32 s18, 2
	s_nop 0
	v_cndmask_b32_e64 v7, 0, 1, vcc
	v_lshlrev_b32_e32 v7, 5, v7
	v_add_lshl_u32 v7, v7, v2, 2
	ds_bpermute_b32 v7, v7, v1
	v_cmp_gt_u32_e32 vcc, 48, v3
	s_waitcnt lgkmcnt(0)
	v_add_f32_e32 v1, v1, v7
	v_cndmask_b32_e64 v8, 0, 1, vcc
	v_lshlrev_b32_e32 v8, 4, v8
	v_add_lshl_u32 v7, v8, v2, 2
	ds_bpermute_b32 v7, v7, v1
	v_cmp_gt_u32_e32 vcc, 56, v3
	s_waitcnt lgkmcnt(0)
	v_add_f32_e32 v1, v1, v7
	;; [unrolled: 7-line block ×4, first 2 shown]
	v_cndmask_b32_e64 v8, 0, 1, vcc
	v_lshlrev_b32_e32 v8, 1, v8
	v_add_lshl_u32 v7, v8, v2, 2
	ds_bpermute_b32 v7, v7, v1
	v_cmp_ne_u32_e32 vcc, 63, v3
	s_waitcnt lgkmcnt(0)
	v_add_f32_e32 v1, v1, v7
	v_addc_co_u32_e32 v3, vcc, 0, v2, vcc
	v_lshlrev_b32_e32 v3, 2, v3
	ds_bpermute_b32 v3, v3, v1
	s_waitcnt lgkmcnt(0)
	v_add_f32_e32 v1, v1, v3
	s_cbranch_scc0 .LBB21_6
; %bb.5:
	v_lshlrev_b32_e32 v2, 2, v2
	v_and_b32_e32 v2, 0x100, v2
	ds_bpermute_b32 v3, v2, v1
	v_cvt_f32_i32_e32 v7, s12
	v_mov_b32_e32 v8, 0
	ds_bpermute_b32 v2, v2, v8
	s_waitcnt lgkmcnt(1)
	v_div_scale_f32 v9, s[6:7], v7, v7, v3
	v_rcp_f32_e32 v10, v9
	v_div_scale_f32 v8, vcc, v3, v7, v3
	v_fma_f32 v11, -v9, v10, 1.0
	v_fmac_f32_e32 v10, v11, v10
	v_mul_f32_e32 v11, v8, v10
	v_fma_f32 v12, -v9, v11, v8
	v_fmac_f32_e32 v11, v12, v10
	v_fma_f32 v8, -v9, v11, v8
	v_div_fmas_f32 v8, v8, v10, v11
	v_div_fixup_f32 v3, v8, v7, v3
	s_cbranch_execz .LBB21_7
	s_branch .LBB21_17
.LBB21_6:
                                        ; implicit-def: $vgpr2_vgpr3
.LBB21_7:
	s_lshl_b32 s6, s18, 2
	s_add_i32 s10, s6, 0
	v_cmp_eq_u32_e32 vcc, 0, v4
	s_waitcnt lgkmcnt(0)
	v_mov_b32_e32 v2, 0
	v_lshl_add_u32 v3, v5, 3, 0
.LBB21_8:                               ; =>This Inner Loop Header: Depth=1
	s_lshr_b32 s11, s18, 1
	s_and_b32 s8, s18, 0xfffe
	v_cmp_le_u32_e64 s[6:7], s11, v5
	v_cmp_gt_u32_e64 s[8:9], s8, v5
	s_and_b64 s[6:7], s[6:7], s[8:9]
	s_and_b64 s[8:9], vcc, s[6:7]
	s_and_saveexec_b64 s[6:7], s[8:9]
	s_cbranch_execz .LBB21_10
; %bb.9:                                ;   in Loop: Header=BB21_8 Depth=1
	v_subrev_u32_e32 v7, s11, v5
	v_lshl_add_u32 v8, v7, 3, 0
	v_lshl_add_u32 v7, v7, 2, s10
	ds_write2_b32 v8, v2, v1 offset1:1
	ds_write_b32 v7, v2
.LBB21_10:                              ;   in Loop: Header=BB21_8 Depth=1
	s_or_b64 exec, exec, s[6:7]
	v_cmp_gt_u32_e64 s[6:7], s11, v5
	s_and_b64 s[8:9], vcc, s[6:7]
	s_waitcnt lgkmcnt(0)
	s_barrier
	s_and_saveexec_b64 s[6:7], s[8:9]
	s_cbranch_execz .LBB21_12
; %bb.11:                               ;   in Loop: Header=BB21_8 Depth=1
	ds_read_b32 v7, v3 offset:4
	s_waitcnt lgkmcnt(0)
	v_add_f32_e32 v1, v1, v7
.LBB21_12:                              ;   in Loop: Header=BB21_8 Depth=1
	s_or_b64 exec, exec, s[6:7]
	s_cmp_lt_u32 s18, 4
	s_barrier
	s_cbranch_scc1 .LBB21_14
; %bb.13:                               ;   in Loop: Header=BB21_8 Depth=1
	s_mov_b32 s18, s11
	s_branch .LBB21_8
.LBB21_14:
	v_or_b32_e32 v2, v4, v5
	v_cmp_eq_u32_e32 vcc, 0, v2
	s_and_saveexec_b64 s[6:7], vcc
	s_cbranch_execz .LBB21_16
; %bb.15:
	v_cvt_f32_i32_e32 v2, s12
	v_div_scale_f32 v3, s[8:9], v2, v2, v1
	v_rcp_f32_e32 v4, v3
	v_div_scale_f32 v5, vcc, v1, v2, v1
	v_fma_f32 v7, -v3, v4, 1.0
	v_fmac_f32_e32 v4, v7, v4
	v_mul_f32_e32 v7, v5, v4
	v_fma_f32 v8, -v3, v7, v5
	v_fmac_f32_e32 v7, v8, v4
	v_fma_f32 v3, -v3, v7, v5
	v_div_fmas_f32 v3, v3, v4, v7
	v_div_fixup_f32 v1, v3, v2, v1
	v_mov_b32_e32 v2, 0
	ds_write2_b32 v2, v2, v1 offset1:1
.LBB21_16:
	s_or_b64 exec, exec, s[6:7]
	v_mov_b32_e32 v1, 0
	s_waitcnt lgkmcnt(0)
	s_barrier
	ds_read2_b32 v[2:3], v1 offset1:1
.LBB21_17:
	s_waitcnt lgkmcnt(0)
	v_add_f32_e32 v1, s13, v3
	s_mov_b32 s6, 0x800000
	v_mul_f32_e32 v3, 0x4b800000, v1
	v_cmp_gt_f32_e32 vcc, s6, v1
	s_load_dwordx4 s[8:11], s[0:1], 0x28
	s_nop 0
	v_cndmask_b32_e32 v1, v1, v3, vcc
	v_rsq_f32_e32 v1, v1
	s_nop 0
	v_mul_f32_e32 v3, 0x45800000, v1
	v_cndmask_b32_e32 v4, v1, v3, vcc
	s_and_saveexec_b64 s[12:13], s[4:5]
	s_cbranch_execz .LBB21_32
; %bb.18:
	s_load_dwordx4 s[4:7], s[0:1], 0x10
	v_mov_b32_e32 v7, 0
	s_mov_b64 s[18:19], 0
	v_mov_b32_e32 v5, v4
	v_mov_b32_e32 v3, v2
	s_waitcnt lgkmcnt(0)
	s_cmp_eq_u64 s[4:5], 0
	s_cselect_b64 s[20:21], -1, 0
	s_cmp_eq_u64 s[6:7], 0
	s_cselect_b64 s[0:1], -1, 0
	s_lshl_b64 s[22:23], s[22:23], 1
	s_add_u32 s10, s10, s22
	s_addc_u32 s11, s11, s23
	s_add_u32 s14, s14, s22
	v_cndmask_b32_e64 v8, 0, 1, s[0:1]
	s_addc_u32 s15, s15, s23
	s_ashr_i32 s17, s16, 31
	s_or_b64 s[22:23], s[20:21], s[0:1]
	v_mov_b32_e32 v1, v7
	s_lshl_b64 s[24:25], s[16:17], 3
	v_cmp_ne_u32_e64 s[0:1], 1, v8
	s_movk_i32 s17, 0x7fff
	v_mov_b32_e32 v16, 0x7fc0
	v_mov_b32_e32 v17, 0x7fc00000
	;; [unrolled: 1-line block ×3, first 2 shown]
	s_branch .LBB21_20
.LBB21_19:                              ;   in Loop: Header=BB21_20 Depth=1
	v_bfe_u32 v8, v11, 16, 1
	s_add_u32 s14, s14, s24
	v_add3_u32 v8, v11, v8, s17
	s_addc_u32 s15, s15, s25
	v_and_b32_e32 v10, 0xffff0000, v8
	v_lshl_add_u64 v[8:9], s[10:11], 0, v[0:1]
	s_add_u32 s10, s10, s24
	s_addc_u32 s11, s11, s25
	s_add_u32 s4, s4, s24
	s_addc_u32 s5, s5, s25
	v_cmp_o_f32_e32 vcc, v11, v11
	v_add_u32_e32 v18, s16, v18
	s_add_u32 s6, s6, s24
	v_cndmask_b32_e32 v11, v17, v10, vcc
	v_or_b32_sdwa v13, v7, v15 dst_sel:DWORD dst_unused:UNUSED_PAD src0_sel:DWORD src1_sel:WORD_0
	s_addc_u32 s7, s7, s25
	v_cmp_le_i32_e32 vcc, s28, v18
	v_lshl_or_b32 v10, v14, 16, v12
	v_or_b32_e32 v11, v13, v11
	s_or_b64 s[18:19], vcc, s[18:19]
	global_store_dwordx2 v[8:9], v[10:11], off
	s_andn2_b64 exec, exec, s[18:19]
	s_cbranch_execz .LBB21_32
.LBB21_20:                              ; =>This Inner Loop Header: Depth=1
	v_lshl_add_u64 v[8:9], s[14:15], 0, v[0:1]
	global_load_dwordx2 v[8:9], v[8:9], off
	s_and_b64 vcc, exec, s[22:23]
	s_waitcnt vmcnt(0)
	v_lshrrev_b64 v[10:11], 16, v[8:9]
	s_cbranch_vccz .LBB21_24
; %bb.21:                               ;   in Loop: Header=BB21_20 Depth=1
	s_and_b64 vcc, exec, s[20:21]
	s_cbranch_vccz .LBB21_25
; %bb.22:                               ;   in Loop: Header=BB21_20 Depth=1
	s_and_b64 vcc, exec, s[0:1]
	s_cbranch_vccnz .LBB21_26
; %bb.23:                               ;   in Loop: Header=BB21_20 Depth=1
	v_lshlrev_b32_e32 v11, 16, v8
	v_mul_f32_e32 v11, v4, v11
	v_lshlrev_b32_e32 v15, 16, v9
	v_lshlrev_b32_e32 v14, 16, v10
	v_bfe_u32 v12, v11, 16, 1
	v_pk_mul_f32 v[14:15], v[4:5], v[14:15]
	v_add3_u32 v12, v11, v12, s17
	v_bfe_u32 v13, v15, 16, 1
	v_lshrrev_b32_e32 v12, 16, v12
	v_cmp_o_f32_e32 vcc, v11, v11
	v_bfe_u32 v11, v14, 16, 1
	v_add3_u32 v13, v15, v13, s17
	v_cndmask_b32_e32 v12, v16, v12, vcc
	v_add3_u32 v11, v14, v11, s17
	v_lshrrev_b32_e32 v13, 16, v13
	v_cmp_o_f32_e32 vcc, v15, v15
	v_lshrrev_b32_e32 v11, 16, v11
	s_nop 0
	v_cndmask_b32_e32 v15, v16, v13, vcc
	v_cmp_o_f32_e32 vcc, v14, v14
	s_nop 1
	v_cndmask_b32_e32 v14, v16, v11, vcc
	v_and_b32_e32 v11, 0xffff0000, v9
	v_mul_f32_e32 v11, v4, v11
	s_cbranch_execz .LBB21_27
	s_branch .LBB21_28
.LBB21_24:                              ;   in Loop: Header=BB21_20 Depth=1
                                        ; implicit-def: $vgpr14_vgpr15
                                        ; implicit-def: $vgpr11
                                        ; implicit-def: $vgpr12_vgpr13
	s_branch .LBB21_31
.LBB21_25:                              ;   in Loop: Header=BB21_20 Depth=1
                                        ; implicit-def: $vgpr14_vgpr15
                                        ; implicit-def: $vgpr11
                                        ; implicit-def: $vgpr12_vgpr13
	s_branch .LBB21_29
.LBB21_26:                              ;   in Loop: Header=BB21_20 Depth=1
                                        ; implicit-def: $vgpr14_vgpr15
                                        ; implicit-def: $vgpr11
                                        ; implicit-def: $vgpr12_vgpr13
.LBB21_27:                              ;   in Loop: Header=BB21_20 Depth=1
	v_lshl_add_u64 v[12:13], s[6:7], 0, v[0:1]
	global_load_dwordx2 v[12:13], v[12:13], off
	v_lshlrev_b32_e32 v11, 16, v8
	v_lshlrev_b32_e32 v15, 16, v9
	;; [unrolled: 1-line block ×3, first 2 shown]
	v_sub_f32_e32 v22, v11, v2
	v_pk_add_f32 v[14:15], v[14:15], v[2:3] neg_lo:[0,1] neg_hi:[0,1]
	v_and_b32_e32 v19, 0xffff0000, v9
	v_sub_f32_e32 v19, v19, v2
	s_waitcnt vmcnt(0)
	v_lshlrev_b32_e32 v23, 16, v12
	v_lshlrev_b32_e32 v21, 16, v13
	v_and_b32_e32 v20, 0xffff0000, v12
	v_fmac_f32_e32 v23, v4, v22
	v_pk_fma_f32 v[14:15], v[4:5], v[14:15], v[20:21]
	v_bfe_u32 v12, v23, 16, 1
	v_bfe_u32 v20, v15, 16, 1
	v_add3_u32 v12, v23, v12, s17
	v_and_b32_e32 v11, 0xffff0000, v13
	v_bfe_u32 v13, v14, 16, 1
	v_add3_u32 v20, v15, v20, s17
	v_lshrrev_b32_e32 v12, 16, v12
	v_cmp_o_f32_e32 vcc, v23, v23
	v_add3_u32 v13, v14, v13, s17
	v_lshrrev_b32_e32 v20, 16, v20
	v_cndmask_b32_e32 v12, v16, v12, vcc
	v_cmp_o_f32_e32 vcc, v15, v15
	v_lshrrev_b32_e32 v13, 16, v13
	v_fmac_f32_e32 v11, v4, v19
	v_cndmask_b32_e32 v15, v16, v20, vcc
	v_cmp_o_f32_e32 vcc, v14, v14
	s_nop 1
	v_cndmask_b32_e32 v14, v16, v13, vcc
.LBB21_28:                              ;   in Loop: Header=BB21_20 Depth=1
	s_cbranch_execnz .LBB21_30
.LBB21_29:                              ;   in Loop: Header=BB21_20 Depth=1
	v_lshl_add_u64 v[12:13], s[4:5], 0, v[0:1]
	global_load_dwordx2 v[12:13], v[12:13], off
	v_lshlrev_b32_e32 v11, 16, v8
	v_lshlrev_b32_e32 v15, 16, v9
	;; [unrolled: 1-line block ×3, first 2 shown]
	v_mul_f32_e32 v11, v4, v11
	v_pk_mul_f32 v[14:15], v[4:5], v[14:15]
	v_and_b32_e32 v19, 0xffff0000, v9
	v_mul_f32_e32 v19, v4, v19
	s_waitcnt vmcnt(0)
	v_lshlrev_b32_e32 v22, 16, v12
	v_lshlrev_b32_e32 v21, 16, v13
	v_and_b32_e32 v20, 0xffff0000, v12
	v_mul_f32_e32 v11, v11, v22
	v_pk_mul_f32 v[14:15], v[14:15], v[20:21]
	v_bfe_u32 v12, v11, 16, 1
	v_bfe_u32 v21, v15, 16, 1
	v_add3_u32 v12, v11, v12, s17
	v_bfe_u32 v20, v14, 16, 1
	v_add3_u32 v21, v15, v21, s17
	v_lshrrev_b32_e32 v12, 16, v12
	v_cmp_o_f32_e32 vcc, v11, v11
	v_add3_u32 v20, v14, v20, s17
	v_lshrrev_b32_e32 v21, 16, v21
	v_cndmask_b32_e32 v12, v16, v12, vcc
	v_cmp_o_f32_e32 vcc, v15, v15
	v_and_b32_e32 v13, 0xffff0000, v13
	v_lshrrev_b32_e32 v20, 16, v20
	v_cndmask_b32_e32 v15, v16, v21, vcc
	v_cmp_o_f32_e32 vcc, v14, v14
	v_mul_f32_e32 v11, v19, v13
	s_nop 0
	v_cndmask_b32_e32 v14, v16, v20, vcc
.LBB21_30:                              ;   in Loop: Header=BB21_20 Depth=1
	s_cbranch_execnz .LBB21_19
.LBB21_31:                              ;   in Loop: Header=BB21_20 Depth=1
	v_lshl_add_u64 v[12:13], s[4:5], 0, v[0:1]
	global_load_dwordx2 v[12:13], v[12:13], off
	v_lshlrev_b32_e32 v8, 16, v8
	v_and_b32_e32 v14, 0xffff0000, v9
	v_lshlrev_b32_e32 v11, 16, v9
	v_lshlrev_b32_e32 v10, 16, v10
	v_mul_f32_e32 v15, v4, v8
	v_mul_f32_e32 v19, v4, v14
	v_pk_mul_f32 v[8:9], v[4:5], v[10:11]
	s_waitcnt vmcnt(0)
	v_lshlrev_b32_e32 v14, 16, v12
	v_lshlrev_b32_e32 v11, 16, v13
	v_and_b32_e32 v10, 0xffff0000, v12
	v_mul_f32_e32 v12, v15, v14
	v_pk_mul_f32 v[8:9], v[8:9], v[10:11]
	v_bfe_u32 v10, v12, 16, 1
	v_bfe_u32 v14, v9, 16, 1
	v_add3_u32 v10, v12, v10, s17
	v_bfe_u32 v11, v8, 16, 1
	v_add3_u32 v14, v9, v14, s17
	v_lshrrev_b32_e32 v10, 16, v10
	v_cmp_o_f32_e32 vcc, v12, v12
	v_add3_u32 v11, v8, v11, s17
	v_lshrrev_b32_e32 v14, 16, v14
	v_cndmask_b32_e32 v12, v16, v10, vcc
	v_cmp_o_f32_e32 vcc, v9, v9
	v_and_b32_e32 v13, 0xffff0000, v13
	v_lshrrev_b32_e32 v11, 16, v11
	v_cndmask_b32_e32 v15, v16, v14, vcc
	v_cmp_o_f32_e32 vcc, v8, v8
	s_nop 1
	v_cndmask_b32_e32 v14, v16, v11, vcc
	v_mul_f32_e32 v11, v19, v13
	s_branch .LBB21_19
.LBB21_32:
	s_or_b64 exec, exec, s[12:13]
	v_cmp_eq_u32_e32 vcc, 0, v6
	s_and_saveexec_b64 s[0:1], vcc
	s_cbranch_execz .LBB21_34
; %bb.33:
	s_lshl_b64 s[0:1], s[2:3], 2
	s_waitcnt lgkmcnt(0)
	s_add_u32 s0, s8, s0
	s_addc_u32 s1, s9, s1
	v_mov_b32_e32 v0, 0
	global_store_dword v0, v4, s[0:1]
.LBB21_34:
	s_endpgm
	.section	.rodata,"a",@progbits
	.p2align	6, 0x0
	.amdhsa_kernel _ZN2at6native12_GLOBAL__N_128vectorized_layer_norm_kernelIN3c108BFloat16EfLb1EEEviT0_PKT_S8_S8_PS5_S9_PS6_
		.amdhsa_group_segment_fixed_size 0
		.amdhsa_private_segment_fixed_size 0
		.amdhsa_kernarg_size 312
		.amdhsa_user_sgpr_count 2
		.amdhsa_user_sgpr_dispatch_ptr 0
		.amdhsa_user_sgpr_queue_ptr 0
		.amdhsa_user_sgpr_kernarg_segment_ptr 1
		.amdhsa_user_sgpr_dispatch_id 0
		.amdhsa_user_sgpr_kernarg_preload_length 0
		.amdhsa_user_sgpr_kernarg_preload_offset 0
		.amdhsa_user_sgpr_private_segment_size 0
		.amdhsa_uses_dynamic_stack 0
		.amdhsa_enable_private_segment 0
		.amdhsa_system_sgpr_workgroup_id_x 1
		.amdhsa_system_sgpr_workgroup_id_y 0
		.amdhsa_system_sgpr_workgroup_id_z 0
		.amdhsa_system_sgpr_workgroup_info 0
		.amdhsa_system_vgpr_workitem_id 1
		.amdhsa_next_free_vgpr 24
		.amdhsa_next_free_sgpr 29
		.amdhsa_accum_offset 24
		.amdhsa_reserve_vcc 1
		.amdhsa_float_round_mode_32 0
		.amdhsa_float_round_mode_16_64 0
		.amdhsa_float_denorm_mode_32 3
		.amdhsa_float_denorm_mode_16_64 3
		.amdhsa_dx10_clamp 1
		.amdhsa_ieee_mode 1
		.amdhsa_fp16_overflow 0
		.amdhsa_tg_split 0
		.amdhsa_exception_fp_ieee_invalid_op 0
		.amdhsa_exception_fp_denorm_src 0
		.amdhsa_exception_fp_ieee_div_zero 0
		.amdhsa_exception_fp_ieee_overflow 0
		.amdhsa_exception_fp_ieee_underflow 0
		.amdhsa_exception_fp_ieee_inexact 0
		.amdhsa_exception_int_div_zero 0
	.end_amdhsa_kernel
	.section	.text._ZN2at6native12_GLOBAL__N_128vectorized_layer_norm_kernelIN3c108BFloat16EfLb1EEEviT0_PKT_S8_S8_PS5_S9_PS6_,"axG",@progbits,_ZN2at6native12_GLOBAL__N_128vectorized_layer_norm_kernelIN3c108BFloat16EfLb1EEEviT0_PKT_S8_S8_PS5_S9_PS6_,comdat
.Lfunc_end21:
	.size	_ZN2at6native12_GLOBAL__N_128vectorized_layer_norm_kernelIN3c108BFloat16EfLb1EEEviT0_PKT_S8_S8_PS5_S9_PS6_, .Lfunc_end21-_ZN2at6native12_GLOBAL__N_128vectorized_layer_norm_kernelIN3c108BFloat16EfLb1EEEviT0_PKT_S8_S8_PS5_S9_PS6_
                                        ; -- End function
	.section	.AMDGPU.csdata,"",@progbits
; Kernel info:
; codeLenInByte = 2080
; NumSgprs: 35
; NumVgprs: 24
; NumAgprs: 0
; TotalNumVgprs: 24
; ScratchSize: 0
; MemoryBound: 0
; FloatMode: 240
; IeeeMode: 1
; LDSByteSize: 0 bytes/workgroup (compile time only)
; SGPRBlocks: 4
; VGPRBlocks: 2
; NumSGPRsForWavesPerEU: 35
; NumVGPRsForWavesPerEU: 24
; AccumOffset: 24
; Occupancy: 8
; WaveLimiterHint : 0
; COMPUTE_PGM_RSRC2:SCRATCH_EN: 0
; COMPUTE_PGM_RSRC2:USER_SGPR: 2
; COMPUTE_PGM_RSRC2:TRAP_HANDLER: 0
; COMPUTE_PGM_RSRC2:TGID_X_EN: 1
; COMPUTE_PGM_RSRC2:TGID_Y_EN: 0
; COMPUTE_PGM_RSRC2:TGID_Z_EN: 0
; COMPUTE_PGM_RSRC2:TIDIG_COMP_CNT: 1
; COMPUTE_PGM_RSRC3_GFX90A:ACCUM_OFFSET: 5
; COMPUTE_PGM_RSRC3_GFX90A:TG_SPLIT: 0
	.section	.text._ZN2at6native12_GLOBAL__N_124RowwiseMomentsCUDAKernelIN3c108BFloat16EfLb1EEEvlT0_PKT_PS5_S9_,"axG",@progbits,_ZN2at6native12_GLOBAL__N_124RowwiseMomentsCUDAKernelIN3c108BFloat16EfLb1EEEvlT0_PKT_PS5_S9_,comdat
	.globl	_ZN2at6native12_GLOBAL__N_124RowwiseMomentsCUDAKernelIN3c108BFloat16EfLb1EEEvlT0_PKT_PS5_S9_ ; -- Begin function _ZN2at6native12_GLOBAL__N_124RowwiseMomentsCUDAKernelIN3c108BFloat16EfLb1EEEvlT0_PKT_PS5_S9_
	.p2align	8
	.type	_ZN2at6native12_GLOBAL__N_124RowwiseMomentsCUDAKernelIN3c108BFloat16EfLb1EEEvlT0_PKT_PS5_S9_,@function
_ZN2at6native12_GLOBAL__N_124RowwiseMomentsCUDAKernelIN3c108BFloat16EfLb1EEEvlT0_PKT_PS5_S9_: ; @_ZN2at6native12_GLOBAL__N_124RowwiseMomentsCUDAKernelIN3c108BFloat16EfLb1EEEvlT0_PKT_PS5_S9_
; %bb.0:
	s_load_dwordx2 s[4:5], s[0:1], 0x0
	s_mov_b32 s3, 0
	v_mov_b32_e32 v1, 0
	s_mov_b32 s6, s3
	s_mov_b32 s7, s3
	s_waitcnt lgkmcnt(0)
	v_cmp_gt_i64_e32 vcc, s[4:5], v[0:1]
	v_mov_b64_e32 v[2:3], s[6:7]
	v_mov_b64_e32 v[4:5], 0
	s_and_saveexec_b64 s[6:7], vcc
	s_cbranch_execz .LBB22_4
; %bb.1:
	s_load_dword s8, s[0:1], 0x34
	s_load_dwordx2 s[10:11], s[0:1], 0x10
	s_mul_i32 s12, s5, s2
	s_mul_hi_u32 s13, s4, s2
	s_add_i32 s13, s13, s12
	s_mul_i32 s12, s4, s2
	s_waitcnt lgkmcnt(0)
	s_and_b32 s8, s8, 0xffff
	s_lshl_b64 s[12:13], s[12:13], 1
	s_add_u32 s10, s10, s12
	v_lshlrev_b32_e32 v6, 1, v0
	v_mov_b32_e32 v7, 0
	s_addc_u32 s11, s11, s13
	s_mov_b32 s9, s3
	v_lshl_add_u64 v[8:9], s[10:11], 0, v[6:7]
	s_lshl_b32 s10, s8, 1
	s_mov_b32 s11, s3
	s_mov_b64 s[12:13], 0
	v_mov_b64_e32 v[10:11], v[0:1]
	s_mov_b64 s[14:15], 0
	v_mov_b32_e32 v3, v7
.LBB22_2:                               ; =>This Inner Loop Header: Depth=1
	global_load_ushort v2, v[8:9], off
	s_add_u32 s14, s14, 1
	s_addc_u32 s15, s15, 0
	s_flbit_i32_b32 s16, s15
	s_min_u32 s18, s16, 32
	s_lshl_b64 s[16:17], s[14:15], s18
	s_min_u32 s16, s16, 1
	s_or_b32 s16, s17, s16
	v_cvt_f32_u32_e32 v1, s16
	s_sub_i32 s18, 32, s18
	v_lshl_add_u64 v[10:11], v[10:11], 0, s[8:9]
	v_cmp_le_i64_e32 vcc, s[4:5], v[10:11]
	v_ldexp_f32 v1, v1, s18
	s_or_b64 s[12:13], vcc, s[12:13]
	v_lshl_add_u64 v[8:9], v[8:9], 0, s[10:11]
	v_mov_b64_e32 v[4:5], s[14:15]
	s_waitcnt vmcnt(0)
	v_lshlrev_b32_e32 v2, 16, v2
	v_sub_f32_e32 v6, v2, v3
	v_div_scale_f32 v12, s[16:17], v1, v1, v6
	v_rcp_f32_e32 v13, v12
	v_div_scale_f32 v14, vcc, v6, v1, v6
	v_fma_f32 v15, -v12, v13, 1.0
	v_fmac_f32_e32 v13, v15, v13
	v_mul_f32_e32 v15, v14, v13
	v_fma_f32 v16, -v12, v15, v14
	v_fmac_f32_e32 v15, v16, v13
	v_fma_f32 v12, -v12, v15, v14
	v_div_fmas_f32 v12, v12, v13, v15
	v_div_fixup_f32 v12, v12, v1, v6
	v_add_f32_e32 v3, v3, v12
	v_sub_f32_e32 v2, v2, v3
	v_fmac_f32_e32 v7, v6, v2
	s_andn2_b64 exec, exec, s[12:13]
	s_cbranch_execnz .LBB22_2
; %bb.3:
	s_or_b64 exec, exec, s[12:13]
	v_mov_b32_e32 v2, v7
.LBB22_4:
	s_or_b64 exec, exec, s[6:7]
	v_mbcnt_lo_u32_b32 v6, -1, 0
	v_mbcnt_hi_u32_b32 v14, -1, v6
	v_and_b32_e32 v15, 63, v14
	v_cmp_gt_u32_e32 vcc, 32, v15
	s_nop 1
	v_cndmask_b32_e64 v6, 0, 1, vcc
	v_lshlrev_b32_e32 v6, 5, v6
	v_add_lshl_u32 v10, v6, v14, 2
	ds_bpermute_b32 v7, v10, v3
	ds_bpermute_b32 v6, v10, v2
	ds_bpermute_b32 v8, v10, v4
	ds_bpermute_b32 v9, v10, v5
	ds_bpermute_b32 v11, v10, v1
	v_cmp_neq_f32_e32 vcc, 0, v1
	s_and_saveexec_b64 s[4:5], vcc
	s_xor_b64 s[4:5], exec, s[4:5]
	s_cbranch_execz .LBB22_8
; %bb.5:
	s_waitcnt lgkmcnt(0)
	v_cmp_neq_f32_e32 vcc, 0, v11
	s_and_saveexec_b64 s[6:7], vcc
	s_cbranch_execz .LBB22_7
; %bb.6:
	v_add_f32_e32 v9, v1, v11
	v_div_scale_f32 v8, s[8:9], v9, v9, v11
	v_rcp_f32_e32 v12, v8
	v_pk_add_f32 v[4:5], v[6:7], v[2:3] neg_lo:[0,1] neg_hi:[0,1]
	v_pk_add_f32 v[6:7], v[2:3], v[6:7]
	v_mul_f32_e32 v2, v5, v5
	v_fma_f32 v4, -v8, v12, 1.0
	v_fmac_f32_e32 v12, v4, v12
	v_div_scale_f32 v4, vcc, v11, v9, v11
	v_mul_f32_e32 v13, v4, v12
	v_fma_f32 v16, -v8, v13, v4
	v_fmac_f32_e32 v13, v16, v12
	v_fma_f32 v4, -v8, v13, v4
	v_div_fmas_f32 v4, v4, v12, v13
	v_div_fixup_f32 v8, v4, v9, v11
	v_mul_f32_e32 v4, v1, v2
	v_mov_b32_e32 v7, v3
	v_pk_fma_f32 v[2:3], v[4:5], v[8:9], v[6:7] op_sel_hi:[1,0,1]
	v_mov_b64_e32 v[4:5], -1
	v_mov_b32_e32 v1, v9
.LBB22_7:
	s_or_b64 exec, exec, s[6:7]
                                        ; implicit-def: $vgpr6_vgpr7
                                        ; implicit-def: $vgpr8
                                        ; implicit-def: $vgpr11
.LBB22_8:
	s_andn2_saveexec_b64 s[4:5], s[4:5]
	s_cbranch_execz .LBB22_10
; %bb.9:
	s_waitcnt lgkmcnt(0)
	v_mov_b32_e32 v1, v11
	v_mov_b64_e32 v[4:5], v[8:9]
	v_mov_b64_e32 v[2:3], v[6:7]
.LBB22_10:
	s_or_b64 exec, exec, s[4:5]
	v_cmp_gt_u32_e32 vcc, 48, v15
	s_waitcnt lgkmcnt(3)
	s_nop 0
	v_cndmask_b32_e64 v6, 0, 1, vcc
	v_lshlrev_b32_e32 v6, 4, v6
	s_waitcnt lgkmcnt(0)
	v_add_lshl_u32 v11, v6, v14, 2
	ds_bpermute_b32 v7, v11, v3
	ds_bpermute_b32 v6, v11, v2
	;; [unrolled: 1-line block ×5, first 2 shown]
	v_cmp_neq_f32_e32 vcc, 0, v1
	s_and_saveexec_b64 s[4:5], vcc
	s_xor_b64 s[4:5], exec, s[4:5]
	s_cbranch_execz .LBB22_14
; %bb.11:
	s_waitcnt lgkmcnt(0)
	v_cmp_neq_f32_e32 vcc, 0, v12
	s_and_saveexec_b64 s[6:7], vcc
	s_cbranch_execz .LBB22_13
; %bb.12:
	v_add_f32_e32 v9, v1, v12
	v_div_scale_f32 v8, s[8:9], v9, v9, v12
	v_rcp_f32_e32 v13, v8
	v_pk_add_f32 v[4:5], v[6:7], v[2:3] neg_lo:[0,1] neg_hi:[0,1]
	v_pk_add_f32 v[6:7], v[2:3], v[6:7]
	v_mul_f32_e32 v2, v5, v5
	v_fma_f32 v4, -v8, v13, 1.0
	v_fmac_f32_e32 v13, v4, v13
	v_div_scale_f32 v4, vcc, v12, v9, v12
	v_mul_f32_e32 v16, v4, v13
	v_fma_f32 v17, -v8, v16, v4
	v_fmac_f32_e32 v16, v17, v13
	v_fma_f32 v4, -v8, v16, v4
	v_div_fmas_f32 v4, v4, v13, v16
	v_div_fixup_f32 v8, v4, v9, v12
	v_mul_f32_e32 v4, v1, v2
	v_mov_b32_e32 v7, v3
	v_pk_fma_f32 v[2:3], v[4:5], v[8:9], v[6:7] op_sel_hi:[1,0,1]
	v_mov_b64_e32 v[4:5], -1
	v_mov_b32_e32 v1, v9
.LBB22_13:
	s_or_b64 exec, exec, s[6:7]
                                        ; implicit-def: $vgpr6_vgpr7
                                        ; implicit-def: $vgpr8
                                        ; implicit-def: $vgpr12
.LBB22_14:
	s_andn2_saveexec_b64 s[4:5], s[4:5]
	s_cbranch_execz .LBB22_16
; %bb.15:
	s_waitcnt lgkmcnt(0)
	v_mov_b32_e32 v1, v12
	v_mov_b64_e32 v[4:5], v[8:9]
	v_mov_b64_e32 v[2:3], v[6:7]
.LBB22_16:
	s_or_b64 exec, exec, s[4:5]
	v_cmp_gt_u32_e32 vcc, 56, v15
	s_waitcnt lgkmcnt(3)
	s_nop 0
	v_cndmask_b32_e64 v6, 0, 1, vcc
	v_lshlrev_b32_e32 v6, 3, v6
	s_waitcnt lgkmcnt(0)
	v_add_lshl_u32 v12, v6, v14, 2
	ds_bpermute_b32 v7, v12, v3
	ds_bpermute_b32 v6, v12, v2
	;; [unrolled: 1-line block ×5, first 2 shown]
	v_cmp_neq_f32_e32 vcc, 0, v1
	s_and_saveexec_b64 s[4:5], vcc
	s_xor_b64 s[4:5], exec, s[4:5]
	s_cbranch_execz .LBB22_20
; %bb.17:
	s_waitcnt lgkmcnt(0)
	v_cmp_neq_f32_e32 vcc, 0, v13
	s_and_saveexec_b64 s[6:7], vcc
	s_cbranch_execz .LBB22_19
; %bb.18:
	v_add_f32_e32 v9, v1, v13
	v_div_scale_f32 v8, s[8:9], v9, v9, v13
	v_rcp_f32_e32 v16, v8
	v_pk_add_f32 v[4:5], v[6:7], v[2:3] neg_lo:[0,1] neg_hi:[0,1]
	v_pk_add_f32 v[6:7], v[2:3], v[6:7]
	v_mul_f32_e32 v2, v5, v5
	v_fma_f32 v4, -v8, v16, 1.0
	v_fmac_f32_e32 v16, v4, v16
	v_div_scale_f32 v4, vcc, v13, v9, v13
	v_mul_f32_e32 v17, v4, v16
	v_fma_f32 v18, -v8, v17, v4
	v_fmac_f32_e32 v17, v18, v16
	v_fma_f32 v4, -v8, v17, v4
	v_div_fmas_f32 v4, v4, v16, v17
	v_div_fixup_f32 v8, v4, v9, v13
	v_mul_f32_e32 v4, v1, v2
	v_mov_b32_e32 v7, v3
	v_pk_fma_f32 v[2:3], v[4:5], v[8:9], v[6:7] op_sel_hi:[1,0,1]
	v_mov_b64_e32 v[4:5], -1
	v_mov_b32_e32 v1, v9
.LBB22_19:
	s_or_b64 exec, exec, s[6:7]
                                        ; implicit-def: $vgpr6_vgpr7
                                        ; implicit-def: $vgpr8
                                        ; implicit-def: $vgpr13
.LBB22_20:
	s_andn2_saveexec_b64 s[4:5], s[4:5]
	s_cbranch_execz .LBB22_22
; %bb.21:
	s_waitcnt lgkmcnt(0)
	v_mov_b32_e32 v1, v13
	v_mov_b64_e32 v[4:5], v[8:9]
	v_mov_b64_e32 v[2:3], v[6:7]
.LBB22_22:
	s_or_b64 exec, exec, s[4:5]
	v_cmp_gt_u32_e32 vcc, 60, v15
	s_waitcnt lgkmcnt(3)
	s_nop 0
	v_cndmask_b32_e64 v6, 0, 1, vcc
	v_lshlrev_b32_e32 v6, 2, v6
	s_waitcnt lgkmcnt(0)
	v_add_lshl_u32 v13, v6, v14, 2
	ds_bpermute_b32 v7, v13, v3
	ds_bpermute_b32 v6, v13, v2
	;; [unrolled: 1-line block ×5, first 2 shown]
	v_cmp_neq_f32_e32 vcc, 0, v1
	s_and_saveexec_b64 s[4:5], vcc
	s_xor_b64 s[4:5], exec, s[4:5]
	s_cbranch_execz .LBB22_26
; %bb.23:
	s_waitcnt lgkmcnt(0)
	v_cmp_neq_f32_e32 vcc, 0, v16
	s_and_saveexec_b64 s[6:7], vcc
	s_cbranch_execz .LBB22_25
; %bb.24:
	v_add_f32_e32 v9, v1, v16
	v_div_scale_f32 v8, s[8:9], v9, v9, v16
	v_rcp_f32_e32 v17, v8
	v_pk_add_f32 v[4:5], v[6:7], v[2:3] neg_lo:[0,1] neg_hi:[0,1]
	v_pk_add_f32 v[6:7], v[2:3], v[6:7]
	v_mul_f32_e32 v2, v5, v5
	v_fma_f32 v4, -v8, v17, 1.0
	v_fmac_f32_e32 v17, v4, v17
	v_div_scale_f32 v4, vcc, v16, v9, v16
	v_mul_f32_e32 v18, v4, v17
	v_fma_f32 v19, -v8, v18, v4
	v_fmac_f32_e32 v18, v19, v17
	v_fma_f32 v4, -v8, v18, v4
	v_div_fmas_f32 v4, v4, v17, v18
	v_div_fixup_f32 v8, v4, v9, v16
	v_mul_f32_e32 v4, v1, v2
	v_mov_b32_e32 v7, v3
	v_pk_fma_f32 v[2:3], v[4:5], v[8:9], v[6:7] op_sel_hi:[1,0,1]
	v_mov_b64_e32 v[4:5], -1
	v_mov_b32_e32 v1, v9
.LBB22_25:
	s_or_b64 exec, exec, s[6:7]
                                        ; implicit-def: $vgpr6_vgpr7
                                        ; implicit-def: $vgpr8
                                        ; implicit-def: $vgpr16
.LBB22_26:
	s_andn2_saveexec_b64 s[4:5], s[4:5]
	s_cbranch_execz .LBB22_28
; %bb.27:
	s_waitcnt lgkmcnt(0)
	v_mov_b32_e32 v1, v16
	v_mov_b64_e32 v[4:5], v[8:9]
	v_mov_b64_e32 v[2:3], v[6:7]
.LBB22_28:
	s_or_b64 exec, exec, s[4:5]
	v_cmp_gt_u32_e32 vcc, 62, v15
	s_waitcnt lgkmcnt(3)
	s_nop 0
	v_cndmask_b32_e64 v6, 0, 1, vcc
	v_lshlrev_b32_e32 v6, 1, v6
	s_waitcnt lgkmcnt(0)
	v_add_lshl_u32 v16, v6, v14, 2
	ds_bpermute_b32 v7, v16, v3
	ds_bpermute_b32 v6, v16, v2
	;; [unrolled: 1-line block ×5, first 2 shown]
	v_cmp_neq_f32_e32 vcc, 0, v1
	s_and_saveexec_b64 s[4:5], vcc
	s_xor_b64 s[4:5], exec, s[4:5]
	s_cbranch_execz .LBB22_32
; %bb.29:
	s_waitcnt lgkmcnt(0)
	v_cmp_neq_f32_e32 vcc, 0, v17
	s_and_saveexec_b64 s[6:7], vcc
	s_cbranch_execz .LBB22_31
; %bb.30:
	v_add_f32_e32 v9, v1, v17
	v_div_scale_f32 v8, s[8:9], v9, v9, v17
	v_rcp_f32_e32 v18, v8
	v_pk_add_f32 v[4:5], v[6:7], v[2:3] neg_lo:[0,1] neg_hi:[0,1]
	v_pk_add_f32 v[6:7], v[2:3], v[6:7]
	v_mul_f32_e32 v2, v5, v5
	v_fma_f32 v4, -v8, v18, 1.0
	v_fmac_f32_e32 v18, v4, v18
	v_div_scale_f32 v4, vcc, v17, v9, v17
	v_mul_f32_e32 v19, v4, v18
	v_fma_f32 v20, -v8, v19, v4
	v_fmac_f32_e32 v19, v20, v18
	v_fma_f32 v4, -v8, v19, v4
	v_div_fmas_f32 v4, v4, v18, v19
	v_div_fixup_f32 v8, v4, v9, v17
	v_mul_f32_e32 v4, v1, v2
	v_mov_b32_e32 v7, v3
	v_pk_fma_f32 v[2:3], v[4:5], v[8:9], v[6:7] op_sel_hi:[1,0,1]
	v_mov_b64_e32 v[4:5], -1
	v_mov_b32_e32 v1, v9
.LBB22_31:
	s_or_b64 exec, exec, s[6:7]
                                        ; implicit-def: $vgpr6_vgpr7
                                        ; implicit-def: $vgpr8
                                        ; implicit-def: $vgpr17
.LBB22_32:
	s_andn2_saveexec_b64 s[4:5], s[4:5]
	s_cbranch_execz .LBB22_34
; %bb.33:
	s_waitcnt lgkmcnt(0)
	v_mov_b32_e32 v1, v17
	v_mov_b64_e32 v[4:5], v[8:9]
	v_mov_b64_e32 v[2:3], v[6:7]
.LBB22_34:
	s_or_b64 exec, exec, s[4:5]
	v_cmp_ne_u32_e32 vcc, 63, v15
	s_waitcnt lgkmcnt(3)
	s_nop 0
	v_addc_co_u32_e32 v6, vcc, 0, v14, vcc
	v_lshlrev_b32_e32 v14, 2, v6
	ds_bpermute_b32 v7, v14, v3
	ds_bpermute_b32 v6, v14, v2
	s_waitcnt lgkmcnt(4)
	ds_bpermute_b32 v8, v14, v4
	s_waitcnt lgkmcnt(4)
	ds_bpermute_b32 v9, v14, v5
	ds_bpermute_b32 v15, v14, v1
	v_cmp_neq_f32_e32 vcc, 0, v1
	s_and_saveexec_b64 s[4:5], vcc
	s_xor_b64 s[4:5], exec, s[4:5]
	s_cbranch_execz .LBB22_38
; %bb.35:
	s_waitcnt lgkmcnt(0)
	v_cmp_neq_f32_e32 vcc, 0, v15
	s_and_saveexec_b64 s[6:7], vcc
	s_cbranch_execz .LBB22_37
; %bb.36:
	v_add_f32_e32 v9, v1, v15
	v_div_scale_f32 v8, s[8:9], v9, v9, v15
	v_rcp_f32_e32 v17, v8
	v_pk_add_f32 v[4:5], v[6:7], v[2:3] neg_lo:[0,1] neg_hi:[0,1]
	v_pk_add_f32 v[6:7], v[2:3], v[6:7]
	v_mul_f32_e32 v2, v5, v5
	v_fma_f32 v4, -v8, v17, 1.0
	v_fmac_f32_e32 v17, v4, v17
	v_div_scale_f32 v4, vcc, v15, v9, v15
	v_mul_f32_e32 v18, v4, v17
	v_fma_f32 v19, -v8, v18, v4
	v_fmac_f32_e32 v18, v19, v17
	v_fma_f32 v4, -v8, v18, v4
	v_div_fmas_f32 v4, v4, v17, v18
	v_div_fixup_f32 v8, v4, v9, v15
	v_mul_f32_e32 v4, v1, v2
	v_mov_b32_e32 v7, v3
	v_pk_fma_f32 v[2:3], v[4:5], v[8:9], v[6:7] op_sel_hi:[1,0,1]
	v_mov_b64_e32 v[4:5], -1
	v_mov_b32_e32 v1, v9
.LBB22_37:
	s_or_b64 exec, exec, s[6:7]
                                        ; implicit-def: $vgpr6_vgpr7
                                        ; implicit-def: $vgpr8
                                        ; implicit-def: $vgpr15
.LBB22_38:
	s_andn2_saveexec_b64 s[4:5], s[4:5]
	s_cbranch_execz .LBB22_40
; %bb.39:
	s_waitcnt lgkmcnt(0)
	v_mov_b32_e32 v1, v15
	v_mov_b64_e32 v[4:5], v[8:9]
	v_mov_b64_e32 v[2:3], v[6:7]
.LBB22_40:
	s_or_b64 exec, exec, s[4:5]
	s_waitcnt lgkmcnt(3)
	v_and_b32_e32 v6, 63, v0
	v_cmp_eq_u32_e32 vcc, 0, v6
	s_waitcnt lgkmcnt(0)
	s_barrier
	s_and_saveexec_b64 s[4:5], vcc
	s_cbranch_execz .LBB22_42
; %bb.41:
	v_lshrrev_b32_e32 v7, 6, v0
	v_mul_u32_u24_e32 v7, 24, v7
	v_mov_b32_e32 v8, v3
	v_mov_b32_e32 v9, v2
	ds_write2_b64 v7, v[8:9], v[4:5] offset1:1
	ds_write_b32 v7, v1 offset:16
.LBB22_42:
	s_or_b64 exec, exec, s[4:5]
	s_waitcnt lgkmcnt(0)
	s_barrier
	s_load_dword s4, s[0:1], 0x34
	v_mul_u32_u24_e32 v4, 24, v6
	v_mov_b32_e32 v2, 0
	v_mov_b32_e32 v1, 0
	s_waitcnt lgkmcnt(0)
	s_bfe_u32 s4, s4, 0xa0006
	v_cmp_gt_u32_e32 vcc, s4, v0
	s_and_saveexec_b64 s[4:5], vcc
	s_cbranch_execnz .LBB22_48
; %bb.43:
	s_or_b64 exec, exec, s[4:5]
	s_and_saveexec_b64 s[4:5], vcc
	s_cbranch_execnz .LBB22_49
.LBB22_44:
	s_or_b64 exec, exec, s[4:5]
	v_mov_b32_e32 v3, 0
	s_and_saveexec_b64 s[4:5], vcc
	s_cbranch_execnz .LBB22_50
.LBB22_45:
	s_or_b64 exec, exec, s[4:5]
	v_cmp_gt_u32_e32 vcc, 64, v0
	s_and_saveexec_b64 s[4:5], vcc
	s_cbranch_execnz .LBB22_51
.LBB22_46:
	s_or_b64 exec, exec, s[4:5]
	v_cmp_eq_u32_e32 vcc, 0, v0
	s_and_saveexec_b64 s[4:5], vcc
	s_cbranch_execnz .LBB22_76
.LBB22_47:
	s_endpgm
.LBB22_48:
	ds_read_b32 v1, v4
	s_or_b64 exec, exec, s[4:5]
	s_and_saveexec_b64 s[4:5], vcc
	s_cbranch_execz .LBB22_44
.LBB22_49:
	ds_read_b32 v2, v4 offset:4
	s_or_b64 exec, exec, s[4:5]
	v_mov_b32_e32 v3, 0
	s_and_saveexec_b64 s[4:5], vcc
	s_cbranch_execz .LBB22_45
.LBB22_50:
	ds_read_b32 v3, v4 offset:16
	s_or_b64 exec, exec, s[4:5]
	v_cmp_gt_u32_e32 vcc, 64, v0
	s_and_saveexec_b64 s[4:5], vcc
	s_cbranch_execz .LBB22_46
.LBB22_51:
	s_waitcnt lgkmcnt(0)
	ds_bpermute_b32 v6, v10, v1
	ds_bpermute_b32 v4, v10, v2
	;; [unrolled: 1-line block ×3, first 2 shown]
	v_cmp_neq_f32_e32 vcc, 0, v3
	s_and_saveexec_b64 s[6:7], vcc
	s_cbranch_execz .LBB22_55
; %bb.52:
	s_waitcnt lgkmcnt(0)
	v_cmp_neq_f32_e32 vcc, 0, v5
	s_and_saveexec_b64 s[8:9], vcc
	s_cbranch_execz .LBB22_54
; %bb.53:
	v_sub_f32_e32 v6, v6, v1
	v_mul_f32_e32 v7, v6, v6
	v_mul_f32_e32 v7, v3, v7
	v_add_f32_e32 v3, v3, v5
	v_div_scale_f32 v8, s[10:11], v3, v3, v5
	v_rcp_f32_e32 v9, v8
	v_add_f32_e32 v2, v2, v4
	v_fma_f32 v4, -v8, v9, 1.0
	v_fmac_f32_e32 v9, v4, v9
	v_div_scale_f32 v4, vcc, v5, v3, v5
	v_mul_f32_e32 v10, v4, v9
	v_fma_f32 v15, -v8, v10, v4
	v_fmac_f32_e32 v10, v15, v9
	v_fma_f32 v4, -v8, v10, v4
	v_div_fmas_f32 v4, v4, v9, v10
	v_div_fixup_f32 v4, v4, v3, v5
	v_fmac_f32_e32 v1, v6, v4
	v_fmac_f32_e32 v2, v7, v4
.LBB22_54:
	s_or_b64 exec, exec, s[8:9]
	v_mov_b32_e32 v6, v1
	v_mov_b64_e32 v[4:5], v[2:3]
.LBB22_55:
	s_or_b64 exec, exec, s[6:7]
	s_waitcnt lgkmcnt(2)
	ds_bpermute_b32 v1, v11, v6
	s_waitcnt lgkmcnt(2)
	ds_bpermute_b32 v2, v11, v4
	s_waitcnt lgkmcnt(2)
	ds_bpermute_b32 v3, v11, v5
	v_cmp_neq_f32_e32 vcc, 0, v5
	s_and_saveexec_b64 s[6:7], vcc
	s_cbranch_execz .LBB22_59
; %bb.56:
	s_waitcnt lgkmcnt(0)
	v_cmp_neq_f32_e32 vcc, 0, v3
	s_and_saveexec_b64 s[8:9], vcc
	s_cbranch_execz .LBB22_58
; %bb.57:
	v_pk_add_f32 v[8:9], v[4:5], v[2:3]
	v_sub_f32_e32 v1, v1, v6
	v_div_scale_f32 v2, s[10:11], v9, v9, v3
	v_rcp_f32_e32 v4, v2
	v_mul_f32_e32 v7, v1, v1
	v_mul_f32_e32 v5, v5, v7
	v_fma_f32 v7, -v2, v4, 1.0
	v_fmac_f32_e32 v4, v7, v4
	v_div_scale_f32 v7, vcc, v3, v9, v3
	v_mul_f32_e32 v10, v7, v4
	v_fma_f32 v11, -v2, v10, v7
	v_fmac_f32_e32 v10, v11, v4
	v_fma_f32 v2, -v2, v10, v7
	v_div_fmas_f32 v2, v2, v4, v10
	v_div_fixup_f32 v2, v2, v9, v3
	v_fma_f32 v8, v5, v2, v8
	v_fmac_f32_e32 v6, v1, v2
	v_mov_b64_e32 v[4:5], v[8:9]
.LBB22_58:
	s_or_b64 exec, exec, s[8:9]
	v_mov_b32_e32 v1, v6
	v_mov_b64_e32 v[2:3], v[4:5]
.LBB22_59:
	s_or_b64 exec, exec, s[6:7]
	s_waitcnt lgkmcnt(2)
	ds_bpermute_b32 v6, v12, v1
	s_waitcnt lgkmcnt(2)
	ds_bpermute_b32 v4, v12, v2
	s_waitcnt lgkmcnt(2)
	ds_bpermute_b32 v5, v12, v3
	v_cmp_neq_f32_e32 vcc, 0, v3
	s_and_saveexec_b64 s[6:7], vcc
	s_cbranch_execz .LBB22_63
; %bb.60:
	s_waitcnt lgkmcnt(0)
	v_cmp_neq_f32_e32 vcc, 0, v5
	s_and_saveexec_b64 s[8:9], vcc
	s_cbranch_execz .LBB22_62
; %bb.61:
	v_pk_add_f32 v[8:9], v[2:3], v[4:5]
	v_sub_f32_e32 v6, v6, v1
	v_div_scale_f32 v2, s[10:11], v9, v9, v5
	v_rcp_f32_e32 v4, v2
	v_mul_f32_e32 v7, v6, v6
	v_mul_f32_e32 v3, v3, v7
	v_fma_f32 v7, -v2, v4, 1.0
	v_fmac_f32_e32 v4, v7, v4
	v_div_scale_f32 v7, vcc, v5, v9, v5
	v_mul_f32_e32 v10, v7, v4
	v_fma_f32 v11, -v2, v10, v7
	v_fmac_f32_e32 v10, v11, v4
	v_fma_f32 v2, -v2, v10, v7
	v_div_fmas_f32 v2, v2, v4, v10
	v_div_fixup_f32 v2, v2, v9, v5
	v_fma_f32 v8, v3, v2, v8
	v_fmac_f32_e32 v1, v6, v2
	v_mov_b64_e32 v[2:3], v[8:9]
.LBB22_62:
	s_or_b64 exec, exec, s[8:9]
	v_mov_b32_e32 v6, v1
	v_mov_b64_e32 v[4:5], v[2:3]
.LBB22_63:
	s_or_b64 exec, exec, s[6:7]
	s_waitcnt lgkmcnt(2)
	ds_bpermute_b32 v1, v13, v6
	s_waitcnt lgkmcnt(2)
	ds_bpermute_b32 v2, v13, v4
	s_waitcnt lgkmcnt(2)
	ds_bpermute_b32 v3, v13, v5
	v_cmp_neq_f32_e32 vcc, 0, v5
	s_and_saveexec_b64 s[6:7], vcc
	s_cbranch_execz .LBB22_67
; %bb.64:
	s_waitcnt lgkmcnt(0)
	v_cmp_neq_f32_e32 vcc, 0, v3
	s_and_saveexec_b64 s[8:9], vcc
	s_cbranch_execz .LBB22_66
; %bb.65:
	v_pk_add_f32 v[8:9], v[4:5], v[2:3]
	v_sub_f32_e32 v1, v1, v6
	v_div_scale_f32 v2, s[10:11], v9, v9, v3
	v_rcp_f32_e32 v4, v2
	v_mul_f32_e32 v7, v1, v1
	v_mul_f32_e32 v5, v5, v7
	v_fma_f32 v7, -v2, v4, 1.0
	v_fmac_f32_e32 v4, v7, v4
	v_div_scale_f32 v7, vcc, v3, v9, v3
	v_mul_f32_e32 v10, v7, v4
	v_fma_f32 v11, -v2, v10, v7
	v_fmac_f32_e32 v10, v11, v4
	v_fma_f32 v2, -v2, v10, v7
	v_div_fmas_f32 v2, v2, v4, v10
	v_div_fixup_f32 v2, v2, v9, v3
	v_fma_f32 v8, v5, v2, v8
	v_fmac_f32_e32 v6, v1, v2
	v_mov_b64_e32 v[4:5], v[8:9]
.LBB22_66:
	s_or_b64 exec, exec, s[8:9]
	v_mov_b32_e32 v1, v6
	v_mov_b64_e32 v[2:3], v[4:5]
.LBB22_67:
	s_or_b64 exec, exec, s[6:7]
	s_waitcnt lgkmcnt(2)
	ds_bpermute_b32 v6, v16, v1
	s_waitcnt lgkmcnt(2)
	ds_bpermute_b32 v4, v16, v2
	s_waitcnt lgkmcnt(2)
	ds_bpermute_b32 v5, v16, v3
	v_cmp_neq_f32_e32 vcc, 0, v3
	s_and_saveexec_b64 s[6:7], vcc
	s_cbranch_execz .LBB22_71
; %bb.68:
	s_waitcnt lgkmcnt(0)
	v_cmp_neq_f32_e32 vcc, 0, v5
	s_and_saveexec_b64 s[8:9], vcc
	s_cbranch_execz .LBB22_70
; %bb.69:
	v_pk_add_f32 v[8:9], v[2:3], v[4:5]
	v_sub_f32_e32 v6, v6, v1
	v_div_scale_f32 v2, s[10:11], v9, v9, v5
	v_rcp_f32_e32 v4, v2
	v_mul_f32_e32 v7, v6, v6
	v_mul_f32_e32 v3, v3, v7
	v_fma_f32 v7, -v2, v4, 1.0
	v_fmac_f32_e32 v4, v7, v4
	v_div_scale_f32 v7, vcc, v5, v9, v5
	v_mul_f32_e32 v10, v7, v4
	v_fma_f32 v11, -v2, v10, v7
	v_fmac_f32_e32 v10, v11, v4
	v_fma_f32 v2, -v2, v10, v7
	v_div_fmas_f32 v2, v2, v4, v10
	v_div_fixup_f32 v2, v2, v9, v5
	v_fma_f32 v8, v3, v2, v8
	v_fmac_f32_e32 v1, v6, v2
	v_mov_b64_e32 v[2:3], v[8:9]
.LBB22_70:
	s_or_b64 exec, exec, s[8:9]
	v_mov_b32_e32 v6, v1
	v_mov_b64_e32 v[4:5], v[2:3]
.LBB22_71:
	s_or_b64 exec, exec, s[6:7]
	s_waitcnt lgkmcnt(2)
	ds_bpermute_b32 v1, v14, v6
	s_waitcnt lgkmcnt(2)
	ds_bpermute_b32 v2, v14, v4
	;; [unrolled: 2-line block ×3, first 2 shown]
	v_cmp_neq_f32_e32 vcc, 0, v5
	s_and_saveexec_b64 s[6:7], vcc
	s_cbranch_execz .LBB22_75
; %bb.72:
	s_waitcnt lgkmcnt(0)
	v_cmp_neq_f32_e32 vcc, 0, v3
	s_and_saveexec_b64 s[8:9], vcc
	s_cbranch_execz .LBB22_74
; %bb.73:
	v_pk_add_f32 v[8:9], v[4:5], v[2:3]
	v_sub_f32_e32 v1, v1, v6
	v_div_scale_f32 v2, s[10:11], v9, v9, v3
	v_rcp_f32_e32 v4, v2
	v_mul_f32_e32 v7, v1, v1
	v_mul_f32_e32 v5, v5, v7
	v_fma_f32 v7, -v2, v4, 1.0
	v_fmac_f32_e32 v4, v7, v4
	v_div_scale_f32 v7, vcc, v3, v9, v3
	v_mul_f32_e32 v10, v7, v4
	v_fma_f32 v11, -v2, v10, v7
	v_fmac_f32_e32 v10, v11, v4
	v_fma_f32 v2, -v2, v10, v7
	v_div_fmas_f32 v2, v2, v4, v10
	v_div_fixup_f32 v2, v2, v9, v3
	v_fma_f32 v8, v5, v2, v8
	v_fmac_f32_e32 v6, v1, v2
	v_mov_b64_e32 v[4:5], v[8:9]
.LBB22_74:
	s_or_b64 exec, exec, s[8:9]
	v_mov_b64_e32 v[2:3], v[4:5]
	v_mov_b32_e32 v1, v6
.LBB22_75:
	s_or_b64 exec, exec, s[6:7]
	s_or_b64 exec, exec, s[4:5]
	v_cmp_eq_u32_e32 vcc, 0, v0
	s_and_saveexec_b64 s[4:5], vcc
	s_cbranch_execz .LBB22_47
.LBB22_76:
	s_waitcnt lgkmcnt(0)
	v_max_f32_e32 v0, v3, v3
	v_max_f32_e32 v0, 0, v0
	v_div_scale_f32 v3, s[4:5], v0, v0, v2
	v_rcp_f32_e32 v4, v3
	s_load_dword s6, s[0:1], 0x8
	s_load_dwordx2 s[4:5], s[0:1], 0x20
	s_mov_b32 s0, 0x800000
	v_fma_f32 v5, -v3, v4, 1.0
	v_fmac_f32_e32 v4, v5, v4
	v_div_scale_f32 v5, vcc, v2, v0, v2
	v_mul_f32_e32 v6, v5, v4
	v_fma_f32 v7, -v3, v6, v5
	v_fmac_f32_e32 v6, v7, v4
	v_fma_f32 v3, -v3, v6, v5
	v_div_fmas_f32 v3, v3, v4, v6
	v_div_fixup_f32 v0, v3, v0, v2
	v_fmac_f32_e32 v0, v1, v1
	s_waitcnt lgkmcnt(0)
	v_add_f32_e32 v0, s6, v0
	v_mul_f32_e32 v1, 0x4b800000, v0
	v_cmp_gt_f32_e32 vcc, s0, v0
	s_lshl_b64 s[0:1], s[2:3], 2
	s_add_u32 s0, s4, s0
	v_cndmask_b32_e32 v0, v0, v1, vcc
	v_rsq_f32_e32 v0, v0
	s_addc_u32 s1, s5, s1
	v_mul_f32_e32 v1, 0x45800000, v0
	v_cndmask_b32_e32 v0, v0, v1, vcc
	v_mov_b32_e32 v1, 0
	global_store_dword v1, v0, s[0:1]
	s_endpgm
	.section	.rodata,"a",@progbits
	.p2align	6, 0x0
	.amdhsa_kernel _ZN2at6native12_GLOBAL__N_124RowwiseMomentsCUDAKernelIN3c108BFloat16EfLb1EEEvlT0_PKT_PS5_S9_
		.amdhsa_group_segment_fixed_size 1536
		.amdhsa_private_segment_fixed_size 0
		.amdhsa_kernarg_size 296
		.amdhsa_user_sgpr_count 2
		.amdhsa_user_sgpr_dispatch_ptr 0
		.amdhsa_user_sgpr_queue_ptr 0
		.amdhsa_user_sgpr_kernarg_segment_ptr 1
		.amdhsa_user_sgpr_dispatch_id 0
		.amdhsa_user_sgpr_kernarg_preload_length 0
		.amdhsa_user_sgpr_kernarg_preload_offset 0
		.amdhsa_user_sgpr_private_segment_size 0
		.amdhsa_uses_dynamic_stack 0
		.amdhsa_enable_private_segment 0
		.amdhsa_system_sgpr_workgroup_id_x 1
		.amdhsa_system_sgpr_workgroup_id_y 0
		.amdhsa_system_sgpr_workgroup_id_z 0
		.amdhsa_system_sgpr_workgroup_info 0
		.amdhsa_system_vgpr_workitem_id 0
		.amdhsa_next_free_vgpr 21
		.amdhsa_next_free_sgpr 19
		.amdhsa_accum_offset 24
		.amdhsa_reserve_vcc 1
		.amdhsa_float_round_mode_32 0
		.amdhsa_float_round_mode_16_64 0
		.amdhsa_float_denorm_mode_32 3
		.amdhsa_float_denorm_mode_16_64 3
		.amdhsa_dx10_clamp 1
		.amdhsa_ieee_mode 1
		.amdhsa_fp16_overflow 0
		.amdhsa_tg_split 0
		.amdhsa_exception_fp_ieee_invalid_op 0
		.amdhsa_exception_fp_denorm_src 0
		.amdhsa_exception_fp_ieee_div_zero 0
		.amdhsa_exception_fp_ieee_overflow 0
		.amdhsa_exception_fp_ieee_underflow 0
		.amdhsa_exception_fp_ieee_inexact 0
		.amdhsa_exception_int_div_zero 0
	.end_amdhsa_kernel
	.section	.text._ZN2at6native12_GLOBAL__N_124RowwiseMomentsCUDAKernelIN3c108BFloat16EfLb1EEEvlT0_PKT_PS5_S9_,"axG",@progbits,_ZN2at6native12_GLOBAL__N_124RowwiseMomentsCUDAKernelIN3c108BFloat16EfLb1EEEvlT0_PKT_PS5_S9_,comdat
.Lfunc_end22:
	.size	_ZN2at6native12_GLOBAL__N_124RowwiseMomentsCUDAKernelIN3c108BFloat16EfLb1EEEvlT0_PKT_PS5_S9_, .Lfunc_end22-_ZN2at6native12_GLOBAL__N_124RowwiseMomentsCUDAKernelIN3c108BFloat16EfLb1EEEvlT0_PKT_PS5_S9_
                                        ; -- End function
	.section	.AMDGPU.csdata,"",@progbits
; Kernel info:
; codeLenInByte = 3464
; NumSgprs: 25
; NumVgprs: 21
; NumAgprs: 0
; TotalNumVgprs: 21
; ScratchSize: 0
; MemoryBound: 0
; FloatMode: 240
; IeeeMode: 1
; LDSByteSize: 1536 bytes/workgroup (compile time only)
; SGPRBlocks: 3
; VGPRBlocks: 2
; NumSGPRsForWavesPerEU: 25
; NumVGPRsForWavesPerEU: 21
; AccumOffset: 24
; Occupancy: 8
; WaveLimiterHint : 0
; COMPUTE_PGM_RSRC2:SCRATCH_EN: 0
; COMPUTE_PGM_RSRC2:USER_SGPR: 2
; COMPUTE_PGM_RSRC2:TRAP_HANDLER: 0
; COMPUTE_PGM_RSRC2:TGID_X_EN: 1
; COMPUTE_PGM_RSRC2:TGID_Y_EN: 0
; COMPUTE_PGM_RSRC2:TGID_Z_EN: 0
; COMPUTE_PGM_RSRC2:TIDIG_COMP_CNT: 0
; COMPUTE_PGM_RSRC3_GFX90A:ACCUM_OFFSET: 5
; COMPUTE_PGM_RSRC3_GFX90A:TG_SPLIT: 0
	.section	.text._ZN2at6native12_GLOBAL__N_126LayerNormForwardCUDAKernelIN3c108BFloat16EfLb1EEEvlPKT_PKT0_SA_S7_S7_PS5_,"axG",@progbits,_ZN2at6native12_GLOBAL__N_126LayerNormForwardCUDAKernelIN3c108BFloat16EfLb1EEEvlPKT_PKT0_SA_S7_S7_PS5_,comdat
	.globl	_ZN2at6native12_GLOBAL__N_126LayerNormForwardCUDAKernelIN3c108BFloat16EfLb1EEEvlPKT_PKT0_SA_S7_S7_PS5_ ; -- Begin function _ZN2at6native12_GLOBAL__N_126LayerNormForwardCUDAKernelIN3c108BFloat16EfLb1EEEvlPKT_PKT0_SA_S7_S7_PS5_
	.p2align	8
	.type	_ZN2at6native12_GLOBAL__N_126LayerNormForwardCUDAKernelIN3c108BFloat16EfLb1EEEvlPKT_PKT0_SA_S7_S7_PS5_,@function
_ZN2at6native12_GLOBAL__N_126LayerNormForwardCUDAKernelIN3c108BFloat16EfLb1EEEvlPKT_PKT0_SA_S7_S7_PS5_: ; @_ZN2at6native12_GLOBAL__N_126LayerNormForwardCUDAKernelIN3c108BFloat16EfLb1EEEvlPKT_PKT0_SA_S7_S7_PS5_
; %bb.0:
	s_load_dwordx4 s[4:7], s[0:1], 0x0
	v_mov_b32_e32 v1, 0
	s_waitcnt lgkmcnt(0)
	v_cmp_gt_i64_e32 vcc, s[4:5], v[0:1]
	s_and_saveexec_b64 s[8:9], vcc
	s_cbranch_execz .LBB23_6
; %bb.1:
	s_load_dwordx4 s[8:11], s[0:1], 0x18
	s_load_dwordx2 s[14:15], s[0:1], 0x30
	s_load_dword s18, s[0:1], 0x44
	s_mov_b32 s3, 0
	s_mov_b64 s[12:13], 0
	s_waitcnt lgkmcnt(0)
	s_cmp_lg_u64 s[10:11], 0
	s_cselect_b64 s[0:1], -1, 0
	s_lshl_b64 s[16:17], s[2:3], 2
	s_add_u32 s8, s8, s16
	s_addc_u32 s9, s9, s17
	s_load_dword s16, s[8:9], 0x0
	s_and_b32 s8, s18, 0xffff
	s_mul_i32 s17, s5, s2
	s_mul_hi_u32 s18, s4, s2
	s_add_i32 s19, s18, s17
	s_mul_i32 s18, s4, s2
	s_lshl_b64 s[18:19], s[18:19], 1
	s_add_u32 s6, s6, s18
	s_addc_u32 s7, s7, s19
	s_lshl_b32 s2, s8, 1
	s_add_u32 s14, s14, s18
	v_cndmask_b32_e64 v4, 0, 1, s[0:1]
	s_mov_b32 s9, s3
	v_lshlrev_b32_e32 v2, 1, v0
	v_mov_b32_e32 v3, v1
	s_addc_u32 s15, s15, s19
	v_cmp_ne_u32_e64 s[0:1], 1, v4
	s_movk_i32 s17, 0x7fff
	v_mov_b32_e32 v4, 0x7fc0
	s_branch .LBB23_4
.LBB23_2:                               ;   in Loop: Header=BB23_4 Depth=1
	v_lshl_add_u64 v[6:7], s[10:11], 0, v[2:3]
	global_load_ushort v5, v[6:7], off
	s_waitcnt vmcnt(0)
	v_lshlrev_b32_e32 v5, 16, v5
.LBB23_3:                               ;   in Loop: Header=BB23_4 Depth=1
	v_lshl_add_u64 v[6:7], s[6:7], 0, v[2:3]
	global_load_ushort v8, v[6:7], off
	v_lshl_add_u64 v[0:1], v[0:1], 0, s[8:9]
	v_cmp_le_i64_e32 vcc, s[4:5], v[0:1]
	s_or_b64 s[12:13], vcc, s[12:13]
	v_lshl_add_u64 v[6:7], s[14:15], 0, v[2:3]
	v_lshl_add_u64 v[2:3], v[2:3], 0, s[2:3]
	s_waitcnt vmcnt(0)
	v_lshlrev_b32_e32 v8, 16, v8
	s_waitcnt lgkmcnt(0)
	v_mul_f32_e32 v8, s16, v8
	v_mul_f32_e32 v5, v5, v8
	v_bfe_u32 v8, v5, 16, 1
	v_add3_u32 v8, v5, v8, s17
	v_lshrrev_b32_e32 v8, 16, v8
	v_cmp_o_f32_e32 vcc, v5, v5
	s_nop 1
	v_cndmask_b32_e32 v5, v4, v8, vcc
	global_store_short v[6:7], v5, off
	s_andn2_b64 exec, exec, s[12:13]
	s_cbranch_execz .LBB23_6
.LBB23_4:                               ; =>This Inner Loop Header: Depth=1
	s_and_b64 vcc, exec, s[0:1]
	s_cbranch_vccz .LBB23_2
; %bb.5:                                ;   in Loop: Header=BB23_4 Depth=1
	v_mov_b32_e32 v5, 1.0
	s_branch .LBB23_3
.LBB23_6:
	s_endpgm
	.section	.rodata,"a",@progbits
	.p2align	6, 0x0
	.amdhsa_kernel _ZN2at6native12_GLOBAL__N_126LayerNormForwardCUDAKernelIN3c108BFloat16EfLb1EEEvlPKT_PKT0_SA_S7_S7_PS5_
		.amdhsa_group_segment_fixed_size 0
		.amdhsa_private_segment_fixed_size 0
		.amdhsa_kernarg_size 312
		.amdhsa_user_sgpr_count 2
		.amdhsa_user_sgpr_dispatch_ptr 0
		.amdhsa_user_sgpr_queue_ptr 0
		.amdhsa_user_sgpr_kernarg_segment_ptr 1
		.amdhsa_user_sgpr_dispatch_id 0
		.amdhsa_user_sgpr_kernarg_preload_length 0
		.amdhsa_user_sgpr_kernarg_preload_offset 0
		.amdhsa_user_sgpr_private_segment_size 0
		.amdhsa_uses_dynamic_stack 0
		.amdhsa_enable_private_segment 0
		.amdhsa_system_sgpr_workgroup_id_x 1
		.amdhsa_system_sgpr_workgroup_id_y 0
		.amdhsa_system_sgpr_workgroup_id_z 0
		.amdhsa_system_sgpr_workgroup_info 0
		.amdhsa_system_vgpr_workitem_id 0
		.amdhsa_next_free_vgpr 9
		.amdhsa_next_free_sgpr 20
		.amdhsa_accum_offset 12
		.amdhsa_reserve_vcc 1
		.amdhsa_float_round_mode_32 0
		.amdhsa_float_round_mode_16_64 0
		.amdhsa_float_denorm_mode_32 3
		.amdhsa_float_denorm_mode_16_64 3
		.amdhsa_dx10_clamp 1
		.amdhsa_ieee_mode 1
		.amdhsa_fp16_overflow 0
		.amdhsa_tg_split 0
		.amdhsa_exception_fp_ieee_invalid_op 0
		.amdhsa_exception_fp_denorm_src 0
		.amdhsa_exception_fp_ieee_div_zero 0
		.amdhsa_exception_fp_ieee_overflow 0
		.amdhsa_exception_fp_ieee_underflow 0
		.amdhsa_exception_fp_ieee_inexact 0
		.amdhsa_exception_int_div_zero 0
	.end_amdhsa_kernel
	.section	.text._ZN2at6native12_GLOBAL__N_126LayerNormForwardCUDAKernelIN3c108BFloat16EfLb1EEEvlPKT_PKT0_SA_S7_S7_PS5_,"axG",@progbits,_ZN2at6native12_GLOBAL__N_126LayerNormForwardCUDAKernelIN3c108BFloat16EfLb1EEEvlPKT_PKT0_SA_S7_S7_PS5_,comdat
.Lfunc_end23:
	.size	_ZN2at6native12_GLOBAL__N_126LayerNormForwardCUDAKernelIN3c108BFloat16EfLb1EEEvlPKT_PKT0_SA_S7_S7_PS5_, .Lfunc_end23-_ZN2at6native12_GLOBAL__N_126LayerNormForwardCUDAKernelIN3c108BFloat16EfLb1EEEvlPKT_PKT0_SA_S7_S7_PS5_
                                        ; -- End function
	.section	.AMDGPU.csdata,"",@progbits
; Kernel info:
; codeLenInByte = 344
; NumSgprs: 26
; NumVgprs: 9
; NumAgprs: 0
; TotalNumVgprs: 9
; ScratchSize: 0
; MemoryBound: 0
; FloatMode: 240
; IeeeMode: 1
; LDSByteSize: 0 bytes/workgroup (compile time only)
; SGPRBlocks: 3
; VGPRBlocks: 1
; NumSGPRsForWavesPerEU: 26
; NumVGPRsForWavesPerEU: 9
; AccumOffset: 12
; Occupancy: 8
; WaveLimiterHint : 0
; COMPUTE_PGM_RSRC2:SCRATCH_EN: 0
; COMPUTE_PGM_RSRC2:USER_SGPR: 2
; COMPUTE_PGM_RSRC2:TRAP_HANDLER: 0
; COMPUTE_PGM_RSRC2:TGID_X_EN: 1
; COMPUTE_PGM_RSRC2:TGID_Y_EN: 0
; COMPUTE_PGM_RSRC2:TGID_Z_EN: 0
; COMPUTE_PGM_RSRC2:TIDIG_COMP_CNT: 0
; COMPUTE_PGM_RSRC3_GFX90A:ACCUM_OFFSET: 2
; COMPUTE_PGM_RSRC3_GFX90A:TG_SPLIT: 0
	.section	.text._ZN2at6native12_GLOBAL__N_118cuComputeGradInputIddLb0EEEvPKT_S5_llPKT0_S8_S5_PS3_,"axG",@progbits,_ZN2at6native12_GLOBAL__N_118cuComputeGradInputIddLb0EEEvPKT_S5_llPKT0_S8_S5_PS3_,comdat
	.globl	_ZN2at6native12_GLOBAL__N_118cuComputeGradInputIddLb0EEEvPKT_S5_llPKT0_S8_S5_PS3_ ; -- Begin function _ZN2at6native12_GLOBAL__N_118cuComputeGradInputIddLb0EEEvPKT_S5_llPKT0_S8_S5_PS3_
	.p2align	8
	.type	_ZN2at6native12_GLOBAL__N_118cuComputeGradInputIddLb0EEEvPKT_S5_llPKT0_S8_S5_PS3_,@function
_ZN2at6native12_GLOBAL__N_118cuComputeGradInputIddLb0EEEvPKT_S5_llPKT0_S8_S5_PS3_: ; @_ZN2at6native12_GLOBAL__N_118cuComputeGradInputIddLb0EEEvPKT_S5_llPKT0_S8_S5_PS3_
; %bb.0:
	s_load_dwordx4 s[20:23], s[0:1], 0x10
	s_mov_b32 s28, s3
	s_ashr_i32 s29, s3, 31
	s_waitcnt lgkmcnt(0)
	v_mov_b64_e32 v[2:3], s[20:21]
	v_cmp_ge_i64_e32 vcc, s[28:29], v[2:3]
	s_cbranch_vccnz .LBB24_47
; %bb.1:
	v_and_b32_e32 v24, 0x3ff, v0
	v_bfe_u32 v25, v0, 10, 10
	v_cvt_f64_i32_e32 v[0:1], s23
	v_ldexp_f64 v[0:1], v[0:1], 32
	v_cvt_f64_u32_e32 v[2:3], s22
	v_add_f64 v[6:7], v[0:1], v[2:3]
	s_load_dword s2, s[0:1], 0x4c
	s_load_dword s33, s[0:1], 0x44
	s_load_dwordx4 s[24:27], s[0:1], 0x0
	s_load_dwordx8 s[12:19], s[0:1], 0x20
	v_div_scale_f64 v[0:1], s[0:1], v[6:7], v[6:7], 1.0
	v_rcp_f64_e32 v[2:3], v[0:1]
	s_waitcnt lgkmcnt(0)
	s_lshr_b32 s52, s2, 16
	s_and_b32 s53, s2, 0xffff
	s_mul_i32 s30, s52, s53
	v_fma_f64 v[8:9], -v[0:1], v[2:3], 1.0
	v_fmac_f64_e32 v[2:3], v[2:3], v[8:9]
	v_fma_f64 v[8:9], -v[0:1], v[2:3], 1.0
	v_fmac_f64_e32 v[2:3], v[2:3], v[8:9]
	v_div_scale_f64 v[8:9], vcc, 1.0, v[6:7], 1.0
	v_mul_f64 v[10:11], v[8:9], v[2:3]
	v_fma_f64 v[0:1], -v[0:1], v[10:11], v[8:9]
	v_mad_u32_u24 v4, v25, s53, v24
	s_cmp_lg_u64 s[16:17], 0
	v_div_fmas_f64 v[0:1], v[0:1], v[2:3], v[10:11]
	s_cselect_b64 s[6:7], -1, 0
	v_div_fixup_f64 v[8:9], v[0:1], v[6:7], 1.0
	v_add_u32_e32 v0, s30, v4
	v_ashrrev_i32_e32 v1, 31, v0
	s_ashr_i32 s31, s30, 31
	v_subrev_co_u32_e32 v10, vcc, s30, v0
	v_cndmask_b32_e64 v0, 0, 1, s[6:7]
	v_cmp_gt_i64_e64 s[6:7], s[22:23], 0
	v_mov_b32_e32 v5, 0
	v_mov_b32_e32 v2, s31
	v_cndmask_b32_e64 v28, 0, 1, s[6:7]
	v_cmp_ne_u32_e64 s[6:7], 1, v0
	v_mbcnt_lo_u32_b32 v0, -1, 0
	v_cmp_gt_u16_e64 s[34:35], s2, 1
	v_cmp_gt_u16_e64 s[36:37], s52, 1
	v_lshl_add_u32 v26, v4, 4, 0
	v_cmp_eq_u32_e64 s[0:1], 0, v25
	v_cmp_ne_u32_e64 s[2:3], 0, v25
	v_lshl_add_u32 v27, v24, 4, 0
	v_cmp_gt_i64_e64 s[4:5], s[22:23], v[4:5]
	v_subb_co_u32_e32 v11, vcc, v1, v2, vcc
	v_mov_b64_e32 v[12:13], s[22:23]
	v_mbcnt_hi_u32_b32 v29, -1, v0
	s_branch .LBB24_4
.LBB24_2:                               ;   in Loop: Header=BB24_4 Depth=1
	s_or_b64 exec, exec, s[10:11]
.LBB24_3:                               ;   in Loop: Header=BB24_4 Depth=1
	s_add_i32 s28, s33, s28
	s_ashr_i32 s29, s28, 31
	v_mov_b64_e32 v[0:1], s[20:21]
	v_cmp_ge_i64_e32 vcc, s[28:29], v[0:1]
	s_barrier
	s_cbranch_vccnz .LBB24_47
.LBB24_4:                               ; =>This Loop Header: Depth=1
                                        ;     Child Loop BB24_8 Depth 2
                                        ;     Child Loop BB24_19 Depth 2
	;; [unrolled: 1-line block ×6, first 2 shown]
	s_mul_i32 s8, s28, s23
	s_mul_hi_u32 s9, s28, s22
	s_add_i32 s8, s9, s8
	s_mul_i32 s9, s29, s22
	s_add_i32 s9, s8, s9
	s_lshl_b64 s[10:11], s[28:29], 3
	s_add_u32 s38, s12, s10
	s_addc_u32 s39, s13, s11
	s_add_u32 s10, s14, s10
	s_mul_i32 s8, s28, s22
	s_addc_u32 s11, s15, s11
	s_load_dwordx2 s[38:39], s[38:39], 0x0
	s_lshl_b64 s[46:47], s[8:9], 3
	s_load_dwordx2 s[40:41], s[10:11], 0x0
	s_add_u32 s42, s26, s46
	s_addc_u32 s43, s27, s47
	s_add_u32 s44, s24, s46
	s_addc_u32 s45, s25, s47
	s_and_b64 vcc, exec, s[6:7]
	v_cmp_ne_u32_e64 s[8:9], 1, v28
	s_cbranch_vccnz .LBB24_14
; %bb.5:                                ;   in Loop: Header=BB24_4 Depth=1
	v_mov_b64_e32 v[0:1], 0
	s_mov_b64 s[10:11], 0
	s_and_b64 vcc, exec, s[8:9]
	v_mov_b64_e32 v[2:3], v[0:1]
	s_cbranch_vccnz .LBB24_15
; %bb.6:                                ;   in Loop: Header=BB24_4 Depth=1
	v_mov_b64_e32 v[14:15], 0
	s_mov_b32 s48, 0
	v_mov_b64_e32 v[0:1], v[14:15]
	v_mov_b64_e32 v[2:3], v[14:15]
	s_branch .LBB24_8
.LBB24_7:                               ;   in Loop: Header=BB24_8 Depth=2
	s_or_b64 exec, exec, s[50:51]
	s_add_i32 s48, s48, s30
	s_waitcnt vmcnt(0)
	v_mul_f64 v[18:19], v[16:17], v[22:23]
	v_fmac_f64_e32 v[0:1], v[16:17], v[22:23]
	s_waitcnt lgkmcnt(0)
	v_add_f64 v[16:17], v[20:21], -s[38:39]
	s_ashr_i32 s49, s48, 31
	v_mul_f64 v[16:17], v[16:17], v[18:19]
	v_cmp_ge_i64_e32 vcc, s[48:49], v[12:13]
	v_fmac_f64_e32 v[2:3], s[40:41], v[16:17]
	s_cbranch_vccnz .LBB24_15
.LBB24_8:                               ;   Parent Loop BB24_4 Depth=1
                                        ; =>  This Inner Loop Header: Depth=2
	v_add_u32_e32 v18, s48, v4
	v_ashrrev_i32_e32 v19, 31, v18
	v_cmp_gt_i64_e32 vcc, s[22:23], v[18:19]
	v_mov_b64_e32 v[16:17], v[14:15]
	s_and_saveexec_b64 s[50:51], vcc
	s_cbranch_execnz .LBB24_11
; %bb.9:                                ;   in Loop: Header=BB24_8 Depth=2
	s_or_b64 exec, exec, s[50:51]
	v_mov_b64_e32 v[20:21], v[14:15]
	s_and_saveexec_b64 s[50:51], vcc
	s_cbranch_execnz .LBB24_12
.LBB24_10:                              ;   in Loop: Header=BB24_8 Depth=2
	s_or_b64 exec, exec, s[50:51]
	v_mov_b64_e32 v[22:23], 0
	s_and_saveexec_b64 s[50:51], vcc
	s_cbranch_execz .LBB24_7
	s_branch .LBB24_13
.LBB24_11:                              ;   in Loop: Header=BB24_8 Depth=2
	v_lshl_add_u64 v[16:17], v[18:19], 3, s[16:17]
	global_load_dwordx2 v[16:17], v[16:17], off
	s_or_b64 exec, exec, s[50:51]
	v_mov_b64_e32 v[20:21], v[14:15]
	s_and_saveexec_b64 s[50:51], vcc
	s_cbranch_execz .LBB24_10
.LBB24_12:                              ;   in Loop: Header=BB24_8 Depth=2
	v_lshl_add_u64 v[20:21], v[18:19], 3, s[42:43]
	global_load_dwordx2 v[20:21], v[20:21], off
	s_or_b64 exec, exec, s[50:51]
	v_mov_b64_e32 v[22:23], 0
	s_and_saveexec_b64 s[50:51], vcc
	s_cbranch_execz .LBB24_7
.LBB24_13:                              ;   in Loop: Header=BB24_8 Depth=2
	v_lshl_add_u64 v[18:19], v[18:19], 3, s[44:45]
	global_load_dwordx2 v[22:23], v[18:19], off
	s_branch .LBB24_7
.LBB24_14:                              ;   in Loop: Header=BB24_4 Depth=1
	s_mov_b64 s[10:11], -1
                                        ; implicit-def: $vgpr0_vgpr1
.LBB24_15:                              ;   in Loop: Header=BB24_4 Depth=1
	s_andn2_b64 vcc, exec, s[10:11]
	s_cbranch_vccnz .LBB24_23
; %bb.16:                               ;   in Loop: Header=BB24_4 Depth=1
	v_mov_b64_e32 v[0:1], 0
	s_and_b64 vcc, exec, s[8:9]
	v_mov_b64_e32 v[2:3], v[0:1]
	s_cbranch_vccnz .LBB24_23
; %bb.17:                               ;   in Loop: Header=BB24_4 Depth=1
	v_mov_b64_e32 v[14:15], 0
	s_mov_b32 s8, 0
	v_mov_b64_e32 v[0:1], v[14:15]
	v_mov_b64_e32 v[2:3], v[14:15]
	s_branch .LBB24_19
.LBB24_18:                              ;   in Loop: Header=BB24_19 Depth=2
	s_or_b64 exec, exec, s[10:11]
	s_waitcnt vmcnt(0) lgkmcnt(0)
	v_add_f64 v[16:17], v[18:19], -s[38:39]
	v_mul_f64 v[16:17], v[16:17], v[20:21]
	s_add_i32 s8, s8, s30
	v_fmac_f64_e32 v[2:3], s[40:41], v[16:17]
	s_ashr_i32 s9, s8, 31
	v_mov_b64_e32 v[16:17], s[22:23]
	v_cmp_ge_i64_e32 vcc, s[8:9], v[16:17]
	v_add_f64 v[0:1], v[0:1], v[20:21]
	s_cbranch_vccnz .LBB24_23
.LBB24_19:                              ;   Parent Loop BB24_4 Depth=1
                                        ; =>  This Inner Loop Header: Depth=2
	v_add_u32_e32 v16, s8, v4
	v_ashrrev_i32_e32 v17, 31, v16
	v_cmp_gt_i64_e32 vcc, s[22:23], v[16:17]
	v_mov_b64_e32 v[18:19], v[14:15]
	s_and_saveexec_b64 s[10:11], vcc
	s_cbranch_execz .LBB24_21
; %bb.20:                               ;   in Loop: Header=BB24_19 Depth=2
	v_lshl_add_u64 v[18:19], v[16:17], 3, s[42:43]
	global_load_dwordx2 v[18:19], v[18:19], off
.LBB24_21:                              ;   in Loop: Header=BB24_19 Depth=2
	s_or_b64 exec, exec, s[10:11]
	v_mov_b64_e32 v[20:21], v[14:15]
	s_and_saveexec_b64 s[10:11], vcc
	s_cbranch_execz .LBB24_18
; %bb.22:                               ;   in Loop: Header=BB24_19 Depth=2
	v_lshl_add_u64 v[16:17], v[16:17], 3, s[44:45]
	global_load_dwordx2 v[20:21], v[16:17], off
	s_branch .LBB24_18
.LBB24_23:                              ;   in Loop: Header=BB24_4 Depth=1
	s_andn2_b64 vcc, exec, s[34:35]
	s_cbranch_vccnz .LBB24_26
; %bb.24:                               ;   in Loop: Header=BB24_4 Depth=1
	v_and_b32_e32 v14, 64, v29
	v_add_u32_e32 v14, 64, v14
	s_mov_b32 s8, s53
.LBB24_25:                              ;   Parent Loop BB24_4 Depth=1
                                        ; =>  This Inner Loop Header: Depth=2
	s_lshr_b32 s9, s8, 1
	v_xor_b32_e32 v15, s9, v29
	v_cmp_lt_i32_e32 vcc, v15, v14
	s_cmp_lt_u32 s8, 4
	s_mov_b32 s8, s9
	v_cndmask_b32_e32 v15, v29, v15, vcc
	v_lshlrev_b32_e32 v15, 2, v15
	ds_bpermute_b32 v16, v15, v0
	ds_bpermute_b32 v17, v15, v1
	;; [unrolled: 1-line block ×4, first 2 shown]
	s_waitcnt lgkmcnt(0)
	v_add_f64 v[0:1], v[0:1], v[16:17]
	v_add_f64 v[2:3], v[2:3], v[18:19]
	s_cbranch_scc0 .LBB24_25
.LBB24_26:                              ;   in Loop: Header=BB24_4 Depth=1
	s_andn2_b64 vcc, exec, s[36:37]
	s_mov_b32 s29, s52
	s_cbranch_vccnz .LBB24_38
.LBB24_27:                              ;   Parent Loop BB24_4 Depth=1
                                        ; =>  This Inner Loop Header: Depth=2
	s_lshr_b32 s48, s29, 1
	s_and_b32 s10, s29, 0xfffe
	v_cmp_le_u32_e64 s[8:9], s48, v25
	v_cmp_gt_u32_e64 s[10:11], s10, v25
	v_cmp_gt_u32_e32 vcc, s48, v25
	s_and_b64 s[10:11], s[8:9], s[10:11]
	s_and_saveexec_b64 s[8:9], s[10:11]
	s_cbranch_execz .LBB24_29
; %bb.28:                               ;   in Loop: Header=BB24_27 Depth=2
	v_subrev_u32_e32 v14, s48, v25
	v_mad_i32_i24 v14, v14, s53, v24
	v_lshl_add_u32 v14, v14, 4, 0
	ds_write2_b64 v14, v[0:1], v[2:3] offset1:1
.LBB24_29:                              ;   in Loop: Header=BB24_27 Depth=2
	s_or_b64 exec, exec, s[8:9]
	s_waitcnt lgkmcnt(0)
	s_barrier
	s_and_saveexec_b64 s[8:9], vcc
	s_cbranch_execz .LBB24_31
; %bb.30:                               ;   in Loop: Header=BB24_27 Depth=2
	ds_read2_b64 v[14:17], v26 offset1:1
	s_waitcnt lgkmcnt(0)
	v_add_f64 v[0:1], v[0:1], v[14:15]
	v_add_f64 v[2:3], v[2:3], v[16:17]
.LBB24_31:                              ;   in Loop: Header=BB24_27 Depth=2
	s_or_b64 exec, exec, s[8:9]
	s_cmp_lt_u32 s29, 4
	s_barrier
	s_cbranch_scc1 .LBB24_33
; %bb.32:                               ;   in Loop: Header=BB24_27 Depth=2
	s_mov_b32 s29, s48
	s_branch .LBB24_27
.LBB24_33:                              ;   in Loop: Header=BB24_4 Depth=1
	s_and_saveexec_b64 s[8:9], s[0:1]
	s_cbranch_execz .LBB24_35
; %bb.34:                               ;   in Loop: Header=BB24_4 Depth=1
	ds_write2_b64 v27, v[0:1], v[2:3] offset1:1
.LBB24_35:                              ;   in Loop: Header=BB24_4 Depth=1
	s_or_b64 exec, exec, s[8:9]
	s_waitcnt lgkmcnt(0)
	s_barrier
	s_and_saveexec_b64 s[8:9], s[2:3]
	s_cbranch_execz .LBB24_37
; %bb.36:                               ;   in Loop: Header=BB24_4 Depth=1
	ds_read2_b64 v[0:3], v27 offset1:1
.LBB24_37:                              ;   in Loop: Header=BB24_4 Depth=1
	s_or_b64 exec, exec, s[8:9]
.LBB24_38:                              ;   in Loop: Header=BB24_4 Depth=1
	s_add_u32 s8, s18, s46
	s_addc_u32 s9, s19, s47
	s_and_b64 vcc, exec, s[6:7]
	s_waitcnt lgkmcnt(0)
	v_mul_f64 v[14:15], v[8:9], s[40:41]
	s_cbranch_vccnz .LBB24_43
; %bb.39:                               ;   in Loop: Header=BB24_4 Depth=1
	s_and_saveexec_b64 s[10:11], s[4:5]
	s_cbranch_execz .LBB24_42
; %bb.40:                               ;   in Loop: Header=BB24_4 Depth=1
	s_mov_b64 s[46:47], 0
	v_mov_b64_e32 v[16:17], v[10:11]
	v_mov_b64_e32 v[18:19], v[4:5]
.LBB24_41:                              ;   Parent Loop BB24_4 Depth=1
                                        ; =>  This Inner Loop Header: Depth=2
	v_lshlrev_b64 v[18:19], 3, v[18:19]
	v_lshl_add_u64 v[22:23], s[44:45], 0, v[18:19]
	v_lshl_add_u64 v[20:21], s[42:43], 0, v[18:19]
	;; [unrolled: 1-line block ×3, first 2 shown]
	global_load_dwordx2 v[32:33], v[22:23], off
	global_load_dwordx2 v[34:35], v[20:21], off
	;; [unrolled: 1-line block ×3, first 2 shown]
	v_lshl_add_u64 v[16:17], v[16:17], 0, s[30:31]
	v_cmp_le_i64_e32 vcc, s[22:23], v[16:17]
	v_lshl_add_u64 v[20:21], s[8:9], 0, v[18:19]
	v_ashrrev_i32_e32 v19, 31, v16
	v_mov_b32_e32 v18, v16
	s_or_b64 s[46:47], vcc, s[46:47]
	s_waitcnt vmcnt(2)
	v_mul_f64 v[22:23], v[32:33], v[6:7]
	s_waitcnt vmcnt(1)
	v_add_f64 v[30:31], v[34:35], -s[38:39]
	s_waitcnt vmcnt(0)
	v_fma_f64 v[22:23], v[22:23], v[36:37], -v[0:1]
	v_mul_f64 v[30:31], s[40:41], v[30:31]
	v_fma_f64 v[22:23], -v[2:3], v[30:31], v[22:23]
	v_mul_f64 v[22:23], v[14:15], v[22:23]
	global_store_dwordx2 v[20:21], v[22:23], off
	s_andn2_b64 exec, exec, s[46:47]
	s_cbranch_execnz .LBB24_41
.LBB24_42:                              ;   in Loop: Header=BB24_4 Depth=1
	s_or_b64 exec, exec, s[10:11]
	s_cbranch_execnz .LBB24_3
	s_branch .LBB24_44
.LBB24_43:                              ;   in Loop: Header=BB24_4 Depth=1
.LBB24_44:                              ;   in Loop: Header=BB24_4 Depth=1
	s_and_saveexec_b64 s[10:11], s[4:5]
	s_cbranch_execz .LBB24_2
; %bb.45:                               ;   in Loop: Header=BB24_4 Depth=1
	s_mov_b64 s[46:47], 0
	v_mov_b64_e32 v[16:17], v[10:11]
	v_mov_b64_e32 v[18:19], v[4:5]
.LBB24_46:                              ;   Parent Loop BB24_4 Depth=1
                                        ; =>  This Inner Loop Header: Depth=2
	v_lshlrev_b64 v[18:19], 3, v[18:19]
	v_lshl_add_u64 v[20:21], s[42:43], 0, v[18:19]
	v_lshl_add_u64 v[22:23], s[44:45], 0, v[18:19]
	global_load_dwordx2 v[30:31], v[20:21], off
	global_load_dwordx2 v[32:33], v[22:23], off
	v_lshl_add_u64 v[16:17], v[16:17], 0, s[30:31]
	v_cmp_le_i64_e32 vcc, s[22:23], v[16:17]
	v_lshl_add_u64 v[20:21], s[8:9], 0, v[18:19]
	v_ashrrev_i32_e32 v19, 31, v16
	v_mov_b32_e32 v18, v16
	s_or_b64 s[46:47], vcc, s[46:47]
	s_waitcnt vmcnt(1)
	v_add_f64 v[30:31], v[30:31], -s[38:39]
	s_waitcnt vmcnt(0)
	v_fma_f64 v[22:23], v[32:33], v[6:7], -v[0:1]
	v_mul_f64 v[30:31], s[40:41], v[30:31]
	v_fma_f64 v[22:23], -v[2:3], v[30:31], v[22:23]
	v_mul_f64 v[22:23], v[14:15], v[22:23]
	global_store_dwordx2 v[20:21], v[22:23], off
	s_andn2_b64 exec, exec, s[46:47]
	s_cbranch_execnz .LBB24_46
	s_branch .LBB24_2
.LBB24_47:
	s_endpgm
	.section	.rodata,"a",@progbits
	.p2align	6, 0x0
	.amdhsa_kernel _ZN2at6native12_GLOBAL__N_118cuComputeGradInputIddLb0EEEvPKT_S5_llPKT0_S8_S5_PS3_
		.amdhsa_group_segment_fixed_size 0
		.amdhsa_private_segment_fixed_size 0
		.amdhsa_kernarg_size 320
		.amdhsa_user_sgpr_count 2
		.amdhsa_user_sgpr_dispatch_ptr 0
		.amdhsa_user_sgpr_queue_ptr 0
		.amdhsa_user_sgpr_kernarg_segment_ptr 1
		.amdhsa_user_sgpr_dispatch_id 0
		.amdhsa_user_sgpr_kernarg_preload_length 0
		.amdhsa_user_sgpr_kernarg_preload_offset 0
		.amdhsa_user_sgpr_private_segment_size 0
		.amdhsa_uses_dynamic_stack 0
		.amdhsa_enable_private_segment 0
		.amdhsa_system_sgpr_workgroup_id_x 1
		.amdhsa_system_sgpr_workgroup_id_y 1
		.amdhsa_system_sgpr_workgroup_id_z 0
		.amdhsa_system_sgpr_workgroup_info 0
		.amdhsa_system_vgpr_workitem_id 1
		.amdhsa_next_free_vgpr 38
		.amdhsa_next_free_sgpr 54
		.amdhsa_accum_offset 40
		.amdhsa_reserve_vcc 1
		.amdhsa_float_round_mode_32 0
		.amdhsa_float_round_mode_16_64 0
		.amdhsa_float_denorm_mode_32 3
		.amdhsa_float_denorm_mode_16_64 3
		.amdhsa_dx10_clamp 1
		.amdhsa_ieee_mode 1
		.amdhsa_fp16_overflow 0
		.amdhsa_tg_split 0
		.amdhsa_exception_fp_ieee_invalid_op 0
		.amdhsa_exception_fp_denorm_src 0
		.amdhsa_exception_fp_ieee_div_zero 0
		.amdhsa_exception_fp_ieee_overflow 0
		.amdhsa_exception_fp_ieee_underflow 0
		.amdhsa_exception_fp_ieee_inexact 0
		.amdhsa_exception_int_div_zero 0
	.end_amdhsa_kernel
	.section	.text._ZN2at6native12_GLOBAL__N_118cuComputeGradInputIddLb0EEEvPKT_S5_llPKT0_S8_S5_PS3_,"axG",@progbits,_ZN2at6native12_GLOBAL__N_118cuComputeGradInputIddLb0EEEvPKT_S5_llPKT0_S8_S5_PS3_,comdat
.Lfunc_end24:
	.size	_ZN2at6native12_GLOBAL__N_118cuComputeGradInputIddLb0EEEvPKT_S5_llPKT0_S8_S5_PS3_, .Lfunc_end24-_ZN2at6native12_GLOBAL__N_118cuComputeGradInputIddLb0EEEvPKT_S5_llPKT0_S8_S5_PS3_
                                        ; -- End function
	.section	.AMDGPU.csdata,"",@progbits
; Kernel info:
; codeLenInByte = 1600
; NumSgprs: 60
; NumVgprs: 38
; NumAgprs: 0
; TotalNumVgprs: 38
; ScratchSize: 0
; MemoryBound: 0
; FloatMode: 240
; IeeeMode: 1
; LDSByteSize: 0 bytes/workgroup (compile time only)
; SGPRBlocks: 7
; VGPRBlocks: 4
; NumSGPRsForWavesPerEU: 60
; NumVGPRsForWavesPerEU: 38
; AccumOffset: 40
; Occupancy: 8
; WaveLimiterHint : 0
; COMPUTE_PGM_RSRC2:SCRATCH_EN: 0
; COMPUTE_PGM_RSRC2:USER_SGPR: 2
; COMPUTE_PGM_RSRC2:TRAP_HANDLER: 0
; COMPUTE_PGM_RSRC2:TGID_X_EN: 1
; COMPUTE_PGM_RSRC2:TGID_Y_EN: 1
; COMPUTE_PGM_RSRC2:TGID_Z_EN: 0
; COMPUTE_PGM_RSRC2:TIDIG_COMP_CNT: 1
; COMPUTE_PGM_RSRC3_GFX90A:ACCUM_OFFSET: 9
; COMPUTE_PGM_RSRC3_GFX90A:TG_SPLIT: 0
	.section	.text._ZN2at6native12_GLOBAL__N_128layer_norm_grad_input_kernelIddLb0EEEvPKT_S5_PKT0_S8_S5_PS3_i,"axG",@progbits,_ZN2at6native12_GLOBAL__N_128layer_norm_grad_input_kernelIddLb0EEEvPKT_S5_PKT0_S8_S5_PS3_i,comdat
	.globl	_ZN2at6native12_GLOBAL__N_128layer_norm_grad_input_kernelIddLb0EEEvPKT_S5_PKT0_S8_S5_PS3_i ; -- Begin function _ZN2at6native12_GLOBAL__N_128layer_norm_grad_input_kernelIddLb0EEEvPKT_S5_PKT0_S8_S5_PS3_i
	.p2align	8
	.type	_ZN2at6native12_GLOBAL__N_128layer_norm_grad_input_kernelIddLb0EEEvPKT_S5_PKT0_S8_S5_PS3_i,@function
_ZN2at6native12_GLOBAL__N_128layer_norm_grad_input_kernelIddLb0EEEvPKT_S5_PKT0_S8_S5_PS3_i: ; @_ZN2at6native12_GLOBAL__N_128layer_norm_grad_input_kernelIddLb0EEEvPKT_S5_PKT0_S8_S5_PS3_i
; %bb.0:
	s_load_dword s33, s[0:1], 0x30
	s_load_dwordx2 s[12:13], s[0:1], 0x20
	s_load_dwordx8 s[4:11], s[0:1], 0x0
	s_mov_b32 s3, 0
	v_lshlrev_b32_e32 v4, 2, v0
	s_waitcnt lgkmcnt(0)
	s_ashr_i32 s14, s33, 31
	s_mul_hi_u32 s15, s33, s2
	s_mul_i32 s14, s14, s2
	s_add_i32 s21, s15, s14
	s_mul_i32 s20, s33, s2
	s_lshl_b64 s[2:3], s[2:3], 3
	s_add_u32 s8, s8, s2
	s_addc_u32 s9, s9, s3
	s_add_u32 s2, s10, s2
	s_addc_u32 s3, s11, s3
	s_load_dwordx2 s[8:9], s[8:9], 0x0
	s_lshl_b64 s[18:19], s[20:21], 3
	s_load_dwordx2 s[10:11], s[2:3], 0x0
	s_add_u32 s14, s6, s18
	s_addc_u32 s15, s7, s19
	s_add_u32 s16, s4, s18
	v_or_b32_e32 v1, 3, v4
	v_mov_b64_e32 v[6:7], 0
	s_addc_u32 s17, s5, s19
	v_cmp_gt_u32_e32 vcc, s33, v1
	s_mov_b64 s[24:25], 0
	v_mov_b64_e32 v[2:3], v[6:7]
	s_and_saveexec_b64 s[22:23], vcc
	s_cbranch_execz .LBB25_12
; %bb.1:
	s_load_dword s2, s[0:1], 0x44
	s_cmp_lg_u64 s[12:13], 0
	s_cselect_b64 s[26:27], -1, 0
	v_mov_b64_e32 v[6:7], 0
	v_cndmask_b32_e64 v1, 0, 1, s[26:27]
	s_waitcnt lgkmcnt(0)
	s_and_b32 s2, s2, 0xffff
	s_lshl_b32 s36, s2, 2
	s_add_u32 s28, s12, 8
	s_addc_u32 s29, s13, 0
	s_add_u32 s30, s12, 16
	s_addc_u32 s31, s13, 0
	s_add_u32 s34, s12, 24
	v_mov_b32_e32 v5, 0
	s_addc_u32 s35, s13, 0
	v_cmp_ne_u32_e64 s[2:3], 1, v1
	v_mov_b64_e32 v[2:3], v[6:7]
	s_branch .LBB25_3
.LBB25_2:                               ;   in Loop: Header=BB25_3 Depth=1
	global_load_dwordx2 v[32:33], v[24:25], off offset:24
	global_load_dwordx2 v[34:35], v[20:21], off offset:24
	s_waitcnt vmcnt(6)
	v_mul_f64 v[20:21], v[10:11], v[22:23]
	v_fmac_f64_e32 v[6:7], v[10:11], v[22:23]
	v_add_f64 v[10:11], v[18:19], -s[8:9]
	s_waitcnt vmcnt(4)
	v_mul_f64 v[18:19], v[8:9], v[14:15]
	v_add_f64 v[22:23], v[28:29], -s[8:9]
	v_mul_f64 v[10:11], v[10:11], v[20:21]
	s_waitcnt vmcnt(2)
	v_mul_f64 v[24:25], v[16:17], v[26:27]
	v_add_f64 v[28:29], v[30:31], -s[8:9]
	v_add_u32_e32 v4, s36, v4
	v_fmac_f64_e32 v[6:7], v[8:9], v[14:15]
	v_mul_f64 v[8:9], v[22:23], v[18:19]
	v_fmac_f64_e32 v[2:3], s[10:11], v[10:11]
	v_mul_f64 v[14:15], v[28:29], v[24:25]
	v_add_u32_e32 v1, 3, v4
	v_fmac_f64_e32 v[2:3], s[10:11], v[8:9]
	v_fmac_f64_e32 v[6:7], v[16:17], v[26:27]
	v_cmp_le_u32_e32 vcc, s33, v1
	v_fmac_f64_e32 v[2:3], s[10:11], v[14:15]
	s_or_b64 s[24:25], vcc, s[24:25]
	s_waitcnt vmcnt(1)
	v_mul_f64 v[8:9], v[12:13], v[32:33]
	s_waitcnt vmcnt(0)
	v_add_f64 v[10:11], v[34:35], -s[8:9]
	v_mul_f64 v[8:9], v[10:11], v[8:9]
	v_fmac_f64_e32 v[6:7], v[12:13], v[32:33]
	v_fmac_f64_e32 v[2:3], s[10:11], v[8:9]
	s_andn2_b64 exec, exec, s[24:25]
	s_cbranch_execz .LBB25_11
.LBB25_3:                               ; =>This Inner Loop Header: Depth=1
	v_mov_b64_e32 v[8:9], 1.0
	s_and_b64 vcc, exec, s[26:27]
	v_mov_b64_e32 v[10:11], v[8:9]
	s_cbranch_vccz .LBB25_5
; %bb.4:                                ;   in Loop: Header=BB25_3 Depth=1
	v_lshl_add_u64 v[10:11], v[4:5], 3, s[12:13]
	global_load_dwordx2 v[10:11], v[10:11], off
.LBB25_5:                               ;   in Loop: Header=BB25_3 Depth=1
	v_lshlrev_b64 v[12:13], 3, v[4:5]
	v_lshl_add_u64 v[20:21], s[14:15], 0, v[12:13]
	v_lshl_add_u64 v[24:25], s[16:17], 0, v[12:13]
	global_load_dwordx2 v[18:19], v[20:21], off
	global_load_dwordx2 v[22:23], v[24:25], off
	s_and_b64 vcc, exec, s[2:3]
	s_cbranch_vccnz .LBB25_7
; %bb.6:                                ;   in Loop: Header=BB25_3 Depth=1
	v_lshl_add_u64 v[8:9], v[4:5], 3, s[28:29]
	global_load_dwordx2 v[8:9], v[8:9], off
.LBB25_7:                               ;   in Loop: Header=BB25_3 Depth=1
	s_nop 0
	global_load_dwordx2 v[28:29], v[20:21], off offset:8
	global_load_dwordx2 v[14:15], v[24:25], off offset:8
	v_mov_b64_e32 v[12:13], 1.0
	s_and_b64 vcc, exec, s[2:3]
	v_mov_b64_e32 v[16:17], v[12:13]
	s_cbranch_vccnz .LBB25_9
; %bb.8:                                ;   in Loop: Header=BB25_3 Depth=1
	v_lshl_add_u64 v[16:17], v[4:5], 3, s[30:31]
	global_load_dwordx2 v[16:17], v[16:17], off
.LBB25_9:                               ;   in Loop: Header=BB25_3 Depth=1
	s_nop 0
	global_load_dwordx2 v[30:31], v[20:21], off offset:16
	global_load_dwordx2 v[26:27], v[24:25], off offset:16
	s_and_b64 vcc, exec, s[2:3]
	s_cbranch_vccnz .LBB25_2
; %bb.10:                               ;   in Loop: Header=BB25_3 Depth=1
	v_lshl_add_u64 v[12:13], v[4:5], 3, s[34:35]
	global_load_dwordx2 v[12:13], v[12:13], off
	s_branch .LBB25_2
.LBB25_11:
	s_or_b64 exec, exec, s[24:25]
.LBB25_12:
	s_or_b64 exec, exec, s[22:23]
	v_cmp_gt_u32_e32 vcc, s33, v4
	s_and_saveexec_b64 s[22:23], vcc
	s_cbranch_execz .LBB25_19
; %bb.13:
	s_cmp_lg_u64 s[12:13], 0
	v_mov_b32_e32 v5, 0
	v_lshlrev_b64 v[10:11], 3, v[4:5]
	s_cselect_b64 s[2:3], -1, 0
	v_lshl_add_u64 v[12:13], s[20:21], 3, v[10:11]
	v_cndmask_b32_e64 v1, 0, 1, s[2:3]
	s_mov_b64 s[24:25], 0
	v_lshl_add_u64 v[8:9], s[12:13], 0, v[10:11]
	v_lshl_add_u64 v[10:11], s[6:7], 0, v[12:13]
	;; [unrolled: 1-line block ×3, first 2 shown]
	v_cmp_ne_u32_e64 s[2:3], 1, v1
	s_branch .LBB25_16
.LBB25_14:                              ;   in Loop: Header=BB25_16 Depth=1
	global_load_dwordx2 v[14:15], v[8:9], off
.LBB25_15:                              ;   in Loop: Header=BB25_16 Depth=1
	global_load_dwordx2 v[16:17], v[12:13], off
	global_load_dwordx2 v[18:19], v[10:11], off
	v_add_u32_e32 v4, 1, v4
	v_cmp_le_u32_e32 vcc, s33, v4
	v_lshl_add_u64 v[8:9], v[8:9], 0, 8
	v_lshl_add_u64 v[10:11], v[10:11], 0, 8
	s_or_b64 s[24:25], vcc, s[24:25]
	v_lshl_add_u64 v[12:13], v[12:13], 0, 8
	s_waitcnt vmcnt(1)
	v_mul_f64 v[20:21], v[14:15], v[16:17]
	v_fmac_f64_e32 v[6:7], v[14:15], v[16:17]
	s_waitcnt vmcnt(0) lgkmcnt(0)
	v_add_f64 v[14:15], v[18:19], -s[8:9]
	v_mul_f64 v[14:15], v[14:15], v[20:21]
	v_fmac_f64_e32 v[2:3], s[10:11], v[14:15]
	s_andn2_b64 exec, exec, s[24:25]
	s_cbranch_execz .LBB25_18
.LBB25_16:                              ; =>This Inner Loop Header: Depth=1
	s_and_b64 vcc, exec, s[2:3]
	s_cbranch_vccz .LBB25_14
; %bb.17:                               ;   in Loop: Header=BB25_16 Depth=1
	v_mov_b64_e32 v[14:15], 1.0
	s_branch .LBB25_15
.LBB25_18:
	s_or_b64 exec, exec, s[24:25]
.LBB25_19:
	s_or_b64 exec, exec, s[22:23]
	v_mbcnt_lo_u32_b32 v1, -1, 0
	v_mbcnt_hi_u32_b32 v12, -1, v1
	v_and_b32_e32 v13, 63, v12
	v_cmp_gt_u32_e32 vcc, 32, v13
	v_and_b32_e32 v14, 63, v0
	s_waitcnt lgkmcnt(0)
	v_cndmask_b32_e64 v1, 0, 1, vcc
	v_lshlrev_b32_e32 v1, 5, v1
	v_add_lshl_u32 v1, v1, v12, 2
	ds_bpermute_b32 v4, v1, v6
	ds_bpermute_b32 v5, v1, v7
	v_cmp_gt_u32_e32 vcc, 48, v13
	s_barrier
	s_waitcnt lgkmcnt(0)
	v_cndmask_b32_e64 v8, 0, 1, vcc
	v_add_f64 v[4:5], v[6:7], v[4:5]
	v_lshlrev_b32_e32 v6, 4, v8
	v_add_lshl_u32 v8, v6, v12, 2
	ds_bpermute_b32 v6, v8, v4
	ds_bpermute_b32 v7, v8, v5
	v_cmp_gt_u32_e32 vcc, 56, v13
	s_waitcnt lgkmcnt(0)
	v_add_f64 v[4:5], v[4:5], v[6:7]
	v_cndmask_b32_e64 v6, 0, 1, vcc
	v_lshlrev_b32_e32 v6, 3, v6
	v_add_lshl_u32 v9, v6, v12, 2
	ds_bpermute_b32 v6, v9, v4
	ds_bpermute_b32 v7, v9, v5
	v_cmp_gt_u32_e32 vcc, 60, v13
	s_waitcnt lgkmcnt(0)
	v_add_f64 v[4:5], v[4:5], v[6:7]
	v_cndmask_b32_e64 v6, 0, 1, vcc
	;; [unrolled: 8-line block ×3, first 2 shown]
	v_lshlrev_b32_e32 v6, 1, v6
	v_add_lshl_u32 v11, v6, v12, 2
	ds_bpermute_b32 v6, v11, v4
	ds_bpermute_b32 v7, v11, v5
	v_cmp_ne_u32_e32 vcc, 63, v13
	v_lshrrev_b32_e32 v13, 3, v0
	s_waitcnt lgkmcnt(0)
	v_add_f64 v[4:5], v[4:5], v[6:7]
	v_addc_co_u32_e32 v6, vcc, 0, v12, vcc
	v_lshlrev_b32_e32 v12, 2, v6
	ds_bpermute_b32 v6, v12, v4
	ds_bpermute_b32 v7, v12, v5
	v_cmp_eq_u32_e32 vcc, 0, v14
	s_and_saveexec_b64 s[2:3], vcc
	s_cbranch_execz .LBB25_21
; %bb.20:
	v_add_u32_e32 v15, 0, v13
	s_waitcnt lgkmcnt(0)
	v_add_f64 v[4:5], v[4:5], v[6:7]
	ds_write_b64 v15, v[4:5]
.LBB25_21:
	s_or_b64 exec, exec, s[2:3]
	s_waitcnt lgkmcnt(0)
	s_barrier
	s_load_dword s20, s[0:1], 0x44
	v_mov_b64_e32 v[4:5], 0
	v_lshl_add_u32 v14, v14, 3, 0
	s_waitcnt lgkmcnt(0)
	s_bfe_u32 s2, s20, 0xa0006
	v_cmp_gt_u32_e64 s[2:3], s2, v0
	s_and_saveexec_b64 s[4:5], s[2:3]
	s_cbranch_execz .LBB25_23
; %bb.22:
	ds_read_b64 v[4:5], v14
.LBB25_23:
	s_or_b64 exec, exec, s[4:5]
	v_cmp_gt_u32_e64 s[4:5], 64, v0
	s_and_saveexec_b64 s[6:7], s[4:5]
	s_cbranch_execz .LBB25_25
; %bb.24:
	s_waitcnt lgkmcnt(0)
	ds_bpermute_b32 v6, v1, v4
	ds_bpermute_b32 v7, v1, v5
	s_waitcnt lgkmcnt(0)
	v_add_f64 v[4:5], v[4:5], v[6:7]
	ds_bpermute_b32 v6, v8, v4
	ds_bpermute_b32 v7, v8, v5
	s_waitcnt lgkmcnt(0)
	v_add_f64 v[4:5], v[4:5], v[6:7]
	ds_bpermute_b32 v6, v9, v4
	ds_bpermute_b32 v7, v9, v5
	s_waitcnt lgkmcnt(0)
	v_add_f64 v[4:5], v[4:5], v[6:7]
	ds_bpermute_b32 v6, v10, v4
	ds_bpermute_b32 v7, v10, v5
	s_waitcnt lgkmcnt(0)
	v_add_f64 v[4:5], v[4:5], v[6:7]
	ds_bpermute_b32 v6, v11, v4
	ds_bpermute_b32 v7, v11, v5
	s_waitcnt lgkmcnt(0)
	v_add_f64 v[4:5], v[4:5], v[6:7]
	ds_bpermute_b32 v6, v12, v4
	ds_bpermute_b32 v7, v12, v5
	s_waitcnt lgkmcnt(0)
	v_add_f64 v[4:5], v[4:5], v[6:7]
.LBB25_25:
	s_or_b64 exec, exec, s[6:7]
	ds_bpermute_b32 v6, v1, v2
	ds_bpermute_b32 v7, v1, v3
	s_waitcnt lgkmcnt(0)
	s_barrier
	v_add_f64 v[2:3], v[2:3], v[6:7]
	ds_bpermute_b32 v6, v8, v2
	ds_bpermute_b32 v7, v8, v3
	s_waitcnt lgkmcnt(0)
	v_add_f64 v[2:3], v[2:3], v[6:7]
	ds_bpermute_b32 v6, v9, v2
	ds_bpermute_b32 v7, v9, v3
	s_waitcnt lgkmcnt(0)
	;; [unrolled: 4-line block ×4, first 2 shown]
	v_add_f64 v[2:3], v[2:3], v[6:7]
	ds_bpermute_b32 v6, v12, v2
	ds_bpermute_b32 v7, v12, v3
	s_and_saveexec_b64 s[6:7], vcc
	s_cbranch_execz .LBB25_27
; %bb.26:
	v_add_u32_e32 v13, 0, v13
	s_waitcnt lgkmcnt(0)
	v_add_f64 v[2:3], v[2:3], v[6:7]
	ds_write_b64 v13, v[2:3]
.LBB25_27:
	s_or_b64 exec, exec, s[6:7]
	v_mov_b64_e32 v[2:3], 0
	s_waitcnt lgkmcnt(0)
	s_barrier
	s_and_saveexec_b64 s[6:7], s[2:3]
	s_cbranch_execnz .LBB25_38
; %bb.28:
	s_or_b64 exec, exec, s[6:7]
	s_and_saveexec_b64 s[2:3], s[4:5]
	s_cbranch_execnz .LBB25_39
.LBB25_29:
	s_or_b64 exec, exec, s[2:3]
	v_cmp_eq_u32_e32 vcc, 0, v0
	s_and_saveexec_b64 s[2:3], vcc
	s_cbranch_execz .LBB25_31
.LBB25_30:
	v_mov_b32_e32 v1, 0
	s_waitcnt lgkmcnt(0)
	ds_write2_b64 v1, v[4:5], v[2:3] offset1:1
.LBB25_31:
	s_or_b64 exec, exec, s[2:3]
	v_cmp_gt_i32_e32 vcc, s33, v0
	s_waitcnt lgkmcnt(0)
	s_barrier
	s_and_saveexec_b64 s[2:3], vcc
	s_cbranch_execz .LBB25_37
; %bb.32:
	v_cvt_f64_i32_e32 v[6:7], s33
	v_div_scale_f64 v[8:9], s[2:3], v[6:7], v[6:7], 1.0
	v_rcp_f64_e32 v[10:11], v[8:9]
	s_load_dwordx2 s[0:1], s[0:1], 0x28
	s_and_b32 s6, s20, 0xffff
	v_mov_b32_e32 v1, 0
	v_fma_f64 v[12:13], -v[8:9], v[10:11], 1.0
	v_fmac_f64_e32 v[10:11], v[10:11], v[12:13]
	v_fma_f64 v[12:13], -v[8:9], v[10:11], 1.0
	v_fmac_f64_e32 v[10:11], v[10:11], v[12:13]
	v_div_scale_f64 v[12:13], vcc, 1.0, v[6:7], 1.0
	s_waitcnt lgkmcnt(0)
	s_add_u32 s2, s0, s18
	ds_read2_b64 v[2:5], v1 offset1:1
	v_mul_f64 v[14:15], v[12:13], v[10:11]
	s_addc_u32 s3, s1, s19
	v_fma_f64 v[8:9], -v[8:9], v[14:15], v[12:13]
	s_cmp_lg_u64 s[12:13], 0
	v_div_fmas_f64 v[8:9], v[8:9], v[10:11], v[14:15]
	s_cselect_b64 s[0:1], -1, 0
	v_div_fixup_f64 v[8:9], v[8:9], v[6:7], 1.0
	v_cndmask_b32_e64 v1, 0, 1, s[0:1]
	v_mul_f64 v[8:9], v[8:9], s[10:11]
	s_mov_b64 s[4:5], 0
	v_cmp_ne_u32_e64 s[0:1], 1, v1
	s_branch .LBB25_35
.LBB25_33:                              ;   in Loop: Header=BB25_35 Depth=1
	v_lshl_add_u64 v[14:15], v[0:1], 3, s[12:13]
	global_load_dwordx2 v[14:15], v[14:15], off
.LBB25_34:                              ;   in Loop: Header=BB25_35 Depth=1
	s_waitcnt vmcnt(1)
	v_add_f64 v[12:13], v[12:13], -s[8:9]
	v_mul_f64 v[12:13], s[10:11], v[12:13]
	s_waitcnt vmcnt(0)
	v_mul_f64 v[14:15], v[14:15], v[6:7]
	s_waitcnt lgkmcnt(0)
	v_mul_f64 v[12:13], v[4:5], v[12:13]
	v_fma_f64 v[10:11], v[10:11], v[14:15], -v[12:13]
	v_lshl_add_u64 v[12:13], v[0:1], 3, s[2:3]
	v_add_u32_e32 v0, s6, v0
	v_add_f64 v[10:11], v[10:11], -v[2:3]
	v_cmp_le_i32_e32 vcc, s33, v0
	v_mul_f64 v[10:11], v[8:9], v[10:11]
	s_or_b64 s[4:5], vcc, s[4:5]
	global_store_dwordx2 v[12:13], v[10:11], off
	s_andn2_b64 exec, exec, s[4:5]
	s_cbranch_execz .LBB25_37
.LBB25_35:                              ; =>This Inner Loop Header: Depth=1
	v_ashrrev_i32_e32 v1, 31, v0
	v_lshlrev_b64 v[10:11], 3, v[0:1]
	v_lshl_add_u64 v[12:13], s[14:15], 0, v[10:11]
	v_lshl_add_u64 v[10:11], s[16:17], 0, v[10:11]
	global_load_dwordx2 v[12:13], v[12:13], off
	s_and_b64 vcc, exec, s[0:1]
	global_load_dwordx2 v[10:11], v[10:11], off
	s_cbranch_vccz .LBB25_33
; %bb.36:                               ;   in Loop: Header=BB25_35 Depth=1
	v_mov_b64_e32 v[14:15], 1.0
	s_branch .LBB25_34
.LBB25_37:
	s_endpgm
.LBB25_38:
	ds_read_b64 v[2:3], v14
	s_or_b64 exec, exec, s[6:7]
	s_and_saveexec_b64 s[2:3], s[4:5]
	s_cbranch_execz .LBB25_29
.LBB25_39:
	s_waitcnt lgkmcnt(0)
	ds_bpermute_b32 v6, v1, v2
	ds_bpermute_b32 v7, v1, v3
	s_waitcnt lgkmcnt(0)
	v_add_f64 v[2:3], v[2:3], v[6:7]
	ds_bpermute_b32 v6, v8, v2
	ds_bpermute_b32 v7, v8, v3
	s_waitcnt lgkmcnt(0)
	v_add_f64 v[2:3], v[2:3], v[6:7]
	;; [unrolled: 4-line block ×6, first 2 shown]
	s_or_b64 exec, exec, s[2:3]
	v_cmp_eq_u32_e32 vcc, 0, v0
	s_and_saveexec_b64 s[2:3], vcc
	s_cbranch_execnz .LBB25_30
	s_branch .LBB25_31
	.section	.rodata,"a",@progbits
	.p2align	6, 0x0
	.amdhsa_kernel _ZN2at6native12_GLOBAL__N_128layer_norm_grad_input_kernelIddLb0EEEvPKT_S5_PKT0_S8_S5_PS3_i
		.amdhsa_group_segment_fixed_size 0
		.amdhsa_private_segment_fixed_size 0
		.amdhsa_kernarg_size 312
		.amdhsa_user_sgpr_count 2
		.amdhsa_user_sgpr_dispatch_ptr 0
		.amdhsa_user_sgpr_queue_ptr 0
		.amdhsa_user_sgpr_kernarg_segment_ptr 1
		.amdhsa_user_sgpr_dispatch_id 0
		.amdhsa_user_sgpr_kernarg_preload_length 0
		.amdhsa_user_sgpr_kernarg_preload_offset 0
		.amdhsa_user_sgpr_private_segment_size 0
		.amdhsa_uses_dynamic_stack 0
		.amdhsa_enable_private_segment 0
		.amdhsa_system_sgpr_workgroup_id_x 1
		.amdhsa_system_sgpr_workgroup_id_y 0
		.amdhsa_system_sgpr_workgroup_id_z 0
		.amdhsa_system_sgpr_workgroup_info 0
		.amdhsa_system_vgpr_workitem_id 0
		.amdhsa_next_free_vgpr 36
		.amdhsa_next_free_sgpr 37
		.amdhsa_accum_offset 36
		.amdhsa_reserve_vcc 1
		.amdhsa_float_round_mode_32 0
		.amdhsa_float_round_mode_16_64 0
		.amdhsa_float_denorm_mode_32 3
		.amdhsa_float_denorm_mode_16_64 3
		.amdhsa_dx10_clamp 1
		.amdhsa_ieee_mode 1
		.amdhsa_fp16_overflow 0
		.amdhsa_tg_split 0
		.amdhsa_exception_fp_ieee_invalid_op 0
		.amdhsa_exception_fp_denorm_src 0
		.amdhsa_exception_fp_ieee_div_zero 0
		.amdhsa_exception_fp_ieee_overflow 0
		.amdhsa_exception_fp_ieee_underflow 0
		.amdhsa_exception_fp_ieee_inexact 0
		.amdhsa_exception_int_div_zero 0
	.end_amdhsa_kernel
	.section	.text._ZN2at6native12_GLOBAL__N_128layer_norm_grad_input_kernelIddLb0EEEvPKT_S5_PKT0_S8_S5_PS3_i,"axG",@progbits,_ZN2at6native12_GLOBAL__N_128layer_norm_grad_input_kernelIddLb0EEEvPKT_S5_PKT0_S8_S5_PS3_i,comdat
.Lfunc_end25:
	.size	_ZN2at6native12_GLOBAL__N_128layer_norm_grad_input_kernelIddLb0EEEvPKT_S5_PKT0_S8_S5_PS3_i, .Lfunc_end25-_ZN2at6native12_GLOBAL__N_128layer_norm_grad_input_kernelIddLb0EEEvPKT_S5_PKT0_S8_S5_PS3_i
                                        ; -- End function
	.section	.AMDGPU.csdata,"",@progbits
; Kernel info:
; codeLenInByte = 2304
; NumSgprs: 43
; NumVgprs: 36
; NumAgprs: 0
; TotalNumVgprs: 36
; ScratchSize: 0
; MemoryBound: 0
; FloatMode: 240
; IeeeMode: 1
; LDSByteSize: 0 bytes/workgroup (compile time only)
; SGPRBlocks: 5
; VGPRBlocks: 4
; NumSGPRsForWavesPerEU: 43
; NumVGPRsForWavesPerEU: 36
; AccumOffset: 36
; Occupancy: 8
; WaveLimiterHint : 0
; COMPUTE_PGM_RSRC2:SCRATCH_EN: 0
; COMPUTE_PGM_RSRC2:USER_SGPR: 2
; COMPUTE_PGM_RSRC2:TRAP_HANDLER: 0
; COMPUTE_PGM_RSRC2:TGID_X_EN: 1
; COMPUTE_PGM_RSRC2:TGID_Y_EN: 0
; COMPUTE_PGM_RSRC2:TGID_Z_EN: 0
; COMPUTE_PGM_RSRC2:TIDIG_COMP_CNT: 0
; COMPUTE_PGM_RSRC3_GFX90A:ACCUM_OFFSET: 8
; COMPUTE_PGM_RSRC3_GFX90A:TG_SPLIT: 0
	.section	.text._ZN2at6native12_GLOBAL__N_133GammaBetaBackwardSimpleCUDAKernelIddLb0EEEvllPKT_S5_PKT0_S8_PS3_S9_,"axG",@progbits,_ZN2at6native12_GLOBAL__N_133GammaBetaBackwardSimpleCUDAKernelIddLb0EEEvllPKT_S5_PKT0_S8_PS3_S9_,comdat
	.globl	_ZN2at6native12_GLOBAL__N_133GammaBetaBackwardSimpleCUDAKernelIddLb0EEEvllPKT_S5_PKT0_S8_PS3_S9_ ; -- Begin function _ZN2at6native12_GLOBAL__N_133GammaBetaBackwardSimpleCUDAKernelIddLb0EEEvllPKT_S5_PKT0_S8_PS3_S9_
	.p2align	8
	.type	_ZN2at6native12_GLOBAL__N_133GammaBetaBackwardSimpleCUDAKernelIddLb0EEEvllPKT_S5_PKT0_S8_PS3_S9_,@function
_ZN2at6native12_GLOBAL__N_133GammaBetaBackwardSimpleCUDAKernelIddLb0EEEvllPKT_S5_PKT0_S8_PS3_S9_: ; @_ZN2at6native12_GLOBAL__N_133GammaBetaBackwardSimpleCUDAKernelIddLb0EEEvllPKT_S5_PKT0_S8_PS3_S9_
; %bb.0:
	s_load_dword s3, s[0:1], 0x4c
	s_load_dwordx16 s[4:19], s[0:1], 0x0
	v_mov_b32_e32 v1, 0
	v_mov_b32_e32 v2, s2
	s_waitcnt lgkmcnt(0)
	s_and_b32 s0, s3, 0xffff
	v_mad_u64_u32 v[0:1], s[0:1], s0, v2, v[0:1]
	v_cmp_gt_i64_e32 vcc, s[6:7], v[0:1]
	s_and_saveexec_b64 s[0:1], vcc
	s_cbranch_execz .LBB26_12
; %bb.1:
	v_cmp_lt_i64_e64 s[0:1], s[4:5], 1
	v_mov_b64_e32 v[4:5], 0
	s_and_b64 vcc, exec, s[0:1]
	v_mov_b64_e32 v[2:3], v[4:5]
	s_cbranch_vccnz .LBB26_8
; %bb.2:
	s_cmp_lg_u64 s[16:17], 0
	s_cselect_b64 s[0:1], -1, 0
	s_cmp_lg_u64 s[18:19], 0
	s_cselect_b64 s[2:3], -1, 0
	v_cndmask_b32_e64 v2, 0, 1, s[0:1]
	v_mov_b64_e32 v[8:9], 0
	v_cmp_ne_u32_e64 s[0:1], 1, v2
	v_cndmask_b32_e64 v2, 0, 1, s[2:3]
	v_lshlrev_b64 v[6:7], 3, v[0:1]
	s_lshl_b64 s[6:7], s[6:7], 3
	v_cmp_ne_u32_e64 s[2:3], 1, v2
	v_mov_b64_e32 v[4:5], v[8:9]
	v_mov_b64_e32 v[2:3], v[8:9]
	s_branch .LBB26_4
.LBB26_3:                               ;   in Loop: Header=BB26_4 Depth=1
	s_add_u32 s4, s4, -1
	s_addc_u32 s5, s5, -1
	s_add_u32 s14, s14, 8
	s_addc_u32 s15, s15, 0
	s_add_u32 s12, s12, 8
	s_addc_u32 s13, s13, 0
	v_add_f64 v[4:5], v[4:5], v[12:13]
	s_waitcnt vmcnt(0)
	v_add_f64 v[2:3], v[2:3], v[14:15]
	s_cmp_eq_u64 s[4:5], 0
	v_lshl_add_u64 v[6:7], v[6:7], 0, s[6:7]
	s_cbranch_scc1 .LBB26_8
.LBB26_4:                               ; =>This Inner Loop Header: Depth=1
	s_and_b64 vcc, exec, s[0:1]
	v_lshl_add_u64 v[10:11], s[8:9], 0, v[6:7]
	v_mov_b64_e32 v[12:13], v[8:9]
	s_cbranch_vccnz .LBB26_6
; %bb.5:                                ;   in Loop: Header=BB26_4 Depth=1
	v_lshl_add_u64 v[12:13], s[10:11], 0, v[6:7]
	global_load_dwordx2 v[14:15], v[12:13], off
	global_load_dwordx2 v[16:17], v[10:11], off
	s_load_dwordx2 s[20:21], s[12:13], 0x0
	s_load_dwordx2 s[22:23], s[14:15], 0x0
	s_waitcnt vmcnt(1) lgkmcnt(0)
	v_add_f64 v[12:13], v[14:15], -s[20:21]
	s_waitcnt vmcnt(0)
	v_mul_f64 v[12:13], v[16:17], v[12:13]
	v_mul_f64 v[12:13], s[22:23], v[12:13]
.LBB26_6:                               ;   in Loop: Header=BB26_4 Depth=1
	s_and_b64 vcc, exec, s[2:3]
	v_mov_b64_e32 v[14:15], v[8:9]
	s_cbranch_vccnz .LBB26_3
; %bb.7:                                ;   in Loop: Header=BB26_4 Depth=1
	global_load_dwordx2 v[14:15], v[10:11], off
	s_branch .LBB26_3
.LBB26_8:
	s_cmp_lg_u64 s[16:17], 0
	s_cbranch_scc0 .LBB26_10
; %bb.9:
	v_lshl_add_u64 v[6:7], v[0:1], 3, s[16:17]
	global_store_dwordx2 v[6:7], v[4:5], off
.LBB26_10:
	s_cmp_eq_u64 s[18:19], 0
	s_cbranch_scc1 .LBB26_12
; %bb.11:
	v_lshl_add_u64 v[0:1], v[0:1], 3, s[18:19]
	global_store_dwordx2 v[0:1], v[2:3], off
.LBB26_12:
	s_endpgm
	.section	.rodata,"a",@progbits
	.p2align	6, 0x0
	.amdhsa_kernel _ZN2at6native12_GLOBAL__N_133GammaBetaBackwardSimpleCUDAKernelIddLb0EEEvllPKT_S5_PKT0_S8_PS3_S9_
		.amdhsa_group_segment_fixed_size 0
		.amdhsa_private_segment_fixed_size 0
		.amdhsa_kernarg_size 320
		.amdhsa_user_sgpr_count 2
		.amdhsa_user_sgpr_dispatch_ptr 0
		.amdhsa_user_sgpr_queue_ptr 0
		.amdhsa_user_sgpr_kernarg_segment_ptr 1
		.amdhsa_user_sgpr_dispatch_id 0
		.amdhsa_user_sgpr_kernarg_preload_length 0
		.amdhsa_user_sgpr_kernarg_preload_offset 0
		.amdhsa_user_sgpr_private_segment_size 0
		.amdhsa_uses_dynamic_stack 0
		.amdhsa_enable_private_segment 0
		.amdhsa_system_sgpr_workgroup_id_x 1
		.amdhsa_system_sgpr_workgroup_id_y 0
		.amdhsa_system_sgpr_workgroup_id_z 0
		.amdhsa_system_sgpr_workgroup_info 0
		.amdhsa_system_vgpr_workitem_id 0
		.amdhsa_next_free_vgpr 18
		.amdhsa_next_free_sgpr 24
		.amdhsa_accum_offset 20
		.amdhsa_reserve_vcc 1
		.amdhsa_float_round_mode_32 0
		.amdhsa_float_round_mode_16_64 0
		.amdhsa_float_denorm_mode_32 3
		.amdhsa_float_denorm_mode_16_64 3
		.amdhsa_dx10_clamp 1
		.amdhsa_ieee_mode 1
		.amdhsa_fp16_overflow 0
		.amdhsa_tg_split 0
		.amdhsa_exception_fp_ieee_invalid_op 0
		.amdhsa_exception_fp_denorm_src 0
		.amdhsa_exception_fp_ieee_div_zero 0
		.amdhsa_exception_fp_ieee_overflow 0
		.amdhsa_exception_fp_ieee_underflow 0
		.amdhsa_exception_fp_ieee_inexact 0
		.amdhsa_exception_int_div_zero 0
	.end_amdhsa_kernel
	.section	.text._ZN2at6native12_GLOBAL__N_133GammaBetaBackwardSimpleCUDAKernelIddLb0EEEvllPKT_S5_PKT0_S8_PS3_S9_,"axG",@progbits,_ZN2at6native12_GLOBAL__N_133GammaBetaBackwardSimpleCUDAKernelIddLb0EEEvllPKT_S5_PKT0_S8_PS3_S9_,comdat
.Lfunc_end26:
	.size	_ZN2at6native12_GLOBAL__N_133GammaBetaBackwardSimpleCUDAKernelIddLb0EEEvllPKT_S5_PKT0_S8_PS3_S9_, .Lfunc_end26-_ZN2at6native12_GLOBAL__N_133GammaBetaBackwardSimpleCUDAKernelIddLb0EEEvllPKT_S5_PKT0_S8_PS3_S9_
                                        ; -- End function
	.section	.AMDGPU.csdata,"",@progbits
; Kernel info:
; codeLenInByte = 384
; NumSgprs: 30
; NumVgprs: 18
; NumAgprs: 0
; TotalNumVgprs: 18
; ScratchSize: 0
; MemoryBound: 1
; FloatMode: 240
; IeeeMode: 1
; LDSByteSize: 0 bytes/workgroup (compile time only)
; SGPRBlocks: 3
; VGPRBlocks: 2
; NumSGPRsForWavesPerEU: 30
; NumVGPRsForWavesPerEU: 18
; AccumOffset: 20
; Occupancy: 8
; WaveLimiterHint : 0
; COMPUTE_PGM_RSRC2:SCRATCH_EN: 0
; COMPUTE_PGM_RSRC2:USER_SGPR: 2
; COMPUTE_PGM_RSRC2:TRAP_HANDLER: 0
; COMPUTE_PGM_RSRC2:TGID_X_EN: 1
; COMPUTE_PGM_RSRC2:TGID_Y_EN: 0
; COMPUTE_PGM_RSRC2:TGID_Z_EN: 0
; COMPUTE_PGM_RSRC2:TIDIG_COMP_CNT: 0
; COMPUTE_PGM_RSRC3_GFX90A:ACCUM_OFFSET: 4
; COMPUTE_PGM_RSRC3_GFX90A:TG_SPLIT: 0
	.section	.text._ZN2at6native12_GLOBAL__N_135GammaBetaBackwardCUDAKernelTemplateIddLj64ELj1ELj32ELb1ELb1ELb0EEEvllPKT_S5_PKT0_S8_PS3_S9_,"axG",@progbits,_ZN2at6native12_GLOBAL__N_135GammaBetaBackwardCUDAKernelTemplateIddLj64ELj1ELj32ELb1ELb1ELb0EEEvllPKT_S5_PKT0_S8_PS3_S9_,comdat
	.globl	_ZN2at6native12_GLOBAL__N_135GammaBetaBackwardCUDAKernelTemplateIddLj64ELj1ELj32ELb1ELb1ELb0EEEvllPKT_S5_PKT0_S8_PS3_S9_ ; -- Begin function _ZN2at6native12_GLOBAL__N_135GammaBetaBackwardCUDAKernelTemplateIddLj64ELj1ELj32ELb1ELb1ELb0EEEvllPKT_S5_PKT0_S8_PS3_S9_
	.p2align	8
	.type	_ZN2at6native12_GLOBAL__N_135GammaBetaBackwardCUDAKernelTemplateIddLj64ELj1ELj32ELb1ELb1ELb0EEEvllPKT_S5_PKT0_S8_PS3_S9_,@function
_ZN2at6native12_GLOBAL__N_135GammaBetaBackwardCUDAKernelTemplateIddLj64ELj1ELj32ELb1ELb1ELb0EEEvllPKT_S5_PKT0_S8_PS3_S9_: ; @_ZN2at6native12_GLOBAL__N_135GammaBetaBackwardCUDAKernelTemplateIddLj64ELj1ELj32ELb1ELb1ELb0EEEvllPKT_S5_PKT0_S8_PS3_S9_
; %bb.0:
	s_load_dwordx4 s[16:19], s[0:1], 0x0
	s_lshl_b32 s6, s3, 5
	s_mov_b32 s7, 0
	s_mov_b32 s4, s3
	v_bfe_u32 v1, v0, 10, 10
	s_waitcnt lgkmcnt(0)
	v_mov_b64_e32 v[2:3], s[16:17]
	v_cmp_lt_i64_e32 vcc, s[6:7], v[2:3]
	s_cbranch_vccnz .LBB27_2
; %bb.1:
	s_add_u32 s24, s0, 64
	s_addc_u32 s25, s1, 0
	s_mov_b64 s[8:9], 0
	s_mov_b64 s[10:11], 0
	v_bfe_u32 v4, v0, 10, 10
	s_branch .LBB27_3
.LBB27_2:
	s_mov_b64 s[8:9], -1
                                        ; implicit-def: $sgpr10_sgpr11
                                        ; implicit-def: $sgpr24_sgpr25
                                        ; implicit-def: $vgpr4
.LBB27_3:
	s_load_dwordx4 s[20:23], s[0:1], 0x30
	v_and_b32_e32 v0, 0x3ff, v0
	s_andn2_b64 vcc, exec, s[8:9]
	v_mov_b64_e32 v[16:17], s[10:11]
	v_mov_b64_e32 v[2:3], s[10:11]
	s_cbranch_vccnz .LBB27_11
; %bb.4:
	s_load_dword s3, s[0:1], 0x4c
	s_load_dword s5, s[0:1], 0x44
	s_load_dwordx8 s[8:15], s[0:1], 0x10
	s_add_u32 s24, s0, 64
	s_addc_u32 s25, s1, 0
	s_waitcnt lgkmcnt(0)
	s_and_b32 s0, s3, 0xffff
	v_mad_u32_u24 v2, v1, s0, v0
	v_lshlrev_b32_e32 v4, 5, v1
	v_mov_b32_e32 v5, 0
	v_mbcnt_lo_u32_b32 v6, -1, 0
	v_and_b32_e32 v2, 63, v2
	v_mov_b32_e32 v3, v5
	v_mbcnt_hi_u32_b32 v6, -1, v6
	s_lshl_b32 s26, s5, 5
	v_lshl_add_u64 v[10:11], v[4:5], 0, s[6:7]
	v_cmp_gt_u32_e64 s[0:1], 32, v2
	v_lshl_add_u32 v8, s2, 6, v0
	v_mov_b32_e32 v9, v5
	v_lshlrev_b32_e32 v6, 2, v6
	v_lshl_add_u64 v[4:5], v[10:11], 0, v[2:3]
	v_mul_lo_u32 v12, s19, v10
	v_mul_lo_u32 v11, s18, v11
	v_mad_u64_u32 v[2:3], s[30:31], s18, v10, 0
	s_mul_i32 s3, s19, s26
	s_mul_hi_u32 s5, s18, s26
	s_mov_b32 s27, 0
	v_and_b32_e32 v70, 0x100, v6
	v_add3_u32 v3, v3, v11, v12
	v_lshlrev_b64 v[8:9], 3, v[8:9]
	s_add_i32 s31, s5, s3
	s_mul_i32 s30, s18, s26
	v_mov_b64_e32 v[10:11], 0
	v_or_b32_e32 v71, 4, v70
	v_or_b32_e32 v72, 8, v70
	;; [unrolled: 1-line block ×31, first 2 shown]
	v_lshlrev_b64 v[6:7], 3, v[4:5]
	s_lshl_b64 s[28:29], s[26:27], 3
	v_lshl_add_u64 v[8:9], v[2:3], 3, v[8:9]
	s_lshl_b64 s[30:31], s[30:31], 3
	s_lshl_b64 s[34:35], s[18:19], 3
	v_mov_b64_e32 v[2:3], v[10:11]
	v_mov_b64_e32 v[16:17], v[10:11]
	s_branch .LBB27_7
.LBB27_5:                               ;   in Loop: Header=BB27_7 Depth=1
	s_or_b64 exec, exec, s[38:39]
.LBB27_6:                               ;   in Loop: Header=BB27_7 Depth=1
	s_or_b64 exec, exec, s[36:37]
	v_lshl_add_u64 v[20:21], s[10:11], 0, v[8:9]
	global_load_dwordx2 v[36:37], v[20:21], off
	v_lshl_add_u64 v[22:23], s[8:9], 0, v[8:9]
	global_load_dwordx2 v[18:19], v[22:23], off
	;; [unrolled: 2-line block ×11, first 2 shown]
	v_lshl_add_u64 v[32:33], v[28:29], 0, s[34:35]
	v_lshl_add_u64 v[30:31], v[30:31], 0, s[34:35]
	global_load_dwordx2 v[46:47], v[32:33], off
	global_load_dwordx2 v[28:29], v[30:31], off
	v_lshl_add_u64 v[48:49], v[30:31], 0, s[34:35]
	global_load_dwordx2 v[30:31], v[48:49], off
	v_lshl_add_u64 v[50:51], v[32:33], 0, s[34:35]
	;; [unrolled: 2-line block ×3, first 2 shown]
	global_load_dwordx2 v[32:33], v[48:49], off
	s_waitcnt vmcnt(17)
	ds_bpermute_b32 v54, v70, v14
	ds_bpermute_b32 v55, v70, v15
	v_lshl_add_u64 v[48:49], v[48:49], 0, s[34:35]
	s_waitcnt vmcnt(16)
	ds_bpermute_b32 v56, v76, v12
	ds_bpermute_b32 v57, v76, v13
	ds_bpermute_b32 v58, v86, v12
	ds_bpermute_b32 v59, v86, v13
	ds_bpermute_b32 v60, v87, v12
	ds_bpermute_b32 v61, v87, v13
	ds_bpermute_b32 v62, v88, v12
	ds_bpermute_b32 v63, v88, v13
	ds_bpermute_b32 v64, v89, v12
	ds_bpermute_b32 v65, v89, v13
	ds_bpermute_b32 v66, v90, v12
	ds_bpermute_b32 v67, v90, v13
	ds_bpermute_b32 v68, v91, v12
	ds_bpermute_b32 v69, v91, v13
	ds_bpermute_b32 v102, v92, v12
	ds_bpermute_b32 v103, v92, v13
	ds_bpermute_b32 v104, v93, v12
	ds_bpermute_b32 v105, v93, v13
	ds_bpermute_b32 v106, v94, v12
	ds_bpermute_b32 v107, v94, v13
	ds_bpermute_b32 v108, v95, v12
	ds_bpermute_b32 v109, v95, v13
	s_add_u32 s6, s6, s26
	s_addc_u32 s7, s7, 0
	v_lshl_add_u64 v[6:7], v[6:7], 0, s[28:29]
	v_lshl_add_u64 v[4:5], v[4:5], 0, s[26:27]
	;; [unrolled: 1-line block ×3, first 2 shown]
	s_waitcnt vmcnt(15) lgkmcnt(14)
	v_add_f64 v[36:37], v[36:37], -v[54:55]
	ds_bpermute_b32 v54, v70, v12
	ds_bpermute_b32 v55, v70, v13
	s_waitcnt vmcnt(14)
	v_mul_f64 v[36:37], v[18:19], v[36:37]
	v_add_f64 v[16:17], v[16:17], v[18:19]
	s_waitcnt vmcnt(12)
	v_add_f64 v[16:17], v[16:17], v[20:21]
	s_waitcnt lgkmcnt(0)
	v_fmac_f64_e32 v[2:3], v[36:37], v[54:55]
	ds_bpermute_b32 v36, v71, v14
	ds_bpermute_b32 v37, v71, v15
	;; [unrolled: 1-line block ×4, first 2 shown]
	s_waitcnt vmcnt(10)
	v_add_f64 v[16:17], v[16:17], v[22:23]
	s_waitcnt lgkmcnt(2)
	v_add_f64 v[34:35], v[34:35], -v[36:37]
	ds_bpermute_b32 v36, v72, v14
	ds_bpermute_b32 v37, v72, v15
	v_mul_f64 v[34:35], v[20:21], v[34:35]
	s_waitcnt lgkmcnt(2)
	v_fmac_f64_e32 v[2:3], v[34:35], v[54:55]
	ds_bpermute_b32 v34, v72, v12
	ds_bpermute_b32 v35, v72, v13
	;; [unrolled: 1-line block ×4, first 2 shown]
	s_waitcnt lgkmcnt(4)
	v_add_f64 v[36:37], v[38:39], -v[36:37]
	v_mul_f64 v[36:37], v[22:23], v[36:37]
	ds_bpermute_b32 v38, v73, v12
	ds_bpermute_b32 v39, v73, v13
	s_waitcnt lgkmcnt(4)
	v_fmac_f64_e32 v[2:3], v[36:37], v[34:35]
	ds_bpermute_b32 v34, v74, v14
	ds_bpermute_b32 v35, v74, v15
	ds_bpermute_b32 v36, v74, v12
	ds_bpermute_b32 v37, v74, v13
	s_waitcnt vmcnt(9) lgkmcnt(6)
	v_add_f64 v[40:41], v[40:41], -v[54:55]
	s_waitcnt vmcnt(8)
	v_mul_f64 v[40:41], v[24:25], v[40:41]
	s_waitcnt lgkmcnt(4)
	v_fmac_f64_e32 v[2:3], v[40:41], v[38:39]
	v_lshl_add_u64 v[40:41], v[50:51], 0, s[34:35]
	s_waitcnt vmcnt(7) lgkmcnt(2)
	v_add_f64 v[34:35], v[42:43], -v[34:35]
	global_load_dwordx2 v[50:51], v[40:41], off
	s_waitcnt vmcnt(7)
	v_mul_f64 v[34:35], v[26:27], v[34:35]
	s_waitcnt lgkmcnt(0)
	v_fmac_f64_e32 v[2:3], v[34:35], v[36:37]
	global_load_dwordx2 v[34:35], v[48:49], off
	ds_bpermute_b32 v54, v75, v14
	ds_bpermute_b32 v55, v75, v15
	;; [unrolled: 1-line block ×6, first 2 shown]
	v_lshl_add_u64 v[40:41], v[40:41], 0, s[34:35]
	v_lshl_add_u64 v[48:49], v[48:49], 0, s[34:35]
	s_waitcnt vmcnt(7) lgkmcnt(4)
	v_add_f64 v[44:45], v[44:45], -v[54:55]
	global_load_dwordx2 v[54:55], v[40:41], off
	global_load_dwordx2 v[36:37], v[48:49], off
	s_waitcnt vmcnt(8) lgkmcnt(2)
	v_add_f64 v[42:43], v[46:47], -v[42:43]
	v_lshl_add_u64 v[40:41], v[40:41], 0, s[34:35]
	s_waitcnt vmcnt(7)
	v_mul_f64 v[44:45], v[28:29], v[44:45]
	s_waitcnt lgkmcnt(0)
	v_fmac_f64_e32 v[2:3], v[44:45], v[38:39]
	s_waitcnt vmcnt(6)
	v_mul_f64 v[38:39], v[30:31], v[42:43]
	global_load_dwordx2 v[42:43], v[40:41], off
	v_lshl_add_u64 v[46:47], v[48:49], 0, s[34:35]
	v_fmac_f64_e32 v[2:3], v[38:39], v[56:57]
	global_load_dwordx2 v[38:39], v[46:47], off
	ds_bpermute_b32 v44, v77, v14
	ds_bpermute_b32 v45, v77, v15
	ds_bpermute_b32 v48, v77, v12
	ds_bpermute_b32 v49, v77, v13
	v_add_f64 v[16:17], v[16:17], v[24:25]
	v_add_f64 v[16:17], v[16:17], v[26:27]
	s_waitcnt vmcnt(7) lgkmcnt(2)
	v_add_f64 v[44:45], v[52:53], -v[44:45]
	v_lshl_add_u64 v[52:53], v[40:41], 0, s[34:35]
	global_load_dwordx2 v[56:57], v[52:53], off
	s_waitcnt vmcnt(7)
	v_mul_f64 v[40:41], v[32:33], v[44:45]
	v_lshl_add_u64 v[44:45], v[46:47], 0, s[34:35]
	s_waitcnt lgkmcnt(0)
	v_fmac_f64_e32 v[2:3], v[40:41], v[48:49]
	global_load_dwordx2 v[40:41], v[44:45], off
	ds_bpermute_b32 v46, v78, v14
	ds_bpermute_b32 v47, v78, v15
	;; [unrolled: 1-line block ×4, first 2 shown]
	v_lshl_add_u64 v[44:45], v[44:45], 0, s[34:35]
	v_add_f64 v[16:17], v[16:17], v[28:29]
	v_add_f64 v[16:17], v[16:17], v[30:31]
	;; [unrolled: 1-line block ×3, first 2 shown]
	s_waitcnt vmcnt(7) lgkmcnt(2)
	v_add_f64 v[46:47], v[50:51], -v[46:47]
	ds_bpermute_b32 v50, v80, v14
	ds_bpermute_b32 v51, v80, v15
	s_waitcnt vmcnt(6)
	v_mul_f64 v[46:47], v[34:35], v[46:47]
	s_waitcnt lgkmcnt(2)
	v_fmac_f64_e32 v[2:3], v[46:47], v[48:49]
	ds_bpermute_b32 v46, v79, v14
	ds_bpermute_b32 v47, v79, v15
	;; [unrolled: 1-line block ×4, first 2 shown]
	v_add_f64 v[16:17], v[16:17], v[34:35]
	s_waitcnt vmcnt(5) lgkmcnt(2)
	v_add_f64 v[46:47], v[54:55], -v[46:47]
	s_waitcnt vmcnt(4)
	v_mul_f64 v[46:47], v[36:37], v[46:47]
	s_waitcnt lgkmcnt(0)
	v_fmac_f64_e32 v[2:3], v[46:47], v[48:49]
	ds_bpermute_b32 v46, v80, v12
	ds_bpermute_b32 v47, v80, v13
	v_lshl_add_u64 v[48:49], v[52:53], 0, s[34:35]
	ds_bpermute_b32 v52, v81, v12
	s_waitcnt vmcnt(3)
	v_add_f64 v[42:43], v[42:43], -v[50:51]
	global_load_dwordx2 v[50:51], v[48:49], off
	ds_bpermute_b32 v53, v81, v13
	s_waitcnt vmcnt(3)
	v_mul_f64 v[42:43], v[38:39], v[42:43]
	s_waitcnt lgkmcnt(2)
	v_fmac_f64_e32 v[2:3], v[42:43], v[46:47]
	global_load_dwordx2 v[42:43], v[44:45], off
	ds_bpermute_b32 v46, v81, v14
	ds_bpermute_b32 v47, v81, v15
	v_lshl_add_u64 v[48:49], v[48:49], 0, s[34:35]
	global_load_dwordx2 v[54:55], v[48:49], off
	v_lshl_add_u64 v[44:45], v[44:45], 0, s[34:35]
	v_lshl_add_u64 v[48:49], v[48:49], 0, s[34:35]
	s_waitcnt vmcnt(4) lgkmcnt(0)
	v_add_f64 v[46:47], v[56:57], -v[46:47]
	ds_bpermute_b32 v56, v85, v12
	ds_bpermute_b32 v57, v85, v13
	v_add_f64 v[16:17], v[16:17], v[36:37]
	s_waitcnt vmcnt(3)
	v_mul_f64 v[46:47], v[40:41], v[46:47]
	v_fmac_f64_e32 v[2:3], v[46:47], v[52:53]
	global_load_dwordx2 v[46:47], v[44:45], off
	ds_bpermute_b32 v52, v82, v14
	ds_bpermute_b32 v53, v82, v15
	v_lshl_add_u64 v[44:45], v[44:45], 0, s[34:35]
	v_add_f64 v[16:17], v[16:17], v[38:39]
	v_add_f64 v[16:17], v[16:17], v[40:41]
	s_waitcnt vmcnt(3) lgkmcnt(0)
	v_add_f64 v[50:51], v[50:51], -v[52:53]
	ds_bpermute_b32 v52, v82, v12
	ds_bpermute_b32 v53, v82, v13
	s_waitcnt vmcnt(2)
	v_mul_f64 v[50:51], v[42:43], v[50:51]
	v_add_f64 v[16:17], v[16:17], v[42:43]
	s_waitcnt lgkmcnt(0)
	v_fmac_f64_e32 v[2:3], v[50:51], v[52:53]
	ds_bpermute_b32 v50, v83, v14
	ds_bpermute_b32 v51, v83, v15
	;; [unrolled: 1-line block ×4, first 2 shown]
	s_waitcnt vmcnt(1) lgkmcnt(2)
	v_add_f64 v[50:51], v[54:55], -v[50:51]
	global_load_dwordx2 v[54:55], v[48:49], off
	v_lshl_add_u64 v[48:49], v[48:49], 0, s[34:35]
	s_waitcnt vmcnt(1)
	v_mul_f64 v[50:51], v[46:47], v[50:51]
	s_waitcnt lgkmcnt(0)
	v_fmac_f64_e32 v[2:3], v[50:51], v[52:53]
	global_load_dwordx2 v[50:51], v[44:45], off
	ds_bpermute_b32 v52, v84, v14
	ds_bpermute_b32 v53, v84, v15
	v_add_f64 v[16:17], v[16:17], v[46:47]
	s_waitcnt vmcnt(1) lgkmcnt(0)
	v_add_f64 v[52:53], v[54:55], -v[52:53]
	ds_bpermute_b32 v54, v84, v12
	ds_bpermute_b32 v55, v84, v13
	s_waitcnt vmcnt(0)
	v_mul_f64 v[52:53], v[50:51], v[52:53]
	v_add_f64 v[16:17], v[16:17], v[50:51]
	s_waitcnt lgkmcnt(0)
	v_fmac_f64_e32 v[2:3], v[52:53], v[54:55]
	global_load_dwordx2 v[52:53], v[48:49], off
	ds_bpermute_b32 v54, v85, v14
	ds_bpermute_b32 v55, v85, v15
	s_waitcnt vmcnt(0) lgkmcnt(0)
	v_add_f64 v[52:53], v[52:53], -v[54:55]
	v_lshl_add_u64 v[54:55], v[44:45], 0, s[34:35]
	global_load_dwordx2 v[44:45], v[54:55], off
	v_lshl_add_u64 v[54:55], v[54:55], 0, s[34:35]
	s_waitcnt vmcnt(0)
	v_mul_f64 v[52:53], v[44:45], v[52:53]
	v_fmac_f64_e32 v[2:3], v[52:53], v[56:57]
	v_lshl_add_u64 v[52:53], v[48:49], 0, s[34:35]
	global_load_dwordx2 v[56:57], v[52:53], off
	ds_bpermute_b32 v48, v86, v14
	ds_bpermute_b32 v49, v86, v15
	v_add_f64 v[16:17], v[16:17], v[44:45]
	s_waitcnt vmcnt(0) lgkmcnt(0)
	v_add_f64 v[56:57], v[56:57], -v[48:49]
	global_load_dwordx2 v[48:49], v[54:55], off
	v_lshl_add_u64 v[54:55], v[54:55], 0, s[34:35]
	s_waitcnt vmcnt(0)
	v_mul_f64 v[56:57], v[48:49], v[56:57]
	v_fmac_f64_e32 v[2:3], v[56:57], v[58:59]
	v_lshl_add_u64 v[56:57], v[52:53], 0, s[34:35]
	global_load_dwordx2 v[58:59], v[56:57], off
	ds_bpermute_b32 v52, v87, v14
	ds_bpermute_b32 v53, v87, v15
	v_lshl_add_u64 v[56:57], v[56:57], 0, s[34:35]
	v_add_f64 v[16:17], v[16:17], v[48:49]
	s_waitcnt vmcnt(0) lgkmcnt(0)
	v_add_f64 v[58:59], v[58:59], -v[52:53]
	global_load_dwordx2 v[52:53], v[54:55], off
	s_waitcnt vmcnt(0)
	v_mul_f64 v[58:59], v[52:53], v[58:59]
	v_fmac_f64_e32 v[2:3], v[58:59], v[60:61]
	global_load_dwordx2 v[60:61], v[56:57], off
	ds_bpermute_b32 v58, v88, v14
	ds_bpermute_b32 v59, v88, v15
	v_add_f64 v[16:17], v[16:17], v[52:53]
	s_waitcnt vmcnt(0) lgkmcnt(0)
	v_add_f64 v[58:59], v[60:61], -v[58:59]
	v_lshl_add_u64 v[60:61], v[54:55], 0, s[34:35]
	global_load_dwordx2 v[54:55], v[60:61], off
	v_lshl_add_u64 v[60:61], v[60:61], 0, s[34:35]
	s_waitcnt vmcnt(0)
	v_mul_f64 v[58:59], v[54:55], v[58:59]
	v_fmac_f64_e32 v[2:3], v[58:59], v[62:63]
	v_lshl_add_u64 v[58:59], v[56:57], 0, s[34:35]
	global_load_dwordx2 v[62:63], v[58:59], off
	ds_bpermute_b32 v56, v89, v14
	ds_bpermute_b32 v57, v89, v15
	v_add_f64 v[16:17], v[16:17], v[54:55]
	s_waitcnt vmcnt(0) lgkmcnt(0)
	v_add_f64 v[62:63], v[62:63], -v[56:57]
	global_load_dwordx2 v[56:57], v[60:61], off
	v_lshl_add_u64 v[60:61], v[60:61], 0, s[34:35]
	s_waitcnt vmcnt(0)
	v_mul_f64 v[62:63], v[56:57], v[62:63]
	v_fmac_f64_e32 v[2:3], v[62:63], v[64:65]
	v_lshl_add_u64 v[62:63], v[58:59], 0, s[34:35]
	global_load_dwordx2 v[64:65], v[62:63], off
	ds_bpermute_b32 v58, v90, v14
	ds_bpermute_b32 v59, v90, v15
	v_lshl_add_u64 v[62:63], v[62:63], 0, s[34:35]
	v_add_f64 v[16:17], v[16:17], v[56:57]
	s_waitcnt vmcnt(0) lgkmcnt(0)
	v_add_f64 v[64:65], v[64:65], -v[58:59]
	global_load_dwordx2 v[58:59], v[60:61], off
	s_waitcnt vmcnt(0)
	v_mul_f64 v[64:65], v[58:59], v[64:65]
	v_fmac_f64_e32 v[2:3], v[64:65], v[66:67]
	global_load_dwordx2 v[66:67], v[62:63], off
	ds_bpermute_b32 v64, v91, v14
	ds_bpermute_b32 v65, v91, v15
	v_add_f64 v[16:17], v[16:17], v[58:59]
	;; [unrolled: 36-line block ×3, first 2 shown]
	s_waitcnt vmcnt(0) lgkmcnt(0)
	v_add_f64 v[102:103], v[104:105], -v[102:103]
	v_lshl_add_u64 v[104:105], v[66:67], 0, s[34:35]
	global_load_dwordx2 v[66:67], v[104:105], off
	v_lshl_add_u64 v[104:105], v[104:105], 0, s[34:35]
	s_waitcnt vmcnt(0)
	v_mul_f64 v[102:103], v[66:67], v[102:103]
	v_fmac_f64_e32 v[2:3], v[102:103], v[106:107]
	v_lshl_add_u64 v[102:103], v[68:69], 0, s[34:35]
	global_load_dwordx2 v[106:107], v[102:103], off
	ds_bpermute_b32 v68, v95, v14
	ds_bpermute_b32 v69, v95, v15
	v_lshl_add_u64 v[102:103], v[102:103], 0, s[34:35]
	v_add_f64 v[16:17], v[16:17], v[66:67]
	s_waitcnt vmcnt(0) lgkmcnt(0)
	v_add_f64 v[106:107], v[106:107], -v[68:69]
	global_load_dwordx2 v[68:69], v[104:105], off
	v_lshl_add_u64 v[104:105], v[104:105], 0, s[34:35]
	global_load_dwordx2 v[110:111], v[104:105], off
	v_lshl_add_u64 v[104:105], v[104:105], 0, s[34:35]
	global_load_dwordx2 v[112:113], v[104:105], off
	v_lshl_add_u64 v[104:105], v[104:105], 0, s[34:35]
	global_load_dwordx2 v[114:115], v[104:105], off
	v_lshl_add_u64 v[104:105], v[104:105], 0, s[34:35]
	global_load_dwordx2 v[116:117], v[104:105], off
	v_lshl_add_u64 v[18:19], v[104:105], 0, s[34:35]
	s_waitcnt vmcnt(4)
	v_mul_f64 v[106:107], v[68:69], v[106:107]
	v_fmac_f64_e32 v[2:3], v[106:107], v[108:109]
	global_load_dwordx2 v[108:109], v[102:103], off
	ds_bpermute_b32 v106, v96, v14
	ds_bpermute_b32 v107, v96, v15
	v_lshl_add_u64 v[102:103], v[102:103], 0, s[34:35]
	v_add_f64 v[16:17], v[16:17], v[68:69]
	s_waitcnt vmcnt(4)
	v_add_f64 v[16:17], v[16:17], v[110:111]
	s_waitcnt vmcnt(3)
	;; [unrolled: 2-line block ×4, first 2 shown]
	v_add_f64 v[16:17], v[16:17], v[116:117]
	s_waitcnt vmcnt(0) lgkmcnt(0)
	v_add_f64 v[106:107], v[108:109], -v[106:107]
	ds_bpermute_b32 v108, v96, v12
	ds_bpermute_b32 v109, v96, v13
	v_mul_f64 v[106:107], v[110:111], v[106:107]
	s_waitcnt lgkmcnt(0)
	v_fmac_f64_e32 v[2:3], v[106:107], v[108:109]
	global_load_dwordx2 v[108:109], v[102:103], off
	ds_bpermute_b32 v106, v97, v14
	ds_bpermute_b32 v107, v97, v15
	v_lshl_add_u64 v[102:103], v[102:103], 0, s[34:35]
	s_waitcnt vmcnt(0) lgkmcnt(0)
	v_add_f64 v[106:107], v[108:109], -v[106:107]
	ds_bpermute_b32 v108, v97, v12
	ds_bpermute_b32 v109, v97, v13
	v_mul_f64 v[106:107], v[112:113], v[106:107]
	s_waitcnt lgkmcnt(0)
	v_fmac_f64_e32 v[2:3], v[106:107], v[108:109]
	global_load_dwordx2 v[108:109], v[102:103], off
	ds_bpermute_b32 v106, v98, v14
	ds_bpermute_b32 v107, v98, v15
	v_lshl_add_u64 v[102:103], v[102:103], 0, s[34:35]
	v_lshl_add_u64 v[20:21], v[102:103], 0, s[34:35]
	s_waitcnt vmcnt(0) lgkmcnt(0)
	v_add_f64 v[106:107], v[108:109], -v[106:107]
	ds_bpermute_b32 v108, v98, v12
	ds_bpermute_b32 v109, v98, v13
	v_mul_f64 v[106:107], v[114:115], v[106:107]
	s_waitcnt lgkmcnt(0)
	v_fmac_f64_e32 v[2:3], v[106:107], v[108:109]
	global_load_dwordx2 v[108:109], v[102:103], off
	global_load_dwordx2 v[22:23], v[20:21], off
	;; [unrolled: 1-line block ×3, first 2 shown]
	v_lshl_add_u64 v[20:21], v[20:21], 0, s[34:35]
	v_lshl_add_u64 v[18:19], v[18:19], 0, s[34:35]
	global_load_dwordx2 v[26:27], v[20:21], off
	global_load_dwordx2 v[28:29], v[18:19], off
	ds_bpermute_b32 v106, v99, v14
	ds_bpermute_b32 v107, v99, v15
	;; [unrolled: 1-line block ×8, first 2 shown]
	s_waitcnt vmcnt(3) lgkmcnt(4)
	v_add_f64 v[18:19], v[22:23], -v[18:19]
	v_add_f64 v[106:107], v[108:109], -v[106:107]
	ds_bpermute_b32 v108, v99, v12
	ds_bpermute_b32 v109, v99, v13
	;; [unrolled: 1-line block ×4, first 2 shown]
	v_mul_f64 v[106:107], v[116:117], v[106:107]
	s_waitcnt vmcnt(2)
	v_mul_f64 v[18:19], v[24:25], v[18:19]
	s_waitcnt lgkmcnt(2)
	v_fmac_f64_e32 v[2:3], v[106:107], v[108:109]
	s_waitcnt vmcnt(1)
	v_add_f64 v[14:15], v[26:27], -v[14:15]
	v_fmac_f64_e32 v[2:3], v[18:19], v[20:21]
	s_waitcnt vmcnt(0)
	v_mul_f64 v[14:15], v[28:29], v[14:15]
	s_waitcnt lgkmcnt(0)
	v_fmac_f64_e32 v[2:3], v[14:15], v[12:13]
	v_mov_b64_e32 v[12:13], s[16:17]
	v_add_f64 v[16:17], v[16:17], v[24:25]
	v_cmp_lt_i64_e32 vcc, s[6:7], v[12:13]
	v_add_f64 v[16:17], v[16:17], v[28:29]
	s_cbranch_vccz .LBB27_10
.LBB27_7:                               ; =>This Inner Loop Header: Depth=1
	v_mov_b64_e32 v[12:13], v[10:11]
	v_mov_b64_e32 v[14:15], v[10:11]
	s_and_saveexec_b64 s[36:37], s[0:1]
	s_cbranch_execz .LBB27_6
; %bb.8:                                ;   in Loop: Header=BB27_7 Depth=1
	v_mov_b64_e32 v[14:15], 0
	v_cmp_gt_i64_e32 vcc, s[16:17], v[4:5]
	v_mov_b64_e32 v[12:13], v[14:15]
	s_and_saveexec_b64 s[38:39], vcc
	s_cbranch_execz .LBB27_5
; %bb.9:                                ;   in Loop: Header=BB27_7 Depth=1
	v_lshl_add_u64 v[20:21], s[12:13], 0, v[6:7]
	v_lshl_add_u64 v[18:19], s[14:15], 0, v[6:7]
	global_load_dwordx2 v[14:15], v[20:21], off
	global_load_dwordx2 v[12:13], v[18:19], off
	s_branch .LBB27_5
.LBB27_10:
	v_mov_b32_e32 v4, v1
.LBB27_11:
	s_load_dword s5, s[24:25], 0xc
	s_mov_b32 s3, 0
	v_mov_b32_e32 v1, 0
	s_lshl_b64 s[0:1], s[2:3], 6
	v_lshl_add_u64 v[6:7], s[0:1], 0, v[0:1]
	s_waitcnt lgkmcnt(0)
	s_lshr_b32 s0, s5, 16
	v_mov_b32_e32 v5, v1
	v_mov_b32_e32 v0, s4
	v_mad_u64_u32 v[0:1], s[0:1], s0, v0, v[4:5]
	s_cmp_eq_u64 s[20:21], 0
	v_mul_lo_u32 v1, v1, s18
	v_mul_lo_u32 v4, v0, s19
	s_cbranch_scc1 .LBB27_13
; %bb.12:
	v_mad_u64_u32 v[8:9], s[0:1], v0, s18, 0
	v_add3_u32 v9, v9, v4, v1
	v_lshl_add_u64 v[8:9], v[8:9], 3, s[20:21]
	v_lshl_add_u64 v[8:9], v[6:7], 3, v[8:9]
	global_store_dwordx2 v[8:9], v[2:3], off
.LBB27_13:
	s_cmp_eq_u64 s[22:23], 0
	s_cbranch_scc1 .LBB27_15
; %bb.14:
	v_mad_u64_u32 v[2:3], s[0:1], v0, s18, 0
	v_add3_u32 v3, v3, v4, v1
	v_lshl_add_u64 v[0:1], v[2:3], 3, s[22:23]
	v_lshl_add_u64 v[0:1], v[6:7], 3, v[0:1]
	global_store_dwordx2 v[0:1], v[16:17], off
.LBB27_15:
	s_endpgm
	.section	.rodata,"a",@progbits
	.p2align	6, 0x0
	.amdhsa_kernel _ZN2at6native12_GLOBAL__N_135GammaBetaBackwardCUDAKernelTemplateIddLj64ELj1ELj32ELb1ELb1ELb0EEEvllPKT_S5_PKT0_S8_PS3_S9_
		.amdhsa_group_segment_fixed_size 0
		.amdhsa_private_segment_fixed_size 0
		.amdhsa_kernarg_size 320
		.amdhsa_user_sgpr_count 2
		.amdhsa_user_sgpr_dispatch_ptr 0
		.amdhsa_user_sgpr_queue_ptr 0
		.amdhsa_user_sgpr_kernarg_segment_ptr 1
		.amdhsa_user_sgpr_dispatch_id 0
		.amdhsa_user_sgpr_kernarg_preload_length 0
		.amdhsa_user_sgpr_kernarg_preload_offset 0
		.amdhsa_user_sgpr_private_segment_size 0
		.amdhsa_uses_dynamic_stack 0
		.amdhsa_enable_private_segment 0
		.amdhsa_system_sgpr_workgroup_id_x 1
		.amdhsa_system_sgpr_workgroup_id_y 1
		.amdhsa_system_sgpr_workgroup_id_z 0
		.amdhsa_system_sgpr_workgroup_info 0
		.amdhsa_system_vgpr_workitem_id 1
		.amdhsa_next_free_vgpr 118
		.amdhsa_next_free_sgpr 40
		.amdhsa_accum_offset 120
		.amdhsa_reserve_vcc 1
		.amdhsa_float_round_mode_32 0
		.amdhsa_float_round_mode_16_64 0
		.amdhsa_float_denorm_mode_32 3
		.amdhsa_float_denorm_mode_16_64 3
		.amdhsa_dx10_clamp 1
		.amdhsa_ieee_mode 1
		.amdhsa_fp16_overflow 0
		.amdhsa_tg_split 0
		.amdhsa_exception_fp_ieee_invalid_op 0
		.amdhsa_exception_fp_denorm_src 0
		.amdhsa_exception_fp_ieee_div_zero 0
		.amdhsa_exception_fp_ieee_overflow 0
		.amdhsa_exception_fp_ieee_underflow 0
		.amdhsa_exception_fp_ieee_inexact 0
		.amdhsa_exception_int_div_zero 0
	.end_amdhsa_kernel
	.section	.text._ZN2at6native12_GLOBAL__N_135GammaBetaBackwardCUDAKernelTemplateIddLj64ELj1ELj32ELb1ELb1ELb0EEEvllPKT_S5_PKT0_S8_PS3_S9_,"axG",@progbits,_ZN2at6native12_GLOBAL__N_135GammaBetaBackwardCUDAKernelTemplateIddLj64ELj1ELj32ELb1ELb1ELb0EEEvllPKT_S5_PKT0_S8_PS3_S9_,comdat
.Lfunc_end27:
	.size	_ZN2at6native12_GLOBAL__N_135GammaBetaBackwardCUDAKernelTemplateIddLj64ELj1ELj32ELb1ELb1ELb0EEEvllPKT_S5_PKT0_S8_PS3_S9_, .Lfunc_end27-_ZN2at6native12_GLOBAL__N_135GammaBetaBackwardCUDAKernelTemplateIddLj64ELj1ELj32ELb1ELb1ELb0EEEvllPKT_S5_PKT0_S8_PS3_S9_
                                        ; -- End function
	.section	.AMDGPU.csdata,"",@progbits
; Kernel info:
; codeLenInByte = 4104
; NumSgprs: 46
; NumVgprs: 118
; NumAgprs: 0
; TotalNumVgprs: 118
; ScratchSize: 0
; MemoryBound: 0
; FloatMode: 240
; IeeeMode: 1
; LDSByteSize: 0 bytes/workgroup (compile time only)
; SGPRBlocks: 5
; VGPRBlocks: 14
; NumSGPRsForWavesPerEU: 46
; NumVGPRsForWavesPerEU: 118
; AccumOffset: 120
; Occupancy: 4
; WaveLimiterHint : 0
; COMPUTE_PGM_RSRC2:SCRATCH_EN: 0
; COMPUTE_PGM_RSRC2:USER_SGPR: 2
; COMPUTE_PGM_RSRC2:TRAP_HANDLER: 0
; COMPUTE_PGM_RSRC2:TGID_X_EN: 1
; COMPUTE_PGM_RSRC2:TGID_Y_EN: 1
; COMPUTE_PGM_RSRC2:TGID_Z_EN: 0
; COMPUTE_PGM_RSRC2:TIDIG_COMP_CNT: 1
; COMPUTE_PGM_RSRC3_GFX90A:ACCUM_OFFSET: 29
; COMPUTE_PGM_RSRC3_GFX90A:TG_SPLIT: 0
	.section	.text._ZN2at6native12_GLOBAL__N_135GammaBetaBackwardCUDAKernelTemplateIddLj64ELj1ELj32ELb1ELb0ELb0EEEvllPKT_S5_PKT0_S8_PS3_S9_,"axG",@progbits,_ZN2at6native12_GLOBAL__N_135GammaBetaBackwardCUDAKernelTemplateIddLj64ELj1ELj32ELb1ELb0ELb0EEEvllPKT_S5_PKT0_S8_PS3_S9_,comdat
	.globl	_ZN2at6native12_GLOBAL__N_135GammaBetaBackwardCUDAKernelTemplateIddLj64ELj1ELj32ELb1ELb0ELb0EEEvllPKT_S5_PKT0_S8_PS3_S9_ ; -- Begin function _ZN2at6native12_GLOBAL__N_135GammaBetaBackwardCUDAKernelTemplateIddLj64ELj1ELj32ELb1ELb0ELb0EEEvllPKT_S5_PKT0_S8_PS3_S9_
	.p2align	8
	.type	_ZN2at6native12_GLOBAL__N_135GammaBetaBackwardCUDAKernelTemplateIddLj64ELj1ELj32ELb1ELb0ELb0EEEvllPKT_S5_PKT0_S8_PS3_S9_,@function
_ZN2at6native12_GLOBAL__N_135GammaBetaBackwardCUDAKernelTemplateIddLj64ELj1ELj32ELb1ELb0ELb0EEEvllPKT_S5_PKT0_S8_PS3_S9_: ; @_ZN2at6native12_GLOBAL__N_135GammaBetaBackwardCUDAKernelTemplateIddLj64ELj1ELj32ELb1ELb0ELb0EEEvllPKT_S5_PKT0_S8_PS3_S9_
; %bb.0:
	s_load_dwordx8 s[12:19], s[0:1], 0x0
	s_load_dwordx4 s[20:23], s[0:1], 0x20
	s_mov_b32 s8, s3
	s_lshl_b32 s3, s2, 6
	v_mov_b32_e32 v11, v0
	s_or_b32 s10, s3, 63
	s_mov_b32 s11, 0
	s_waitcnt lgkmcnt(0)
	v_mov_b64_e32 v[0:1], s[14:15]
	v_cmp_ge_i64_e32 vcc, s[10:11], v[0:1]
	s_lshl_b32 s10, s8, 5
	v_mov_b64_e32 v[0:1], s[12:13]
	v_cmp_lt_i64_e64 s[4:5], s[10:11], v[0:1]
	s_nop 1
	v_cndmask_b32_e64 v0, 0, 1, s[4:5]
	v_cmp_ne_u32_e64 s[4:5], 1, v0
	s_cbranch_vccz .LBB28_145
; %bb.1:
	v_mov_b64_e32 v[140:141], 0
	s_mov_b64 s[24:25], 0
	s_and_b64 vcc, exec, s[4:5]
	v_mov_b64_e32 v[138:139], v[140:141]
	s_cbranch_vccnz .LBB28_146
; %bb.2:
	v_and_b32_e32 v0, 0x3ff, v11
	v_mov_b32_e32 v1, 0
	v_bfe_u32 v2, v11, 10, 10
	v_accvgpr_write_b32 a2, v0
	v_add_u32_e32 v0, s3, v0
	v_lshlrev_b32_e32 v6, 5, v2
	v_mov_b32_e32 v7, v1
	v_cmp_gt_i64_e64 s[6:7], s[14:15], v[0:1]
	v_accvgpr_write_b32 a5, v1
	v_lshlrev_b64 v[8:9], 3, v[0:1]
	v_lshl_add_u64 v[0:1], v[6:7], 0, s[10:11]
	v_accvgpr_write_b32 a3, v2
	v_lshl_add_u64 v[2:3], v[0:1], 0, 31
	v_mul_lo_u32 v4, s15, v2
	v_mul_lo_u32 v5, s14, v3
	v_mad_u64_u32 v[2:3], s[34:35], s14, v2, 0
	v_add3_u32 v3, v3, v5, v4
	v_lshlrev_b64 v[2:3], 3, v[2:3]
	v_lshl_add_u64 v[4:5], s[16:17], 0, v[2:3]
	v_accvgpr_write_b32 a7, v5
	v_lshl_add_u64 v[12:13], s[18:19], 0, v[2:3]
	v_lshl_add_u64 v[2:3], v[0:1], 0, 30
	v_accvgpr_write_b32 a6, v4
	v_mul_lo_u32 v4, s15, v2
	v_mul_lo_u32 v5, s14, v3
	v_mad_u64_u32 v[2:3], s[36:37], s14, v2, 0
	v_add3_u32 v3, v3, v5, v4
	v_lshlrev_b64 v[2:3], 3, v[2:3]
	v_lshl_add_u64 v[14:15], s[16:17], 0, v[2:3]
	v_lshl_add_u64 v[16:17], s[18:19], 0, v[2:3]
	v_lshl_add_u64 v[2:3], v[0:1], 0, 29
	v_mul_lo_u32 v4, s15, v2
	v_mul_lo_u32 v5, s14, v3
	v_mad_u64_u32 v[2:3], s[36:37], s14, v2, 0
	v_add3_u32 v3, v3, v5, v4
	v_lshlrev_b64 v[2:3], 3, v[2:3]
	v_lshl_add_u64 v[18:19], s[16:17], 0, v[2:3]
	v_lshl_add_u64 v[20:21], s[18:19], 0, v[2:3]
	v_lshl_add_u64 v[2:3], v[0:1], 0, 28
	;; [unrolled: 8-line block ×28, first 2 shown]
	v_mul_lo_u32 v4, s15, v2
	v_mul_lo_u32 v5, s14, v3
	v_mad_u64_u32 v[2:3], s[36:37], s14, v2, 0
	v_add3_u32 v3, v3, v5, v4
	s_load_dword s9, s[0:1], 0x44
	v_lshlrev_b64 v[2:3], 3, v[2:3]
	v_lshl_add_u64 v[126:127], s[16:17], 0, v[2:3]
	v_lshl_add_u64 v[128:129], s[18:19], 0, v[2:3]
	v_mov_b64_e32 v[2:3], s[14:15]
	v_mad_u64_u32 v[2:3], s[36:37], s14, v0, v[2:3]
	v_mul_lo_u32 v4, s14, v1
	v_mul_lo_u32 v5, s15, v0
	v_add3_u32 v3, v5, v3, v4
	v_mad_u64_u32 v[0:1], s[36:37], s14, v0, 0
	s_add_u32 s28, s0, 64
	v_lshlrev_b64 v[2:3], 3, v[2:3]
	v_add3_u32 v1, v1, v4, v5
	s_addc_u32 s29, s1, 0
	s_waitcnt lgkmcnt(0)
	s_lshl_b32 s26, s9, 5
	v_lshl_add_u64 v[130:131], s[16:17], 0, v[2:3]
	v_lshl_add_u64 v[132:133], s[18:19], 0, v[2:3]
	v_lshlrev_b64 v[0:1], 3, v[0:1]
	v_mbcnt_lo_u32_b32 v2, -1, 0
	s_mul_i32 s9, s15, s26
	s_mul_hi_u32 s33, s14, s26
	v_lshl_add_u64 v[134:135], s[16:17], 0, v[0:1]
	v_lshl_add_u64 v[136:137], s[18:19], 0, v[0:1]
	v_mov_b64_e32 v[0:1], 0
	v_mbcnt_hi_u32_b32 v2, -1, v2
	s_add_i32 s35, s33, s9
	s_mul_i32 s34, s14, s26
	v_lshlrev_b32_e32 v2, 2, v2
	v_accvgpr_write_b32 a0, v0
	s_mov_b32 s27, 0
	s_mov_b64 s[30:31], 31
	s_lshl_b64 s[34:35], s[34:35], 3
	v_and_b32_e32 v10, 0x100, v2
	v_accvgpr_write_b32 a1, v1
	s_mov_b64 s[36:37], s[10:11]
.LBB28_3:                               ; =>This Inner Loop Header: Depth=1
	s_add_u32 s38, s10, s30
	s_addc_u32 s39, 0, s31
	v_mov_b64_e32 v[2:3], s[12:13]
	v_cmp_ge_i64_e32 vcc, s[38:39], v[2:3]
	v_lshl_add_u64 v[142:143], s[10:11], 0, v[6:7]
	s_cbranch_vccz .LBB28_73
; %bb.4:                                ;   in Loop: Header=BB28_3 Depth=1
	s_load_dword s9, s[28:29], 0xc
	v_accvgpr_read_b32 v2, a2
	v_accvgpr_read_b32 v3, a3
	v_mov_b64_e32 v[156:157], 0
	v_mov_b64_e32 v[146:147], v[156:157]
	s_waitcnt lgkmcnt(0)
	s_and_b32 s9, s9, 0xffff
	v_mad_u32_u24 v2, v3, s9, v2
	v_accvgpr_read_b32 v3, a5
	v_and_b32_e32 v2, 63, v2
	v_accvgpr_write_b32 a5, v3
	v_accvgpr_write_b32 a4, v2
	v_cmp_gt_u32_e32 vcc, 32, v2
	v_mov_b64_e32 v[144:145], v[156:157]
	s_and_saveexec_b64 s[38:39], vcc
	s_cbranch_execz .LBB28_8
; %bb.5:                                ;   in Loop: Header=BB28_3 Depth=1
	v_accvgpr_read_b32 v2, a4
	v_accvgpr_read_b32 v3, a5
	v_lshl_add_u64 v[2:3], v[142:143], 0, v[2:3]
	v_mov_b64_e32 v[144:145], 0
	v_cmp_gt_i64_e32 vcc, s[12:13], v[2:3]
	v_mov_b64_e32 v[146:147], v[144:145]
	s_and_saveexec_b64 s[40:41], vcc
	s_cbranch_execz .LBB28_7
; %bb.6:                                ;   in Loop: Header=BB28_3 Depth=1
	v_lshlrev_b64 v[2:3], 3, v[2:3]
	v_lshl_add_u64 v[4:5], s[22:23], 0, v[2:3]
	v_lshl_add_u64 v[2:3], s[20:21], 0, v[2:3]
	global_load_dwordx2 v[144:145], v[2:3], off
	global_load_dwordx2 v[146:147], v[4:5], off
.LBB28_7:                               ;   in Loop: Header=BB28_3 Depth=1
	s_or_b64 exec, exec, s[40:41]
.LBB28_8:                               ;   in Loop: Header=BB28_3 Depth=1
	s_or_b64 exec, exec, s[38:39]
	v_cmp_gt_i64_e32 vcc, s[12:13], v[142:143]
	s_and_b64 s[40:41], s[6:7], vcc
	v_mov_b64_e32 v[138:139], v[156:157]
	s_and_saveexec_b64 s[38:39], s[40:41]
	s_cbranch_execz .LBB28_10
; %bb.9:                                ;   in Loop: Header=BB28_3 Depth=1
	v_lshl_add_u64 v[2:3], v[134:135], 0, v[8:9]
	global_load_dwordx2 v[156:157], v[2:3], off
	v_lshl_add_u64 v[2:3], v[136:137], 0, v[8:9]
	global_load_dwordx2 v[138:139], v[2:3], off
.LBB28_10:                              ;   in Loop: Header=BB28_3 Depth=1
	s_or_b64 exec, exec, s[38:39]
	v_lshl_add_u64 v[2:3], v[142:143], 0, 1
	v_cmp_gt_i64_e32 vcc, s[12:13], v[2:3]
	v_mov_b64_e32 v[4:5], 0
	s_and_b64 s[40:41], s[6:7], vcc
	v_mov_b64_e32 v[164:165], v[4:5]
	v_mov_b64_e32 v[166:167], v[4:5]
	s_and_saveexec_b64 s[38:39], s[40:41]
	s_cbranch_execz .LBB28_12
; %bb.11:                               ;   in Loop: Header=BB28_3 Depth=1
	v_lshl_add_u64 v[2:3], v[130:131], 0, v[8:9]
	global_load_dwordx2 v[164:165], v[2:3], off
	v_lshl_add_u64 v[2:3], v[132:133], 0, v[8:9]
	global_load_dwordx2 v[166:167], v[2:3], off
.LBB28_12:                              ;   in Loop: Header=BB28_3 Depth=1
	s_or_b64 exec, exec, s[38:39]
	v_lshl_add_u64 v[2:3], v[142:143], 0, 2
	v_cmp_gt_i64_e32 vcc, s[12:13], v[2:3]
	s_and_b64 s[40:41], s[6:7], vcc
	v_mov_b64_e32 v[158:159], v[4:5]
	s_and_saveexec_b64 s[38:39], s[40:41]
	s_cbranch_execz .LBB28_14
; %bb.13:                               ;   in Loop: Header=BB28_3 Depth=1
	v_lshl_add_u64 v[2:3], v[126:127], 0, v[8:9]
	global_load_dwordx2 v[4:5], v[2:3], off
	v_lshl_add_u64 v[2:3], v[128:129], 0, v[8:9]
	global_load_dwordx2 v[158:159], v[2:3], off
.LBB28_14:                              ;   in Loop: Header=BB28_3 Depth=1
	s_or_b64 exec, exec, s[38:39]
	v_lshl_add_u64 v[2:3], v[142:143], 0, 3
	v_cmp_gt_i64_e32 vcc, s[12:13], v[2:3]
	v_mov_b64_e32 v[248:249], 0
	s_and_b64 s[40:41], s[6:7], vcc
	v_mov_b64_e32 v[140:141], v[248:249]
	v_mov_b64_e32 v[154:155], v[248:249]
	s_and_saveexec_b64 s[38:39], s[40:41]
	s_cbranch_execz .LBB28_16
; %bb.15:                               ;   in Loop: Header=BB28_3 Depth=1
	v_lshl_add_u64 v[2:3], v[122:123], 0, v[8:9]
	global_load_dwordx2 v[140:141], v[2:3], off
	v_lshl_add_u64 v[2:3], v[124:125], 0, v[8:9]
	global_load_dwordx2 v[154:155], v[2:3], off
.LBB28_16:                              ;   in Loop: Header=BB28_3 Depth=1
	s_or_b64 exec, exec, s[38:39]
	v_lshl_add_u64 v[2:3], v[142:143], 0, 4
	v_cmp_gt_i64_e32 vcc, s[12:13], v[2:3]
	s_and_b64 s[40:41], s[6:7], vcc
	v_mov_b64_e32 v[254:255], v[248:249]
	s_and_saveexec_b64 s[38:39], s[40:41]
	s_cbranch_execz .LBB28_18
; %bb.17:                               ;   in Loop: Header=BB28_3 Depth=1
	v_lshl_add_u64 v[2:3], v[118:119], 0, v[8:9]
	global_load_dwordx2 v[248:249], v[2:3], off
	v_lshl_add_u64 v[2:3], v[120:121], 0, v[8:9]
	global_load_dwordx2 v[254:255], v[2:3], off
.LBB28_18:                              ;   in Loop: Header=BB28_3 Depth=1
	;; [unrolled: 28-line block ×11, first 2 shown]
	s_or_b64 exec, exec, s[38:39]
	v_lshl_add_u64 v[2:3], v[142:143], 0, 23
	v_cmp_gt_i64_e32 vcc, s[12:13], v[2:3]
	v_mov_b64_e32 v[168:169], 0
	s_and_b64 s[40:41], s[6:7], vcc
	v_mov_b64_e32 v[178:179], v[168:169]
	v_mov_b64_e32 v[180:181], v[168:169]
	s_and_saveexec_b64 s[38:39], s[40:41]
	s_cbranch_execz .LBB28_56
; %bb.55:                               ;   in Loop: Header=BB28_3 Depth=1
	v_lshl_add_u64 v[2:3], v[42:43], 0, v[8:9]
	global_load_dwordx2 v[178:179], v[2:3], off
	v_lshl_add_u64 v[2:3], v[44:45], 0, v[8:9]
	global_load_dwordx2 v[180:181], v[2:3], off
.LBB28_56:                              ;   in Loop: Header=BB28_3 Depth=1
	s_or_b64 exec, exec, s[38:39]
	v_lshl_add_u64 v[2:3], v[142:143], 0, 24
	v_cmp_gt_i64_e32 vcc, s[12:13], v[2:3]
	v_accvgpr_write_b32 a22, v168
	s_and_b64 s[40:41], s[6:7], vcc
	v_accvgpr_write_b32 a23, v169
	s_and_saveexec_b64 s[38:39], s[40:41]
	s_cbranch_execz .LBB28_58
; %bb.57:                               ;   in Loop: Header=BB28_3 Depth=1
	v_lshl_add_u64 v[2:3], v[38:39], 0, v[8:9]
	global_load_dwordx2 v[168:169], v[2:3], off
	v_lshl_add_u64 v[2:3], v[40:41], 0, v[8:9]
	global_load_dwordx2 a[22:23], v[2:3], off
.LBB28_58:                              ;   in Loop: Header=BB28_3 Depth=1
	s_or_b64 exec, exec, s[38:39]
	v_lshl_add_u64 v[2:3], v[142:143], 0, 25
	v_mov_b64_e32 v[160:161], 0
	v_cmp_gt_i64_e32 vcc, s[12:13], v[2:3]
	v_accvgpr_write_b32 a20, v160
	s_and_b64 s[40:41], s[6:7], vcc
	v_mov_b64_e32 v[170:171], v[160:161]
	v_accvgpr_write_b32 a21, v161
	s_and_saveexec_b64 s[38:39], s[40:41]
	s_cbranch_execz .LBB28_60
; %bb.59:                               ;   in Loop: Header=BB28_3 Depth=1
	v_lshl_add_u64 v[2:3], v[34:35], 0, v[8:9]
	global_load_dwordx2 v[170:171], v[2:3], off
	v_lshl_add_u64 v[2:3], v[36:37], 0, v[8:9]
	global_load_dwordx2 a[20:21], v[2:3], off
.LBB28_60:                              ;   in Loop: Header=BB28_3 Depth=1
	s_or_b64 exec, exec, s[38:39]
	v_lshl_add_u64 v[2:3], v[142:143], 0, 26
	v_cmp_gt_i64_e32 vcc, s[12:13], v[2:3]
	v_accvgpr_write_b32 a18, v160
	s_and_b64 s[40:41], s[6:7], vcc
	v_accvgpr_write_b32 a19, v161
	s_and_saveexec_b64 s[38:39], s[40:41]
	s_cbranch_execz .LBB28_62
; %bb.61:                               ;   in Loop: Header=BB28_3 Depth=1
	v_lshl_add_u64 v[2:3], v[30:31], 0, v[8:9]
	global_load_dwordx2 v[160:161], v[2:3], off
	v_lshl_add_u64 v[2:3], v[32:33], 0, v[8:9]
	global_load_dwordx2 a[18:19], v[2:3], off
.LBB28_62:                              ;   in Loop: Header=BB28_3 Depth=1
	s_or_b64 exec, exec, s[38:39]
	v_lshl_add_u64 v[2:3], v[142:143], 0, 27
	v_mov_b64_e32 v[150:151], 0
	v_cmp_gt_i64_e32 vcc, s[12:13], v[2:3]
	v_accvgpr_write_b32 a16, v150
	s_and_b64 s[40:41], s[6:7], vcc
	v_mov_b64_e32 v[162:163], v[150:151]
	v_accvgpr_write_b32 a17, v151
	s_and_saveexec_b64 s[38:39], s[40:41]
	s_cbranch_execz .LBB28_64
; %bb.63:                               ;   in Loop: Header=BB28_3 Depth=1
	v_lshl_add_u64 v[2:3], v[26:27], 0, v[8:9]
	global_load_dwordx2 v[162:163], v[2:3], off
	v_lshl_add_u64 v[2:3], v[28:29], 0, v[8:9]
	global_load_dwordx2 a[16:17], v[2:3], off
.LBB28_64:                              ;   in Loop: Header=BB28_3 Depth=1
	s_or_b64 exec, exec, s[38:39]
	v_lshl_add_u64 v[2:3], v[142:143], 0, 28
	v_cmp_gt_i64_e32 vcc, s[12:13], v[2:3]
	s_and_b64 s[40:41], s[6:7], vcc
	v_mov_b64_e32 v[174:175], v[150:151]
	s_and_saveexec_b64 s[38:39], s[40:41]
	s_cbranch_execz .LBB28_66
; %bb.65:                               ;   in Loop: Header=BB28_3 Depth=1
	v_lshl_add_u64 v[2:3], v[22:23], 0, v[8:9]
	global_load_dwordx2 v[150:151], v[2:3], off
	v_lshl_add_u64 v[2:3], v[24:25], 0, v[8:9]
	global_load_dwordx2 v[174:175], v[2:3], off
.LBB28_66:                              ;   in Loop: Header=BB28_3 Depth=1
	s_or_b64 exec, exec, s[38:39]
	v_lshl_add_u64 v[2:3], v[142:143], 0, 29
	v_cmp_gt_i64_e32 vcc, s[12:13], v[2:3]
	v_mov_b64_e32 v[148:149], 0
	s_and_b64 s[40:41], s[6:7], vcc
	v_mov_b64_e32 v[152:153], v[148:149]
	v_mov_b64_e32 v[172:173], v[148:149]
	s_and_saveexec_b64 s[38:39], s[40:41]
	s_cbranch_execz .LBB28_68
; %bb.67:                               ;   in Loop: Header=BB28_3 Depth=1
	v_lshl_add_u64 v[2:3], v[18:19], 0, v[8:9]
	global_load_dwordx2 v[152:153], v[2:3], off
	v_lshl_add_u64 v[2:3], v[20:21], 0, v[8:9]
	global_load_dwordx2 v[172:173], v[2:3], off
.LBB28_68:                              ;   in Loop: Header=BB28_3 Depth=1
	s_or_b64 exec, exec, s[38:39]
	v_lshl_add_u64 v[2:3], v[142:143], 0, 30
	v_cmp_gt_i64_e32 vcc, s[12:13], v[2:3]
	s_and_b64 s[40:41], s[6:7], vcc
	v_mov_b64_e32 v[2:3], v[148:149]
	s_and_saveexec_b64 s[38:39], s[40:41]
	s_cbranch_execz .LBB28_70
; %bb.69:                               ;   in Loop: Header=BB28_3 Depth=1
	v_lshl_add_u64 v[2:3], v[14:15], 0, v[8:9]
	global_load_dwordx2 v[148:149], v[2:3], off
	v_lshl_add_u64 v[2:3], v[16:17], 0, v[8:9]
	global_load_dwordx2 v[2:3], v[2:3], off
.LBB28_70:                              ;   in Loop: Header=BB28_3 Depth=1
	s_or_b64 exec, exec, s[38:39]
	s_waitcnt vmcnt(0)
	v_accvgpr_write_b32 a13, v3
	v_accvgpr_write_b32 a12, v2
	v_lshl_add_u64 v[2:3], v[142:143], 0, 31
	v_cmp_gt_i64_e32 vcc, s[12:13], v[2:3]
	v_mov_b64_e32 v[2:3], 0
	v_accvgpr_write_b32 a14, v174
	v_accvgpr_write_b32 a10, v172
	v_accvgpr_write_b32 a9, v3
	v_accvgpr_write_b32 a15, v175
	v_accvgpr_write_b32 a11, v173
	s_and_b64 s[42:43], s[6:7], vcc
	s_mov_b64 s[38:39], 0
	v_accvgpr_write_b32 a8, v2
	s_and_saveexec_b64 s[40:41], s[42:43]
	s_cbranch_execz .LBB28_72
; %bb.71:                               ;   in Loop: Header=BB28_3 Depth=1
	v_accvgpr_read_b32 v2, a6
	v_accvgpr_read_b32 v3, a7
	v_lshl_add_u64 v[2:3], v[2:3], 0, v[8:9]
	v_lshl_add_u64 v[172:173], v[12:13], 0, v[8:9]
	global_load_dwordx2 v[2:3], v[2:3], off
	s_nop 0
	global_load_dwordx2 a[8:9], v[172:173], off
.LBB28_72:                              ;   in Loop: Header=BB28_3 Depth=1
	s_or_b64 exec, exec, s[40:41]
	ds_bpermute_b32 v174, v10, v144
	ds_bpermute_b32 v175, v10, v145
	;; [unrolled: 1-line block ×4, first 2 shown]
	s_waitcnt lgkmcnt(2)
	v_add_f64 v[138:139], v[138:139], -v[174:175]
	v_mul_f64 v[138:139], v[156:157], v[138:139]
	s_waitcnt lgkmcnt(0)
	v_fma_f64 v[138:139], v[138:139], v[172:173], v[0:1]
	v_accvgpr_read_b32 v173, a1
	ds_bpermute_b32 v174, v10, v144 offset:4
	ds_bpermute_b32 v175, v10, v145 offset:4
	v_accvgpr_read_b32 v172, a0
	v_add_f64 v[156:157], v[172:173], v[156:157]
	ds_bpermute_b32 v172, v10, v146 offset:4
	ds_bpermute_b32 v173, v10, v147 offset:4
	s_waitcnt lgkmcnt(2)
	v_add_f64 v[166:167], v[166:167], -v[174:175]
	v_mul_f64 v[166:167], v[164:165], v[166:167]
	v_add_f64 v[156:157], v[156:157], v[164:165]
	ds_bpermute_b32 v164, v10, v146 offset:8
	s_waitcnt lgkmcnt(1)
	v_fmac_f64_e32 v[138:139], v[166:167], v[172:173]
	ds_bpermute_b32 v166, v10, v144 offset:8
	ds_bpermute_b32 v167, v10, v145 offset:8
	;; [unrolled: 1-line block ×3, first 2 shown]
	s_waitcnt lgkmcnt(1)
	v_add_f64 v[158:159], v[158:159], -v[166:167]
	v_mul_f64 v[158:159], v[4:5], v[158:159]
	s_waitcnt lgkmcnt(0)
	v_fmac_f64_e32 v[138:139], v[158:159], v[164:165]
	ds_bpermute_b32 v158, v10, v144 offset:12
	ds_bpermute_b32 v159, v10, v145 offset:12
	v_add_f64 v[4:5], v[156:157], v[4:5]
	ds_bpermute_b32 v156, v10, v146 offset:12
	ds_bpermute_b32 v157, v10, v147 offset:12
	v_add_f64 v[4:5], v[4:5], v[140:141]
	s_waitcnt lgkmcnt(2)
	v_add_f64 v[154:155], v[154:155], -v[158:159]
	v_mul_f64 v[154:155], v[140:141], v[154:155]
	ds_bpermute_b32 v140, v10, v146 offset:16
	s_waitcnt lgkmcnt(1)
	v_fmac_f64_e32 v[138:139], v[154:155], v[156:157]
	ds_bpermute_b32 v154, v10, v144 offset:16
	ds_bpermute_b32 v155, v10, v145 offset:16
	;; [unrolled: 1-line block ×3, first 2 shown]
	v_accvgpr_read_b32 v157, a23
	v_accvgpr_read_b32 v156, a22
	v_add_f64 v[4:5], v[4:5], v[248:249]
	s_waitcnt lgkmcnt(1)
	v_add_f64 v[154:155], v[254:255], -v[154:155]
	v_mul_f64 v[154:155], v[248:249], v[154:155]
	s_waitcnt lgkmcnt(0)
	v_fmac_f64_e32 v[138:139], v[154:155], v[140:141]
	ds_bpermute_b32 v154, v10, v144 offset:20
	ds_bpermute_b32 v155, v10, v145 offset:20
	ds_bpermute_b32 v140, v10, v146 offset:20
	ds_bpermute_b32 v141, v10, v147 offset:20
	v_add_f64 v[4:5], v[4:5], v[250:251]
	v_add_f64 v[4:5], v[4:5], v[240:241]
	s_waitcnt lgkmcnt(2)
	v_add_f64 v[154:155], v[252:253], -v[154:155]
	v_mul_f64 v[154:155], v[250:251], v[154:155]
	s_waitcnt lgkmcnt(0)
	v_fmac_f64_e32 v[138:139], v[154:155], v[140:141]
	ds_bpermute_b32 v154, v10, v144 offset:24
	ds_bpermute_b32 v155, v10, v145 offset:24
	ds_bpermute_b32 v140, v10, v146 offset:24
	ds_bpermute_b32 v141, v10, v147 offset:24
	v_add_f64 v[4:5], v[4:5], v[242:243]
	;; [unrolled: 11-line block ×13, first 2 shown]
	v_add_f64 v[4:5], v[4:5], v[148:149]
	s_waitcnt lgkmcnt(2)
	v_add_f64 v[154:155], v[204:205], -v[154:155]
	v_mul_f64 v[154:155], v[202:203], v[154:155]
	s_waitcnt lgkmcnt(0)
	v_fmac_f64_e32 v[138:139], v[154:155], v[140:141]
	ds_bpermute_b32 v154, v10, v144 offset:72
	ds_bpermute_b32 v155, v10, v145 offset:72
	ds_bpermute_b32 v140, v10, v146 offset:72
	ds_bpermute_b32 v141, v10, v147 offset:72
	s_waitcnt lgkmcnt(2)
	v_add_f64 v[154:155], v[198:199], -v[154:155]
	v_mul_f64 v[154:155], v[192:193], v[154:155]
	s_waitcnt lgkmcnt(0)
	v_fmac_f64_e32 v[138:139], v[154:155], v[140:141]
	ds_bpermute_b32 v154, v10, v144 offset:76
	ds_bpermute_b32 v155, v10, v145 offset:76
	ds_bpermute_b32 v140, v10, v146 offset:76
	ds_bpermute_b32 v141, v10, v147 offset:76
	;; [unrolled: 9-line block ×8, first 2 shown]
	v_accvgpr_read_b32 v157, a21
	v_accvgpr_read_b32 v156, a20
	s_waitcnt lgkmcnt(2)
	v_add_f64 v[154:155], v[156:157], -v[154:155]
	v_mul_f64 v[154:155], v[170:171], v[154:155]
	s_waitcnt lgkmcnt(0)
	v_fmac_f64_e32 v[138:139], v[154:155], v[140:141]
	ds_bpermute_b32 v154, v10, v144 offset:104
	ds_bpermute_b32 v155, v10, v145 offset:104
	ds_bpermute_b32 v140, v10, v146 offset:104
	ds_bpermute_b32 v141, v10, v147 offset:104
	v_accvgpr_read_b32 v157, a19
	v_accvgpr_read_b32 v156, a18
	s_waitcnt lgkmcnt(2)
	v_add_f64 v[154:155], v[156:157], -v[154:155]
	v_mul_f64 v[154:155], v[160:161], v[154:155]
	s_waitcnt lgkmcnt(0)
	v_fmac_f64_e32 v[138:139], v[154:155], v[140:141]
	ds_bpermute_b32 v154, v10, v144 offset:108
	ds_bpermute_b32 v155, v10, v145 offset:108
	ds_bpermute_b32 v140, v10, v146 offset:108
	ds_bpermute_b32 v141, v10, v147 offset:108
	;; [unrolled: 11-line block ×3, first 2 shown]
	v_accvgpr_read_b32 v157, a15
	v_accvgpr_read_b32 v156, a14
	s_waitcnt lgkmcnt(2)
	v_add_f64 v[154:155], v[156:157], -v[154:155]
	v_mul_f64 v[154:155], v[150:151], v[154:155]
	ds_bpermute_b32 v150, v10, v144 offset:116
	ds_bpermute_b32 v151, v10, v145 offset:116
	s_waitcnt lgkmcnt(2)
	v_fmac_f64_e32 v[138:139], v[154:155], v[140:141]
	ds_bpermute_b32 v140, v10, v146 offset:116
	ds_bpermute_b32 v141, v10, v147 offset:116
	v_accvgpr_read_b32 v155, a11
	v_accvgpr_read_b32 v154, a10
	s_waitcnt lgkmcnt(2)
	v_add_f64 v[150:151], v[154:155], -v[150:151]
	v_mul_f64 v[150:151], v[152:153], v[150:151]
	s_waitcnt lgkmcnt(0)
	v_fmac_f64_e32 v[138:139], v[150:151], v[140:141]
	ds_bpermute_b32 v150, v10, v144 offset:120
	ds_bpermute_b32 v151, v10, v145 offset:120
	;; [unrolled: 1-line block ×4, first 2 shown]
	v_accvgpr_read_b32 v153, a13
	v_accvgpr_read_b32 v152, a12
	s_waitcnt lgkmcnt(2)
	v_add_f64 v[150:151], v[152:153], -v[150:151]
	v_mul_f64 v[150:151], v[148:149], v[150:151]
	s_waitcnt lgkmcnt(0)
	v_fmac_f64_e32 v[138:139], v[150:151], v[140:141]
	ds_bpermute_b32 v140, v10, v146 offset:124
	ds_bpermute_b32 v141, v10, v147 offset:124
	;; [unrolled: 1-line block ×4, first 2 shown]
	s_and_b64 vcc, exec, s[38:39]
	s_cbranch_vccnz .LBB28_74
	s_branch .LBB28_143
.LBB28_73:                              ;   in Loop: Header=BB28_3 Depth=1
                                        ; implicit-def: $vgpr140_vgpr141
                                        ; implicit-def: $vgpr2_vgpr3
                                        ; implicit-def: $agpr8_agpr9
                                        ; implicit-def: $vgpr144
                                        ; implicit-def: $vgpr4_vgpr5
                                        ; implicit-def: $vgpr138_vgpr139
	s_cbranch_execz .LBB28_143
.LBB28_74:                              ;   in Loop: Header=BB28_3 Depth=1
	s_load_dword s9, s[28:29], 0x0
	v_accvgpr_read_b32 v5, a5
	s_waitcnt vmcnt(1)
	v_accvgpr_read_b32 v3, a2
	v_accvgpr_read_b32 v4, a3
	v_mov_b64_e32 v[146:147], 0
	s_waitcnt lgkmcnt(0)
	s_cmp_lt_u32 s2, s9
	s_cselect_b32 s9, 12, 18
	s_add_u32 s38, s28, s9
	s_addc_u32 s39, s29, 0
	global_load_ushort v2, v5, s[38:39]
	v_mov_b64_e32 v[144:145], v[146:147]
	v_mov_b64_e32 v[138:139], v[146:147]
	s_waitcnt vmcnt(0)
	v_mad_u32_u24 v2, v4, v2, v3
	v_and_b32_e32 v4, 63, v2
	v_accvgpr_write_b32 a4, v4
	v_accvgpr_write_b32 a5, v5
	v_cmp_gt_u32_e32 vcc, 32, v4
	s_and_saveexec_b64 s[38:39], vcc
	s_cbranch_execz .LBB28_78
; %bb.75:                               ;   in Loop: Header=BB28_3 Depth=1
	v_accvgpr_read_b32 v2, a4
	v_accvgpr_read_b32 v3, a5
	v_lshl_add_u64 v[2:3], v[142:143], 0, v[2:3]
	v_mov_b64_e32 v[138:139], 0
	v_cmp_gt_i64_e32 vcc, s[12:13], v[2:3]
	v_mov_b64_e32 v[144:145], v[138:139]
	s_and_saveexec_b64 s[40:41], vcc
	s_cbranch_execz .LBB28_77
; %bb.76:                               ;   in Loop: Header=BB28_3 Depth=1
	v_lshlrev_b64 v[2:3], 3, v[2:3]
	v_lshl_add_u64 v[4:5], s[22:23], 0, v[2:3]
	v_lshl_add_u64 v[2:3], s[20:21], 0, v[2:3]
	global_load_dwordx2 v[138:139], v[2:3], off
	global_load_dwordx2 v[144:145], v[4:5], off
.LBB28_77:                              ;   in Loop: Header=BB28_3 Depth=1
	s_or_b64 exec, exec, s[40:41]
.LBB28_78:                              ;   in Loop: Header=BB28_3 Depth=1
	s_or_b64 exec, exec, s[38:39]
	v_mov_b64_e32 v[160:161], v[146:147]
	s_and_saveexec_b64 s[38:39], s[6:7]
	s_cbranch_execz .LBB28_80
; %bb.79:                               ;   in Loop: Header=BB28_3 Depth=1
	v_lshl_add_u64 v[2:3], v[134:135], 0, v[8:9]
	global_load_dwordx2 v[146:147], v[2:3], off
	v_lshl_add_u64 v[2:3], v[136:137], 0, v[8:9]
	global_load_dwordx2 v[160:161], v[2:3], off
.LBB28_80:                              ;   in Loop: Header=BB28_3 Depth=1
	s_or_b64 exec, exec, s[38:39]
	v_mov_b64_e32 v[248:249], 0
	v_mov_b64_e32 v[152:153], v[248:249]
	v_mov_b64_e32 v[154:155], v[248:249]
	s_and_saveexec_b64 s[38:39], s[6:7]
	s_cbranch_execz .LBB28_82
; %bb.81:                               ;   in Loop: Header=BB28_3 Depth=1
	v_lshl_add_u64 v[2:3], v[130:131], 0, v[8:9]
	global_load_dwordx2 v[152:153], v[2:3], off
	v_lshl_add_u64 v[2:3], v[132:133], 0, v[8:9]
	global_load_dwordx2 v[154:155], v[2:3], off
.LBB28_82:                              ;   in Loop: Header=BB28_3 Depth=1
	s_or_b64 exec, exec, s[38:39]
	v_mov_b64_e32 v[254:255], v[248:249]
	s_and_saveexec_b64 s[38:39], s[6:7]
	s_cbranch_execz .LBB28_84
; %bb.83:                               ;   in Loop: Header=BB28_3 Depth=1
	v_lshl_add_u64 v[2:3], v[126:127], 0, v[8:9]
	global_load_dwordx2 v[248:249], v[2:3], off
	v_lshl_add_u64 v[2:3], v[128:129], 0, v[8:9]
	global_load_dwordx2 v[254:255], v[2:3], off
.LBB28_84:                              ;   in Loop: Header=BB28_3 Depth=1
	s_or_b64 exec, exec, s[38:39]
	v_mov_b64_e32 v[240:241], 0
	v_mov_b64_e32 v[250:251], v[240:241]
	v_mov_b64_e32 v[252:253], v[240:241]
	s_and_saveexec_b64 s[38:39], s[6:7]
	s_cbranch_execz .LBB28_86
; %bb.85:                               ;   in Loop: Header=BB28_3 Depth=1
	v_lshl_add_u64 v[2:3], v[122:123], 0, v[8:9]
	global_load_dwordx2 v[250:251], v[2:3], off
	v_lshl_add_u64 v[2:3], v[124:125], 0, v[8:9]
	global_load_dwordx2 v[252:253], v[2:3], off
.LBB28_86:                              ;   in Loop: Header=BB28_3 Depth=1
	;; [unrolled: 22-line block ×5, first 2 shown]
	s_or_b64 exec, exec, s[38:39]
	v_mov_b64_e32 v[226:227], v[220:221]
	s_and_saveexec_b64 s[38:39], s[6:7]
	s_cbranch_execz .LBB28_100
; %bb.99:                               ;   in Loop: Header=BB28_3 Depth=1
	v_lshl_add_u64 v[2:3], v[94:95], 0, v[8:9]
	global_load_dwordx2 v[220:221], v[2:3], off
	v_lshl_add_u64 v[2:3], v[96:97], 0, v[8:9]
	global_load_dwordx2 v[226:227], v[2:3], off
.LBB28_100:                             ;   in Loop: Header=BB28_3 Depth=1
	s_or_b64 exec, exec, s[38:39]
	v_mov_b64_e32 v[212:213], 0
	v_mov_b64_e32 v[222:223], v[212:213]
	v_mov_b64_e32 v[224:225], v[212:213]
	s_and_saveexec_b64 s[38:39], s[6:7]
	s_cbranch_execz .LBB28_102
; %bb.101:                              ;   in Loop: Header=BB28_3 Depth=1
	v_lshl_add_u64 v[2:3], v[90:91], 0, v[8:9]
	global_load_dwordx2 v[222:223], v[2:3], off
	v_lshl_add_u64 v[2:3], v[92:93], 0, v[8:9]
	global_load_dwordx2 v[224:225], v[2:3], off
.LBB28_102:                             ;   in Loop: Header=BB28_3 Depth=1
	s_or_b64 exec, exec, s[38:39]
	v_mov_b64_e32 v[218:219], v[212:213]
	s_and_saveexec_b64 s[38:39], s[6:7]
	s_cbranch_execz .LBB28_104
; %bb.103:                              ;   in Loop: Header=BB28_3 Depth=1
	v_lshl_add_u64 v[2:3], v[86:87], 0, v[8:9]
	global_load_dwordx2 v[212:213], v[2:3], off
	v_lshl_add_u64 v[2:3], v[88:89], 0, v[8:9]
	global_load_dwordx2 v[218:219], v[2:3], off
.LBB28_104:                             ;   in Loop: Header=BB28_3 Depth=1
	s_or_b64 exec, exec, s[38:39]
	v_mov_b64_e32 v[204:205], 0
	v_mov_b64_e32 v[214:215], v[204:205]
	v_mov_b64_e32 v[216:217], v[204:205]
	s_and_saveexec_b64 s[38:39], s[6:7]
	s_cbranch_execz .LBB28_106
; %bb.105:                              ;   in Loop: Header=BB28_3 Depth=1
	v_lshl_add_u64 v[2:3], v[82:83], 0, v[8:9]
	global_load_dwordx2 v[214:215], v[2:3], off
	v_lshl_add_u64 v[2:3], v[84:85], 0, v[8:9]
	global_load_dwordx2 v[216:217], v[2:3], off
.LBB28_106:                             ;   in Loop: Header=BB28_3 Depth=1
	s_or_b64 exec, exec, s[38:39]
	v_mov_b64_e32 v[210:211], v[204:205]
	s_and_saveexec_b64 s[38:39], s[6:7]
	s_cbranch_execz .LBB28_108
; %bb.107:                              ;   in Loop: Header=BB28_3 Depth=1
	v_lshl_add_u64 v[2:3], v[78:79], 0, v[8:9]
	global_load_dwordx2 v[204:205], v[2:3], off
	v_lshl_add_u64 v[2:3], v[80:81], 0, v[8:9]
	global_load_dwordx2 v[210:211], v[2:3], off
.LBB28_108:                             ;   in Loop: Header=BB28_3 Depth=1
	;; [unrolled: 22-line block ×7, first 2 shown]
	s_or_b64 exec, exec, s[38:39]
	v_mov_b64_e32 v[156:157], 0
	v_accvgpr_write_b32 a20, v156
	v_mov_b64_e32 v[166:167], v[156:157]
	v_accvgpr_write_b32 a21, v157
	s_and_saveexec_b64 s[38:39], s[6:7]
	s_cbranch_execz .LBB28_130
; %bb.129:                              ;   in Loop: Header=BB28_3 Depth=1
	v_lshl_add_u64 v[2:3], v[34:35], 0, v[8:9]
	global_load_dwordx2 v[166:167], v[2:3], off
	v_lshl_add_u64 v[2:3], v[36:37], 0, v[8:9]
	global_load_dwordx2 a[20:21], v[2:3], off
.LBB28_130:                             ;   in Loop: Header=BB28_3 Depth=1
	s_or_b64 exec, exec, s[38:39]
	v_accvgpr_write_b32 a18, v156
	v_accvgpr_write_b32 a19, v157
	s_and_saveexec_b64 s[38:39], s[6:7]
	s_cbranch_execz .LBB28_132
; %bb.131:                              ;   in Loop: Header=BB28_3 Depth=1
	v_lshl_add_u64 v[2:3], v[30:31], 0, v[8:9]
	global_load_dwordx2 v[156:157], v[2:3], off
	v_lshl_add_u64 v[2:3], v[32:33], 0, v[8:9]
	global_load_dwordx2 a[18:19], v[2:3], off
.LBB28_132:                             ;   in Loop: Header=BB28_3 Depth=1
	s_or_b64 exec, exec, s[38:39]
	v_mov_b64_e32 v[148:149], 0
	v_accvgpr_write_b32 a16, v148
	v_mov_b64_e32 v[158:159], v[148:149]
	v_accvgpr_write_b32 a17, v149
	s_and_saveexec_b64 s[38:39], s[6:7]
	s_cbranch_execz .LBB28_134
; %bb.133:                              ;   in Loop: Header=BB28_3 Depth=1
	v_lshl_add_u64 v[2:3], v[26:27], 0, v[8:9]
	global_load_dwordx2 v[158:159], v[2:3], off
	v_lshl_add_u64 v[2:3], v[28:29], 0, v[8:9]
	global_load_dwordx2 a[16:17], v[2:3], off
.LBB28_134:                             ;   in Loop: Header=BB28_3 Depth=1
	s_or_b64 exec, exec, s[38:39]
	v_mov_b64_e32 v[168:169], v[148:149]
	s_and_saveexec_b64 s[38:39], s[6:7]
	s_cbranch_execz .LBB28_136
; %bb.135:                              ;   in Loop: Header=BB28_3 Depth=1
	v_lshl_add_u64 v[2:3], v[22:23], 0, v[8:9]
	global_load_dwordx2 v[148:149], v[2:3], off
	v_lshl_add_u64 v[2:3], v[24:25], 0, v[8:9]
	global_load_dwordx2 v[168:169], v[2:3], off
.LBB28_136:                             ;   in Loop: Header=BB28_3 Depth=1
	s_or_b64 exec, exec, s[38:39]
	v_mov_b64_e32 v[142:143], 0
	v_mov_b64_e32 v[150:151], v[142:143]
	;; [unrolled: 1-line block ×3, first 2 shown]
	s_and_saveexec_b64 s[38:39], s[6:7]
	s_cbranch_execz .LBB28_138
; %bb.137:                              ;   in Loop: Header=BB28_3 Depth=1
	v_lshl_add_u64 v[2:3], v[18:19], 0, v[8:9]
	global_load_dwordx2 v[150:151], v[2:3], off
	v_lshl_add_u64 v[2:3], v[20:21], 0, v[8:9]
	global_load_dwordx2 v[162:163], v[2:3], off
.LBB28_138:                             ;   in Loop: Header=BB28_3 Depth=1
	s_or_b64 exec, exec, s[38:39]
	v_mov_b64_e32 v[2:3], v[142:143]
	s_and_saveexec_b64 s[38:39], s[6:7]
	s_cbranch_execz .LBB28_140
; %bb.139:                              ;   in Loop: Header=BB28_3 Depth=1
	v_lshl_add_u64 v[2:3], v[14:15], 0, v[8:9]
	global_load_dwordx2 v[142:143], v[2:3], off
	v_lshl_add_u64 v[2:3], v[16:17], 0, v[8:9]
	global_load_dwordx2 v[2:3], v[2:3], off
.LBB28_140:                             ;   in Loop: Header=BB28_3 Depth=1
	s_or_b64 exec, exec, s[38:39]
	s_waitcnt vmcnt(0)
	v_accvgpr_write_b32 a11, v3
	v_accvgpr_write_b32 a10, v2
	v_mov_b64_e32 v[2:3], 0
	v_accvgpr_write_b32 a14, v168
	v_accvgpr_write_b32 a12, v162
	v_accvgpr_write_b32 a9, v3
	v_accvgpr_write_b32 a15, v169
	v_accvgpr_write_b32 a13, v163
	v_accvgpr_write_b32 a8, v2
	s_and_saveexec_b64 s[38:39], s[6:7]
	s_cbranch_execz .LBB28_142
; %bb.141:                              ;   in Loop: Header=BB28_3 Depth=1
	v_accvgpr_read_b32 v2, a6
	v_accvgpr_read_b32 v3, a7
	v_lshl_add_u64 v[2:3], v[2:3], 0, v[8:9]
	v_lshl_add_u64 v[162:163], v[12:13], 0, v[8:9]
	global_load_dwordx2 v[2:3], v[2:3], off
	s_nop 0
	global_load_dwordx2 a[8:9], v[162:163], off
.LBB28_142:                             ;   in Loop: Header=BB28_3 Depth=1
	s_or_b64 exec, exec, s[38:39]
	ds_bpermute_b32 v168, v10, v138
	ds_bpermute_b32 v169, v10, v139
	;; [unrolled: 1-line block ×4, first 2 shown]
	s_waitcnt lgkmcnt(2)
	v_add_f64 v[160:161], v[160:161], -v[168:169]
	v_mul_f64 v[160:161], v[146:147], v[160:161]
	s_waitcnt lgkmcnt(0)
	v_fmac_f64_e32 v[0:1], v[160:161], v[162:163]
	v_accvgpr_read_b32 v161, a1
	ds_bpermute_b32 v162, v10, v138 offset:4
	ds_bpermute_b32 v163, v10, v139 offset:4
	v_accvgpr_read_b32 v160, a0
	v_add_f64 v[146:147], v[160:161], v[146:147]
	ds_bpermute_b32 v160, v10, v144 offset:4
	ds_bpermute_b32 v161, v10, v145 offset:4
	s_waitcnt lgkmcnt(2)
	v_add_f64 v[154:155], v[154:155], -v[162:163]
	v_mul_f64 v[154:155], v[152:153], v[154:155]
	v_add_f64 v[146:147], v[146:147], v[152:153]
	ds_bpermute_b32 v152, v10, v144 offset:8
	s_waitcnt lgkmcnt(1)
	v_fmac_f64_e32 v[0:1], v[154:155], v[160:161]
	ds_bpermute_b32 v154, v10, v138 offset:8
	ds_bpermute_b32 v155, v10, v139 offset:8
	;; [unrolled: 1-line block ×3, first 2 shown]
	v_add_f64 v[146:147], v[146:147], v[248:249]
	v_add_f64 v[146:147], v[146:147], v[250:251]
	;; [unrolled: 1-line block ×3, first 2 shown]
	s_waitcnt lgkmcnt(1)
	v_add_f64 v[154:155], v[254:255], -v[154:155]
	v_mul_f64 v[154:155], v[248:249], v[154:155]
	s_waitcnt lgkmcnt(0)
	v_fmac_f64_e32 v[0:1], v[154:155], v[152:153]
	ds_bpermute_b32 v154, v10, v138 offset:12
	ds_bpermute_b32 v155, v10, v139 offset:12
	;; [unrolled: 1-line block ×4, first 2 shown]
	v_add_f64 v[146:147], v[146:147], v[242:243]
	s_waitcnt lgkmcnt(2)
	v_add_f64 v[154:155], v[252:253], -v[154:155]
	v_mul_f64 v[154:155], v[250:251], v[154:155]
	s_waitcnt lgkmcnt(0)
	v_fmac_f64_e32 v[0:1], v[154:155], v[152:153]
	ds_bpermute_b32 v154, v10, v138 offset:16
	ds_bpermute_b32 v155, v10, v139 offset:16
	ds_bpermute_b32 v152, v10, v144 offset:16
	ds_bpermute_b32 v153, v10, v145 offset:16
	s_waitcnt lgkmcnt(2)
	v_add_f64 v[154:155], v[246:247], -v[154:155]
	v_mul_f64 v[154:155], v[240:241], v[154:155]
	s_waitcnt lgkmcnt(0)
	v_fmac_f64_e32 v[0:1], v[154:155], v[152:153]
	ds_bpermute_b32 v154, v10, v138 offset:20
	ds_bpermute_b32 v155, v10, v139 offset:20
	ds_bpermute_b32 v152, v10, v144 offset:20
	ds_bpermute_b32 v153, v10, v145 offset:20
	;; [unrolled: 9-line block ×3, first 2 shown]
	s_waitcnt lgkmcnt(2)
	v_add_f64 v[154:155], v[238:239], -v[154:155]
	v_mul_f64 v[154:155], v[140:141], v[154:155]
	s_waitcnt lgkmcnt(0)
	v_fmac_f64_e32 v[0:1], v[154:155], v[152:153]
	ds_bpermute_b32 v152, v10, v138 offset:28
	ds_bpermute_b32 v153, v10, v139 offset:28
	v_add_f64 v[140:141], v[146:147], v[140:141]
	ds_bpermute_b32 v146, v10, v144 offset:28
	ds_bpermute_b32 v147, v10, v145 offset:28
	v_add_f64 v[140:141], v[140:141], v[234:235]
	s_waitcnt lgkmcnt(2)
	v_add_f64 v[152:153], v[236:237], -v[152:153]
	v_mul_f64 v[152:153], v[234:235], v[152:153]
	s_waitcnt lgkmcnt(0)
	v_fmac_f64_e32 v[0:1], v[152:153], v[146:147]
	ds_bpermute_b32 v152, v10, v138 offset:32
	ds_bpermute_b32 v153, v10, v139 offset:32
	;; [unrolled: 1-line block ×4, first 2 shown]
	s_waitcnt lgkmcnt(2)
	v_add_f64 v[4:5], v[4:5], -v[152:153]
	v_mul_f64 v[4:5], v[228:229], v[4:5]
	s_waitcnt lgkmcnt(0)
	v_fmac_f64_e32 v[0:1], v[4:5], v[146:147]
	ds_bpermute_b32 v146, v10, v138 offset:36
	ds_bpermute_b32 v147, v10, v139 offset:36
	v_add_f64 v[4:5], v[140:141], v[228:229]
	ds_bpermute_b32 v140, v10, v144 offset:36
	ds_bpermute_b32 v141, v10, v145 offset:36
	v_accvgpr_read_b32 v153, a21
	s_waitcnt lgkmcnt(2)
	v_add_f64 v[146:147], v[232:233], -v[146:147]
	v_mul_f64 v[146:147], v[230:231], v[146:147]
	v_accvgpr_read_b32 v152, a20
	s_waitcnt lgkmcnt(0)
	v_fmac_f64_e32 v[0:1], v[146:147], v[140:141]
	ds_bpermute_b32 v146, v10, v138 offset:40
	ds_bpermute_b32 v147, v10, v139 offset:40
	ds_bpermute_b32 v140, v10, v144 offset:40
	ds_bpermute_b32 v141, v10, v145 offset:40
	v_add_f64 v[4:5], v[4:5], v[230:231]
	v_add_f64 v[4:5], v[4:5], v[220:221]
	s_waitcnt lgkmcnt(2)
	v_add_f64 v[146:147], v[226:227], -v[146:147]
	v_mul_f64 v[146:147], v[220:221], v[146:147]
	s_waitcnt lgkmcnt(0)
	v_fmac_f64_e32 v[0:1], v[146:147], v[140:141]
	ds_bpermute_b32 v146, v10, v138 offset:44
	ds_bpermute_b32 v147, v10, v139 offset:44
	ds_bpermute_b32 v140, v10, v144 offset:44
	ds_bpermute_b32 v141, v10, v145 offset:44
	v_add_f64 v[4:5], v[4:5], v[222:223]
	v_add_f64 v[4:5], v[4:5], v[212:213]
	s_waitcnt lgkmcnt(2)
	v_add_f64 v[146:147], v[224:225], -v[146:147]
	v_mul_f64 v[146:147], v[222:223], v[146:147]
	;; [unrolled: 11-line block ×11, first 2 shown]
	s_waitcnt lgkmcnt(0)
	v_fmac_f64_e32 v[0:1], v[146:147], v[140:141]
	ds_bpermute_b32 v146, v10, v138 offset:84
	ds_bpermute_b32 v147, v10, v139 offset:84
	ds_bpermute_b32 v140, v10, v144 offset:84
	ds_bpermute_b32 v141, v10, v145 offset:84
	s_waitcnt lgkmcnt(2)
	v_add_f64 v[146:147], v[184:185], -v[146:147]
	v_mul_f64 v[146:147], v[182:183], v[146:147]
	s_waitcnt lgkmcnt(0)
	v_fmac_f64_e32 v[0:1], v[146:147], v[140:141]
	ds_bpermute_b32 v146, v10, v138 offset:88
	ds_bpermute_b32 v147, v10, v139 offset:88
	ds_bpermute_b32 v140, v10, v144 offset:88
	ds_bpermute_b32 v141, v10, v145 offset:88
	s_waitcnt lgkmcnt(2)
	v_add_f64 v[146:147], v[178:179], -v[146:147]
	v_mul_f64 v[146:147], v[172:173], v[146:147]
	;; [unrolled: 9-line block ×5, first 2 shown]
	s_waitcnt lgkmcnt(0)
	v_fmac_f64_e32 v[0:1], v[146:147], v[140:141]
	ds_bpermute_b32 v146, v10, v138 offset:104
	ds_bpermute_b32 v147, v10, v139 offset:104
	ds_bpermute_b32 v140, v10, v144 offset:104
	ds_bpermute_b32 v141, v10, v145 offset:104
	v_accvgpr_read_b32 v153, a19
	v_accvgpr_read_b32 v152, a18
	s_waitcnt lgkmcnt(2)
	v_add_f64 v[146:147], v[152:153], -v[146:147]
	v_mul_f64 v[146:147], v[156:157], v[146:147]
	s_waitcnt lgkmcnt(0)
	v_fmac_f64_e32 v[0:1], v[146:147], v[140:141]
	ds_bpermute_b32 v146, v10, v138 offset:108
	ds_bpermute_b32 v147, v10, v139 offset:108
	ds_bpermute_b32 v140, v10, v144 offset:108
	ds_bpermute_b32 v141, v10, v145 offset:108
	v_accvgpr_read_b32 v153, a17
	v_accvgpr_read_b32 v152, a16
	s_waitcnt lgkmcnt(2)
	v_add_f64 v[146:147], v[152:153], -v[146:147]
	v_mul_f64 v[146:147], v[158:159], v[146:147]
	;; [unrolled: 11-line block ×5, first 2 shown]
	s_waitcnt lgkmcnt(0)
	v_fmac_f64_e32 v[0:1], v[146:147], v[140:141]
	ds_bpermute_b32 v140, v10, v144 offset:124
	ds_bpermute_b32 v141, v10, v145 offset:124
	;; [unrolled: 1-line block ×4, first 2 shown]
	v_mov_b64_e32 v[138:139], v[0:1]
.LBB28_143:                             ;   in Loop: Header=BB28_3 Depth=1
	s_waitcnt vmcnt(0)
	v_accvgpr_read_b32 v0, a8
	v_accvgpr_read_b32 v1, a9
	s_waitcnt lgkmcnt(0)
	v_add_f64 v[0:1], v[0:1], -v[144:145]
	v_mul_f64 v[0:1], v[2:3], v[0:1]
	v_fmac_f64_e32 v[138:139], v[0:1], v[140:141]
	v_accvgpr_read_b32 v0, a6
	v_accvgpr_read_b32 v1, a7
	v_lshl_add_u64 v[0:1], v[0:1], 0, s[34:35]
	s_add_u32 s36, s36, s26
	v_accvgpr_write_b32 a7, v1
	s_addc_u32 s37, s37, 0
	v_accvgpr_write_b32 a6, v0
	v_mov_b64_e32 v[0:1], s[12:13]
	s_add_u32 s30, s30, s26
	v_cmp_lt_i64_e32 vcc, s[36:37], v[0:1]
	v_add_f64 v[140:141], v[4:5], v[2:3]
	v_lshl_add_u64 v[12:13], v[12:13], 0, s[34:35]
	v_lshl_add_u64 v[14:15], v[14:15], 0, s[34:35]
	;; [unrolled: 1-line block ×64, first 2 shown]
	s_addc_u32 s31, s31, 0
	s_cbranch_vccz .LBB28_146
; %bb.144:                              ;   in Loop: Header=BB28_3 Depth=1
	v_accvgpr_write_b32 a0, v140
	v_accvgpr_write_b32 a1, v141
	v_mov_b64_e32 v[0:1], v[138:139]
	s_branch .LBB28_3
.LBB28_145:
	s_mov_b64 s[24:25], -1
                                        ; implicit-def: $vgpr140_vgpr141
                                        ; implicit-def: $vgpr138_vgpr139
.LBB28_146:
	s_andn2_b64 vcc, exec, s[24:25]
	s_cbranch_vccnz .LBB28_228
; %bb.147:
	v_mov_b64_e32 v[140:141], 0
	s_and_b64 vcc, exec, s[4:5]
	v_mov_b64_e32 v[138:139], v[140:141]
	s_cbranch_vccnz .LBB28_228
; %bb.148:
	v_and_b32_e32 v0, 0x3ff, v11
	v_accvgpr_write_b32 a2, v0
	v_add_u32_e32 v0, s3, v0
	v_mov_b32_e32 v1, 0
	v_bfe_u32 v2, v11, 10, 10
	v_lshlrev_b64 v[8:9], 3, v[0:1]
	v_lshlrev_b32_e32 v0, 8, v2
	v_mov_b32_e32 v105, v1
	v_accvgpr_write_b32 a5, v1
	v_lshl_add_u64 v[0:1], s[10:11], 3, v[0:1]
	v_mov_b64_e32 v[6:7], s[16:17]
	v_lshl_add_u64 v[48:49], v[0:1], 0, 16
	v_lshl_add_u64 v[50:51], v[0:1], 0, 24
	;; [unrolled: 1-line block ×7, first 2 shown]
	v_mad_u64_u32 v[108:109], s[26:27], s14, v48, v[6:7]
	v_mad_u64_u32 v[142:143], s[26:27], s14, v50, v[6:7]
	;; [unrolled: 1-line block ×7, first 2 shown]
	s_mov_b64 s[26:27], 0x48
	s_nop 0
	v_lshl_add_u64 v[66:67], v[0:1], 0, s[26:27]
	v_mad_u64_u32 v[128:129], s[26:27], s14, v66, v[6:7]
	s_mov_b64 s[26:27], 0x50
	s_nop 0
	v_lshl_add_u64 v[60:61], v[0:1], 0, s[26:27]
	v_mad_u64_u32 v[130:131], s[26:27], s14, v60, v[6:7]
	;; [unrolled: 4-line block ×18, first 2 shown]
	s_mov_b64 s[26:27], 0xd8
	s_nop 0
	v_lshl_add_u64 v[14:15], v[0:1], 0, s[26:27]
	v_lshlrev_b32_e32 v104, 5, v2
	v_accvgpr_write_b32 a3, v2
	v_mad_u64_u32 v[2:3], s[26:27], s14, v14, v[6:7]
	v_mul_lo_u32 v98, s14, v15
	v_mul_lo_u32 v99, s15, v14
	v_add3_u32 v3, v99, v3, v98
	s_mov_b64 s[26:27], 0xe0
	v_accvgpr_write_b32 a33, v3
	v_lshl_add_u64 v[12:13], v[0:1], 0, s[26:27]
	v_accvgpr_write_b32 a32, v2
	v_mad_u64_u32 v[2:3], s[26:27], s14, v12, v[6:7]
	v_mul_lo_u32 v100, s14, v13
	v_mul_lo_u32 v101, s15, v12
	v_add3_u32 v3, v101, v3, v100
	s_mov_b64 s[26:27], 0xe8
	v_mov_b32_e32 v151, v11
	v_accvgpr_write_b32 a35, v3
	v_lshl_add_u64 v[10:11], v[0:1], 0, s[26:27]
	v_mul_lo_u32 v94, s14, v19
	v_accvgpr_write_b32 a34, v2
	v_mad_u64_u32 v[2:3], s[26:27], s14, v10, v[6:7]
	v_mul_lo_u32 v19, s14, v11
	v_mul_lo_u32 v102, s15, v10
	v_add3_u32 v3, v102, v3, v19
	s_mov_b64 s[26:27], 0xf0
	v_accvgpr_write_b32 a37, v3
	v_lshl_add_u64 v[4:5], v[0:1], 0, s[26:27]
	v_mul_lo_u32 v96, s14, v17
	v_accvgpr_write_b32 a36, v2
	v_mad_u64_u32 v[2:3], s[26:27], s14, v4, v[6:7]
	v_mul_lo_u32 v15, s14, v5
	v_mul_lo_u32 v17, s15, v4
	v_add3_u32 v3, v17, v3, v15
	v_accvgpr_write_b32 a39, v3
	s_mov_b64 s[26:27], 0xf8
	v_accvgpr_write_b32 a38, v2
	v_lshl_add_u64 v[2:3], v[0:1], 0, s[26:27]
	v_lshl_add_u64 v[40:41], v[0:1], 0, 8
	v_mad_u64_u32 v[0:1], s[26:27], s14, v2, v[6:7]
	v_mul_lo_u32 v11, s14, v3
	v_mul_lo_u32 v13, s15, v2
	v_add3_u32 v1, v13, v1, v11
	v_accvgpr_write_b32 a41, v1
	v_accvgpr_write_b32 a40, v0
	v_lshl_add_u64 v[0:1], v[104:105], 0, s[10:11]
	v_mad_u64_u32 v[106:107], s[24:25], s14, v40, v[6:7]
	v_mul_lo_u32 v3, s15, v0
	v_mul_lo_u32 v5, s14, v1
	v_mad_u64_u32 v[6:7], s[26:27], s14, v0, 0
	v_add3_u32 v7, v7, v5, v3
	v_lshlrev_b64 v[6:7], 3, v[6:7]
	v_lshl_add_u64 v[68:69], s[16:17], 0, v[6:7]
	v_accvgpr_write_b32 a42, v68
	v_accvgpr_write_b32 a43, v69
	v_mov_b64_e32 v[68:69], s[18:19]
	v_mul_lo_u32 v41, s14, v41
	v_mul_lo_u32 v70, s15, v40
	v_mad_u64_u32 v[120:121], s[26:27], s14, v40, v[68:69]
	v_add3_u32 v107, v70, v107, v41
	v_mul_lo_u32 v49, s14, v49
	v_mul_lo_u32 v71, s15, v48
	v_add3_u32 v121, v70, v121, v41
	v_mad_u64_u32 v[40:41], s[26:27], s14, v48, v[68:69]
	v_add3_u32 v41, v71, v41, v49
	v_accvgpr_write_b32 a47, v41
	v_mul_lo_u32 v51, s14, v51
	v_mul_lo_u32 v72, s15, v50
	v_accvgpr_write_b32 a46, v40
	v_mad_u64_u32 v[40:41], s[26:27], s14, v50, v[68:69]
	v_add3_u32 v41, v72, v41, v51
	v_accvgpr_write_b32 a49, v41
	v_mul_lo_u32 v53, s14, v53
	v_mul_lo_u32 v73, s15, v52
	v_accvgpr_write_b32 a48, v40
	;; [unrolled: 6-line block ×13, first 2 shown]
	v_mad_u64_u32 v[40:41], s[26:27], s14, v38, v[68:69]
	v_add3_u32 v157, v84, v157, v39
	v_mul_lo_u32 v37, s14, v37
	v_mul_lo_u32 v85, s15, v36
	v_add3_u32 v41, v84, v41, v39
	v_mad_u64_u32 v[38:39], s[26:27], s14, v36, v[68:69]
	v_add3_u32 v113, v85, v113, v37
	v_mul_lo_u32 v35, s14, v35
	v_mul_lo_u32 v86, s15, v34
	v_add3_u32 v39, v85, v39, v37
	;; [unrolled: 5-line block ×6, first 2 shown]
	v_mad_u64_u32 v[28:29], s[26:27], s14, v26, v[68:69]
	v_add3_u32 v133, v90, v133, v27
	v_mul_lo_u32 v25, s14, v25
	v_mul_lo_u32 v91, s15, v24
	v_accvgpr_write_b32 a44, v120
	v_add3_u32 v29, v90, v29, v27
	v_mad_u64_u32 v[26:27], s[26:27], s14, v24, v[68:69]
	v_add3_u32 v123, v75, v123, v59
	v_add3_u32 v163, v91, v163, v25
	v_mul_lo_u32 v23, s14, v23
	v_mul_lo_u32 v92, s15, v22
	;; [unrolled: 1-line block ×4, first 2 shown]
	v_accvgpr_write_b32 a45, v121
	v_add3_u32 v27, v91, v27, v25
	v_mad_u64_u32 v[24:25], s[26:27], s14, v22, v[68:69]
	v_mad_u64_u32 v[120:121], s[26:27], s14, v20, v[68:69]
	v_add3_u32 v125, v76, v125, v63
	v_add3_u32 v165, v92, v165, v23
	v_add3_u32 v119, v93, v119, v21
	v_mul_lo_u32 v95, s15, v18
	v_add3_u32 v25, v92, v25, v23
	v_add3_u32 v121, v93, v121, v21
	v_mov_b64_e32 v[92:93], v[122:123]
	v_mad_u64_u32 v[122:123], s[26:27], s14, v18, v[68:69]
	v_add3_u32 v127, v77, v127, v65
	v_add3_u32 v167, v95, v167, v94
	v_mul_lo_u32 v97, s15, v16
	v_add3_u32 v123, v95, v123, v94
	v_mov_b64_e32 v[94:95], v[124:125]
	v_mad_u64_u32 v[124:125], s[26:27], s14, v16, v[68:69]
	v_add3_u32 v129, v78, v129, v67
	v_add3_u32 v169, v97, v169, v96
	;; [unrolled: 1-line block ×3, first 2 shown]
	v_mov_b64_e32 v[96:97], v[126:127]
	v_mad_u64_u32 v[126:127], s[26:27], s14, v14, v[68:69]
	v_add3_u32 v131, v79, v131, v61
	v_add3_u32 v127, v99, v127, v98
	v_mov_b64_e32 v[98:99], v[128:129]
	v_mad_u64_u32 v[128:129], s[26:27], s14, v12, v[68:69]
	v_add3_u32 v129, v101, v129, v100
	v_mov_b64_e32 v[100:101], v[130:131]
	v_mad_u64_u32 v[130:131], s[26:27], s14, v10, v[68:69]
	v_lshl_add_u64 v[136:137], s[18:19], 0, v[6:7]
	v_lshl_add_u64 v[6:7], v[0:1], 0, 31
	v_add3_u32 v131, v102, v131, v19
	v_mov_b64_e32 v[102:103], v[132:133]
	v_mad_u64_u32 v[132:133], s[26:27], s14, v4, v[68:69]
	v_mad_u64_u32 v[134:135], s[26:27], s14, v2, v[68:69]
	v_mul_lo_u32 v2, s15, v6
	v_mul_lo_u32 v4, s14, v7
	v_mad_u64_u32 v[6:7], s[28:29], s14, v6, 0
	v_add3_u32 v7, v7, v4, v2
	v_lshlrev_b64 v[6:7], 3, v[6:7]
	v_add3_u32 v135, v13, v135, v11
	v_lshl_add_u64 v[10:11], s[16:17], 0, v[6:7]
	v_lshl_add_u64 v[6:7], s[18:19], 0, v[6:7]
	v_accvgpr_write_b32 a93, v7
	v_accvgpr_write_b32 a92, v6
	v_lshl_add_u64 v[6:7], v[0:1], 0, 30
	v_mul_lo_u32 v2, s15, v6
	v_mul_lo_u32 v4, s14, v7
	v_mad_u64_u32 v[6:7], s[28:29], s14, v6, 0
	v_add3_u32 v7, v7, v4, v2
	v_accvgpr_write_b32 a91, v11
	v_lshlrev_b64 v[6:7], 3, v[6:7]
	v_accvgpr_write_b32 a90, v10
	v_lshl_add_u64 v[10:11], s[16:17], 0, v[6:7]
	v_lshl_add_u64 v[6:7], s[18:19], 0, v[6:7]
	v_accvgpr_write_b32 a97, v7
	v_accvgpr_write_b32 a96, v6
	v_lshl_add_u64 v[6:7], v[0:1], 0, 29
	v_mul_lo_u32 v2, s15, v6
	v_mul_lo_u32 v4, s14, v7
	v_mad_u64_u32 v[6:7], s[28:29], s14, v6, 0
	v_add3_u32 v7, v7, v4, v2
	v_accvgpr_write_b32 a95, v11
	v_lshlrev_b64 v[6:7], 3, v[6:7]
	v_accvgpr_write_b32 a94, v10
	;; [unrolled: 12-line block ×7, first 2 shown]
	v_lshl_add_u64 v[10:11], s[16:17], 0, v[6:7]
	v_lshl_add_u64 v[6:7], s[18:19], 0, v[6:7]
	v_accvgpr_write_b32 a121, v7
	v_accvgpr_write_b32 a120, v6
	v_lshl_add_u64 v[6:7], v[0:1], 0, 23
	v_mul_lo_u32 v2, s15, v6
	v_mul_lo_u32 v4, s14, v7
	v_mad_u64_u32 v[6:7], s[28:29], s14, v6, 0
	v_add3_u32 v7, v7, v4, v2
	v_lshlrev_b64 v[6:7], 3, v[6:7]
	v_lshl_add_u64 v[170:171], s[16:17], 0, v[6:7]
	v_lshl_add_u64 v[172:173], s[18:19], 0, v[6:7]
	v_lshl_add_u64 v[6:7], v[0:1], 0, 22
	v_mul_lo_u32 v2, s15, v6
	v_mul_lo_u32 v4, s14, v7
	v_mad_u64_u32 v[6:7], s[28:29], s14, v6, 0
	v_add3_u32 v7, v7, v4, v2
	v_lshlrev_b64 v[6:7], 3, v[6:7]
	v_lshl_add_u64 v[174:175], s[16:17], 0, v[6:7]
	v_lshl_add_u64 v[176:177], s[18:19], 0, v[6:7]
	;; [unrolled: 8-line block ×15, first 2 shown]
	v_lshl_add_u64 v[6:7], v[0:1], 0, 8
	v_mul_lo_u32 v2, s15, v6
	v_mul_lo_u32 v4, s14, v7
	v_mad_u64_u32 v[6:7], s[28:29], s14, v6, 0
	v_add3_u32 v7, v7, v4, v2
	v_lshlrev_b64 v[6:7], 3, v[6:7]
	v_accvgpr_write_b32 a119, v11
	v_lshl_add_u64 v[230:231], s[16:17], 0, v[6:7]
	v_lshl_add_u64 v[232:233], s[18:19], 0, v[6:7]
	;; [unrolled: 1-line block ×3, first 2 shown]
	v_accvgpr_write_b32 a118, v10
	v_mul_lo_u32 v2, s15, v6
	v_mul_lo_u32 v4, s14, v7
	v_mad_u64_u32 v[6:7], s[28:29], s14, v6, 0
	v_lshl_add_u64 v[10:11], v[0:1], 0, 6
	v_add3_u32 v7, v7, v4, v2
	v_mul_lo_u32 v2, s15, v10
	v_mul_lo_u32 v4, s14, v11
	v_mad_u64_u32 v[10:11], s[28:29], s14, v10, 0
	v_lshl_add_u64 v[12:13], v[0:1], 0, 5
	v_add3_u32 v133, v17, v133, v15
	v_add3_u32 v11, v11, v4, v2
	v_mul_lo_u32 v2, s15, v12
	v_mul_lo_u32 v4, s14, v13
	v_mad_u64_u32 v[12:13], s[28:29], s14, v12, 0
	v_lshl_add_u64 v[14:15], v[0:1], 0, 4
	v_add3_u32 v13, v13, v4, v2
	v_mul_lo_u32 v2, s15, v14
	v_mul_lo_u32 v4, s14, v15
	v_mad_u64_u32 v[14:15], s[28:29], s14, v14, 0
	v_lshl_add_u64 v[16:17], v[0:1], 0, 3
	;; [unrolled: 5-line block ×3, first 2 shown]
	v_add3_u32 v17, v17, v4, v2
	v_mul_lo_u32 v1, s15, v18
	v_mul_lo_u32 v2, s14, v19
	v_mad_u64_u32 v[18:19], s[28:29], s14, v18, 0
	v_mov_b64_e32 v[20:21], s[14:15]
	v_add3_u32 v19, v19, v2, v1
	v_mad_u64_u32 v[0:1], s[28:29], s14, v0, v[20:21]
	v_add3_u32 v1, v3, v1, v5
	v_lshlrev_b64 v[2:3], 3, v[12:13]
	s_load_dword s3, s[0:1], 0x44
	v_lshl_add_u64 v[242:243], s[16:17], 0, v[2:3]
	v_lshl_add_u64 v[244:245], s[18:19], 0, v[2:3]
	v_lshlrev_b64 v[2:3], 3, v[14:15]
	v_lshl_add_u64 v[246:247], s[16:17], 0, v[2:3]
	v_lshl_add_u64 v[248:249], s[18:19], 0, v[2:3]
	v_lshlrev_b64 v[2:3], 3, v[16:17]
	;; [unrolled: 3-line block ×3, first 2 shown]
	v_lshlrev_b64 v[6:7], 3, v[6:7]
	v_lshl_add_u64 v[254:255], s[16:17], 0, v[2:3]
	v_lshl_add_u64 v[4:5], s[18:19], 0, v[2:3]
	v_lshlrev_b64 v[2:3], 3, v[0:1]
	s_add_u32 s6, s0, 64
	v_lshl_add_u64 v[234:235], s[16:17], 0, v[6:7]
	v_lshl_add_u64 v[236:237], s[18:19], 0, v[6:7]
	v_lshlrev_b64 v[6:7], 3, v[10:11]
	v_lshl_add_u64 v[0:1], s[16:17], 0, v[2:3]
	v_lshl_add_u64 v[10:11], s[18:19], 0, v[2:3]
	v_mbcnt_lo_u32_b32 v2, -1, 0
	s_addc_u32 s7, s1, 0
	s_waitcnt lgkmcnt(0)
	s_lshl_b32 s4, s3, 5
	v_mbcnt_hi_u32_b32 v2, -1, v2
	s_mul_i32 s3, s15, s4
	s_mul_hi_u32 s9, s14, s4
	v_lshlrev_b32_e32 v2, 2, v2
	s_add_i32 s25, s9, s3
	s_mul_i32 s24, s14, s4
	v_accvgpr_write_b32 a73, v41
	v_accvgpr_write_b32 a75, v39
	;; [unrolled: 1-line block ×9, first 2 shown]
	v_and_b32_e32 v150, 0x100, v2
	v_mov_b64_e32 v[2:3], 0
	s_mov_b32 s5, 0
	s_lshl_b64 s[24:25], s[24:25], 3
	v_add3_u32 v109, v71, v109, v49
	v_add3_u32 v143, v72, v143, v51
	;; [unrolled: 1-line block ×8, first 2 shown]
	v_accvgpr_write_b32 a72, v40
	v_accvgpr_write_b32 a74, v38
	;; [unrolled: 1-line block ×9, first 2 shown]
	s_mov_b64 s[26:27], 31
	v_lshl_add_u64 v[238:239], s[16:17], 0, v[6:7]
	v_lshl_add_u64 v[240:241], s[18:19], 0, v[6:7]
	s_mov_b64 s[16:17], s[10:11]
	v_mov_b64_e32 v[140:141], v[2:3]
.LBB28_149:                             ; =>This Inner Loop Header: Depth=1
	s_add_u32 s18, s10, s26
	s_addc_u32 s19, 0, s27
	v_mov_b64_e32 v[6:7], s[12:13]
	v_cmp_ge_i64_e32 vcc, s[18:19], v[6:7]
	v_accvgpr_write_b32 a6, v104
	v_accvgpr_write_b32 a7, v105
	v_lshl_add_u64 v[14:15], s[10:11], 0, v[104:105]
	s_cbranch_vccz .LBB28_219
; %bb.150:                              ;   in Loop: Header=BB28_149 Depth=1
	s_load_dword s3, s[6:7], 0xc
	v_accvgpr_read_b32 v6, a2
	v_accvgpr_read_b32 v7, a3
	v_mov_b64_e32 v[84:85], 0
	v_mov_b64_e32 v[18:19], v[84:85]
	s_waitcnt lgkmcnt(0)
	s_and_b32 s3, s3, 0xffff
	v_mad_u32_u24 v6, v7, s3, v6
	v_and_b32_e32 v6, 63, v6
	v_accvgpr_read_b32 v7, a5
	v_accvgpr_write_b32 a4, v6
	v_accvgpr_write_b32 a5, v7
	v_cmp_gt_u32_e32 vcc, 32, v6
	v_mov_b64_e32 v[16:17], v[84:85]
	s_and_saveexec_b64 s[18:19], vcc
	s_cbranch_execz .LBB28_154
; %bb.151:                              ;   in Loop: Header=BB28_149 Depth=1
	v_accvgpr_read_b32 v7, a5
	v_accvgpr_read_b32 v6, a4
	v_lshl_add_u64 v[6:7], v[14:15], 0, v[6:7]
	v_mov_b64_e32 v[16:17], 0
	v_cmp_gt_i64_e32 vcc, s[12:13], v[6:7]
	v_mov_b64_e32 v[18:19], v[16:17]
	s_and_saveexec_b64 s[28:29], vcc
	s_cbranch_execz .LBB28_153
; %bb.152:                              ;   in Loop: Header=BB28_149 Depth=1
	v_lshlrev_b64 v[6:7], 3, v[6:7]
	v_lshl_add_u64 v[12:13], s[22:23], 0, v[6:7]
	v_lshl_add_u64 v[6:7], s[20:21], 0, v[6:7]
	global_load_dwordx2 v[16:17], v[6:7], off
	global_load_dwordx2 v[18:19], v[12:13], off
.LBB28_153:                             ;   in Loop: Header=BB28_149 Depth=1
	s_or_b64 exec, exec, s[28:29]
.LBB28_154:                             ;   in Loop: Header=BB28_149 Depth=1
	s_or_b64 exec, exec, s[18:19]
	v_cmp_gt_i64_e32 vcc, s[12:13], v[14:15]
	v_mov_b64_e32 v[138:139], v[84:85]
	s_and_saveexec_b64 s[18:19], vcc
	s_cbranch_execz .LBB28_156
; %bb.155:                              ;   in Loop: Header=BB28_149 Depth=1
	v_accvgpr_read_b32 v6, a42
	v_accvgpr_read_b32 v7, a43
	v_lshl_add_u64 v[6:7], v[6:7], 0, v[8:9]
	global_load_dwordx2 v[84:85], v[6:7], off
	v_lshl_add_u64 v[6:7], v[136:137], 0, v[8:9]
	global_load_dwordx2 v[138:139], v[6:7], off
.LBB28_156:                             ;   in Loop: Header=BB28_149 Depth=1
	s_or_b64 exec, exec, s[18:19]
	v_lshl_add_u64 v[6:7], v[14:15], 0, 1
	v_mov_b64_e32 v[76:77], 0
	v_cmp_gt_i64_e32 vcc, s[12:13], v[6:7]
	v_mov_b64_e32 v[86:87], v[76:77]
	v_mov_b64_e32 v[88:89], v[76:77]
	s_and_saveexec_b64 s[18:19], vcc
	s_cbranch_execz .LBB28_158
; %bb.157:                              ;   in Loop: Header=BB28_149 Depth=1
	v_lshl_add_u64 v[6:7], v[0:1], 0, v[8:9]
	global_load_dwordx2 v[86:87], v[6:7], off
	v_lshl_add_u64 v[6:7], v[10:11], 0, v[8:9]
	global_load_dwordx2 v[88:89], v[6:7], off
.LBB28_158:                             ;   in Loop: Header=BB28_149 Depth=1
	s_or_b64 exec, exec, s[18:19]
	v_lshl_add_u64 v[6:7], v[14:15], 0, 2
	v_cmp_gt_i64_e32 vcc, s[12:13], v[6:7]
	v_mov_b64_e32 v[82:83], v[76:77]
	s_and_saveexec_b64 s[18:19], vcc
	s_cbranch_execz .LBB28_160
; %bb.159:                              ;   in Loop: Header=BB28_149 Depth=1
	v_lshl_add_u64 v[6:7], v[254:255], 0, v[8:9]
	global_load_dwordx2 v[76:77], v[6:7], off
	v_lshl_add_u64 v[6:7], v[4:5], 0, v[8:9]
	global_load_dwordx2 v[82:83], v[6:7], off
.LBB28_160:                             ;   in Loop: Header=BB28_149 Depth=1
	s_or_b64 exec, exec, s[18:19]
	v_lshl_add_u64 v[6:7], v[14:15], 0, 3
	v_cmp_gt_i64_e32 vcc, s[12:13], v[6:7]
	v_mov_b64_e32 v[6:7], 0
	v_mov_b64_e32 v[78:79], v[6:7]
	;; [unrolled: 1-line block ×3, first 2 shown]
	s_and_saveexec_b64 s[18:19], vcc
	s_cbranch_execz .LBB28_162
; %bb.161:                              ;   in Loop: Header=BB28_149 Depth=1
	v_lshl_add_u64 v[12:13], v[250:251], 0, v[8:9]
	global_load_dwordx2 v[78:79], v[12:13], off
	v_lshl_add_u64 v[12:13], v[252:253], 0, v[8:9]
	global_load_dwordx2 v[80:81], v[12:13], off
.LBB28_162:                             ;   in Loop: Header=BB28_149 Depth=1
	s_or_b64 exec, exec, s[18:19]
	v_lshl_add_u64 v[12:13], v[14:15], 0, 4
	v_cmp_gt_i64_e32 vcc, s[12:13], v[12:13]
	v_mov_b64_e32 v[72:73], v[6:7]
	s_and_saveexec_b64 s[18:19], vcc
	s_cbranch_execz .LBB28_164
; %bb.163:                              ;   in Loop: Header=BB28_149 Depth=1
	v_lshl_add_u64 v[6:7], v[246:247], 0, v[8:9]
	v_lshl_add_u64 v[12:13], v[248:249], 0, v[8:9]
	global_load_dwordx2 v[6:7], v[6:7], off
	s_nop 0
	global_load_dwordx2 v[72:73], v[12:13], off
.LBB28_164:                             ;   in Loop: Header=BB28_149 Depth=1
	s_or_b64 exec, exec, s[18:19]
	v_lshl_add_u64 v[12:13], v[14:15], 0, 5
	v_mov_b64_e32 v[68:69], 0
	v_cmp_gt_i64_e32 vcc, s[12:13], v[12:13]
	v_mov_b64_e32 v[30:31], v[68:69]
	v_mov_b64_e32 v[74:75], v[68:69]
	s_and_saveexec_b64 s[18:19], vcc
	s_cbranch_execz .LBB28_166
; %bb.165:                              ;   in Loop: Header=BB28_149 Depth=1
	v_lshl_add_u64 v[12:13], v[242:243], 0, v[8:9]
	global_load_dwordx2 v[30:31], v[12:13], off
	v_lshl_add_u64 v[12:13], v[244:245], 0, v[8:9]
	global_load_dwordx2 v[74:75], v[12:13], off
.LBB28_166:                             ;   in Loop: Header=BB28_149 Depth=1
	s_or_b64 exec, exec, s[18:19]
	v_lshl_add_u64 v[12:13], v[14:15], 0, 6
	v_cmp_gt_i64_e32 vcc, s[12:13], v[12:13]
	v_mov_b64_e32 v[70:71], v[68:69]
	s_and_saveexec_b64 s[18:19], vcc
	s_cbranch_execz .LBB28_168
; %bb.167:                              ;   in Loop: Header=BB28_149 Depth=1
	v_lshl_add_u64 v[12:13], v[238:239], 0, v[8:9]
	global_load_dwordx2 v[68:69], v[12:13], off
	v_lshl_add_u64 v[12:13], v[240:241], 0, v[8:9]
	global_load_dwordx2 v[70:71], v[12:13], off
.LBB28_168:                             ;   in Loop: Header=BB28_149 Depth=1
	s_or_b64 exec, exec, s[18:19]
	v_mov_b64_e32 v[64:65], 0
	v_lshl_add_u64 v[12:13], v[14:15], 0, 7
	v_accvgpr_write_b32 a147, v65
	v_cmp_gt_i64_e32 vcc, s[12:13], v[12:13]
	v_mov_b64_e32 v[26:27], v[64:65]
	v_accvgpr_write_b32 a146, v64
	s_and_saveexec_b64 s[18:19], vcc
	s_cbranch_execz .LBB28_170
; %bb.169:                              ;   in Loop: Header=BB28_149 Depth=1
	v_lshl_add_u64 v[12:13], v[234:235], 0, v[8:9]
	global_load_dwordx2 v[26:27], v[12:13], off
	v_lshl_add_u64 v[12:13], v[236:237], 0, v[8:9]
	global_load_dwordx2 a[146:147], v[12:13], off
.LBB28_170:                             ;   in Loop: Header=BB28_149 Depth=1
	s_or_b64 exec, exec, s[18:19]
	v_lshl_add_u64 v[12:13], v[14:15], 0, 8
	v_accvgpr_write_b32 a145, v65
	v_cmp_gt_i64_e32 vcc, s[12:13], v[12:13]
	v_accvgpr_write_b32 a144, v64
	s_and_saveexec_b64 s[18:19], vcc
	s_cbranch_execz .LBB28_172
; %bb.171:                              ;   in Loop: Header=BB28_149 Depth=1
	v_lshl_add_u64 v[12:13], v[230:231], 0, v[8:9]
	global_load_dwordx2 v[64:65], v[12:13], off
	v_lshl_add_u64 v[12:13], v[232:233], 0, v[8:9]
	global_load_dwordx2 a[144:145], v[12:13], off
.LBB28_172:                             ;   in Loop: Header=BB28_149 Depth=1
	s_or_b64 exec, exec, s[18:19]
	v_mov_b64_e32 v[60:61], 0
	v_lshl_add_u64 v[12:13], v[14:15], 0, 9
	v_accvgpr_write_b32 a143, v61
	v_cmp_gt_i64_e32 vcc, s[12:13], v[12:13]
	v_mov_b64_e32 v[66:67], v[60:61]
	v_accvgpr_write_b32 a142, v60
	s_and_saveexec_b64 s[18:19], vcc
	s_cbranch_execz .LBB28_174
; %bb.173:                              ;   in Loop: Header=BB28_149 Depth=1
	v_lshl_add_u64 v[12:13], v[226:227], 0, v[8:9]
	global_load_dwordx2 v[66:67], v[12:13], off
	v_lshl_add_u64 v[12:13], v[228:229], 0, v[8:9]
	global_load_dwordx2 a[142:143], v[12:13], off
.LBB28_174:                             ;   in Loop: Header=BB28_149 Depth=1
	s_or_b64 exec, exec, s[18:19]
	v_lshl_add_u64 v[12:13], v[14:15], 0, 10
	v_accvgpr_write_b32 a141, v61
	v_cmp_gt_i64_e32 vcc, s[12:13], v[12:13]
	v_accvgpr_write_b32 a140, v60
	;; [unrolled: 28-line block ×9, first 2 shown]
	s_and_saveexec_b64 s[18:19], vcc
	s_cbranch_execz .LBB28_204
; %bb.203:                              ;   in Loop: Header=BB28_149 Depth=1
	v_accvgpr_read_b32 v12, a118
	v_accvgpr_read_b32 v13, a119
	v_lshl_add_u64 v[12:13], v[12:13], 0, v[8:9]
	global_load_dwordx2 v[32:33], v[12:13], off
	v_accvgpr_read_b32 v12, a120
	v_accvgpr_read_b32 v13, a121
	v_lshl_add_u64 v[12:13], v[12:13], 0, v[8:9]
	global_load_dwordx2 a[22:23], v[12:13], off
.LBB28_204:                             ;   in Loop: Header=BB28_149 Depth=1
	s_or_b64 exec, exec, s[18:19]
	v_mov_b64_e32 v[28:29], 0
	v_lshl_add_u64 v[12:13], v[14:15], 0, 25
	v_accvgpr_write_b32 a20, v28
	v_cmp_gt_i64_e32 vcc, s[12:13], v[12:13]
	v_mov_b64_e32 v[34:35], v[28:29]
	v_accvgpr_write_b32 a21, v29
	s_and_saveexec_b64 s[18:19], vcc
	s_cbranch_execz .LBB28_206
; %bb.205:                              ;   in Loop: Header=BB28_149 Depth=1
	v_accvgpr_read_b32 v12, a114
	v_accvgpr_read_b32 v13, a115
	v_lshl_add_u64 v[12:13], v[12:13], 0, v[8:9]
	global_load_dwordx2 v[34:35], v[12:13], off
	v_accvgpr_read_b32 v12, a116
	v_accvgpr_read_b32 v13, a117
	v_lshl_add_u64 v[12:13], v[12:13], 0, v[8:9]
	global_load_dwordx2 a[20:21], v[12:13], off
.LBB28_206:                             ;   in Loop: Header=BB28_149 Depth=1
	s_or_b64 exec, exec, s[18:19]
	v_lshl_add_u64 v[12:13], v[14:15], 0, 26
	v_accvgpr_write_b32 a18, v28
	v_cmp_gt_i64_e32 vcc, s[12:13], v[12:13]
	v_accvgpr_write_b32 a19, v29
	s_and_saveexec_b64 s[18:19], vcc
	s_cbranch_execz .LBB28_208
; %bb.207:                              ;   in Loop: Header=BB28_149 Depth=1
	v_accvgpr_read_b32 v12, a110
	v_accvgpr_read_b32 v13, a111
	v_lshl_add_u64 v[12:13], v[12:13], 0, v[8:9]
	global_load_dwordx2 v[28:29], v[12:13], off
	v_accvgpr_read_b32 v12, a112
	v_accvgpr_read_b32 v13, a113
	v_lshl_add_u64 v[12:13], v[12:13], 0, v[8:9]
	global_load_dwordx2 a[18:19], v[12:13], off
.LBB28_208:                             ;   in Loop: Header=BB28_149 Depth=1
	s_or_b64 exec, exec, s[18:19]
	v_mov_b64_e32 v[24:25], 0
	v_lshl_add_u64 v[12:13], v[14:15], 0, 27
	v_accvgpr_write_b32 a14, v24
	v_accvgpr_write_b32 a16, v24
	v_cmp_gt_i64_e32 vcc, s[12:13], v[12:13]
	v_accvgpr_write_b32 a15, v25
	v_accvgpr_write_b32 a17, v25
	s_and_saveexec_b64 s[18:19], vcc
	s_cbranch_execz .LBB28_210
; %bb.209:                              ;   in Loop: Header=BB28_149 Depth=1
	v_accvgpr_read_b32 v12, a106
	v_accvgpr_read_b32 v13, a107
	v_lshl_add_u64 v[12:13], v[12:13], 0, v[8:9]
	global_load_dwordx2 a[14:15], v[12:13], off
	v_accvgpr_read_b32 v12, a108
	v_accvgpr_read_b32 v13, a109
	v_lshl_add_u64 v[12:13], v[12:13], 0, v[8:9]
	global_load_dwordx2 a[16:17], v[12:13], off
.LBB28_210:                             ;   in Loop: Header=BB28_149 Depth=1
	s_or_b64 exec, exec, s[18:19]
	v_lshl_add_u64 v[12:13], v[14:15], 0, 28
	v_accvgpr_write_b32 a12, v24
	v_cmp_gt_i64_e32 vcc, s[12:13], v[12:13]
	v_accvgpr_write_b32 a13, v25
	s_and_saveexec_b64 s[18:19], vcc
	s_cbranch_execz .LBB28_212
; %bb.211:                              ;   in Loop: Header=BB28_149 Depth=1
	v_accvgpr_read_b32 v12, a102
	v_accvgpr_read_b32 v13, a103
	v_lshl_add_u64 v[12:13], v[12:13], 0, v[8:9]
	global_load_dwordx2 v[24:25], v[12:13], off
	v_accvgpr_read_b32 v12, a104
	v_accvgpr_read_b32 v13, a105
	v_lshl_add_u64 v[12:13], v[12:13], 0, v[8:9]
	global_load_dwordx2 a[12:13], v[12:13], off
.LBB28_212:                             ;   in Loop: Header=BB28_149 Depth=1
	s_or_b64 exec, exec, s[18:19]
	v_lshl_add_u64 v[12:13], v[14:15], 0, 29
	v_mov_b64_e32 v[22:23], 0
	v_cmp_gt_i64_e32 vcc, s[12:13], v[12:13]
	v_mov_b64_e32 v[20:21], v[22:23]
	v_mov_b64_e32 v[90:91], v[22:23]
	s_and_saveexec_b64 s[18:19], vcc
	s_cbranch_execz .LBB28_214
; %bb.213:                              ;   in Loop: Header=BB28_149 Depth=1
	v_accvgpr_read_b32 v12, a98
	v_accvgpr_read_b32 v13, a99
	v_lshl_add_u64 v[12:13], v[12:13], 0, v[8:9]
	global_load_dwordx2 v[20:21], v[12:13], off
	v_accvgpr_read_b32 v12, a100
	v_accvgpr_read_b32 v13, a101
	v_lshl_add_u64 v[12:13], v[12:13], 0, v[8:9]
	global_load_dwordx2 v[90:91], v[12:13], off
.LBB28_214:                             ;   in Loop: Header=BB28_149 Depth=1
	s_or_b64 exec, exec, s[18:19]
	v_lshl_add_u64 v[12:13], v[14:15], 0, 30
	v_accvgpr_write_b32 a10, v22
	v_cmp_gt_i64_e32 vcc, s[12:13], v[12:13]
	v_accvgpr_write_b32 a11, v23
	s_and_saveexec_b64 s[18:19], vcc
	s_cbranch_execz .LBB28_216
; %bb.215:                              ;   in Loop: Header=BB28_149 Depth=1
	v_accvgpr_read_b32 v12, a94
	v_accvgpr_read_b32 v13, a95
	v_lshl_add_u64 v[12:13], v[12:13], 0, v[8:9]
	global_load_dwordx2 v[22:23], v[12:13], off
	v_accvgpr_read_b32 v12, a96
	v_accvgpr_read_b32 v13, a97
	v_lshl_add_u64 v[12:13], v[12:13], 0, v[8:9]
	global_load_dwordx2 a[10:11], v[12:13], off
.LBB28_216:                             ;   in Loop: Header=BB28_149 Depth=1
	s_or_b64 exec, exec, s[18:19]
	s_waitcnt vmcnt(1)
	v_accvgpr_write_b32 a0, v20
	s_waitcnt vmcnt(0)
	v_accvgpr_write_b32 a8, v90
	v_accvgpr_write_b32 a1, v21
	v_lshl_add_u64 v[12:13], v[14:15], 0, 31
	v_mov_b64_e32 v[20:21], 0
	v_accvgpr_write_b32 a9, v91
	v_cmp_gt_i64_e32 vcc, s[12:13], v[12:13]
	s_mov_b64 s[18:19], 0
	v_mov_b64_e32 v[104:105], v[20:21]
	s_and_saveexec_b64 s[28:29], vcc
	s_cbranch_execz .LBB28_218
; %bb.217:                              ;   in Loop: Header=BB28_149 Depth=1
	v_accvgpr_read_b32 v12, a90
	v_accvgpr_read_b32 v13, a91
	v_lshl_add_u64 v[12:13], v[12:13], 0, v[8:9]
	global_load_dwordx2 v[20:21], v[12:13], off
	v_accvgpr_read_b32 v12, a92
	v_accvgpr_read_b32 v13, a93
	v_lshl_add_u64 v[12:13], v[12:13], 0, v[8:9]
	global_load_dwordx2 v[104:105], v[12:13], off
.LBB28_218:                             ;   in Loop: Header=BB28_149 Depth=1
	s_or_b64 exec, exec, s[28:29]
	ds_bpermute_b32 v90, v150, v16
	ds_bpermute_b32 v91, v150, v17
	;; [unrolled: 1-line block ×4, first 2 shown]
	s_waitcnt lgkmcnt(2)
	v_add_f64 v[90:91], v[138:139], -v[90:91]
	v_mul_f64 v[90:91], v[84:85], v[90:91]
	s_waitcnt lgkmcnt(0)
	v_fma_f64 v[138:139], v[90:91], v[12:13], v[2:3]
	ds_bpermute_b32 v90, v150, v16 offset:4
	ds_bpermute_b32 v91, v150, v17 offset:4
	v_add_f64 v[12:13], v[140:141], v[84:85]
	ds_bpermute_b32 v84, v150, v18 offset:4
	ds_bpermute_b32 v85, v150, v19 offset:4
	v_add_f64 v[12:13], v[12:13], v[86:87]
	s_waitcnt lgkmcnt(2)
	v_add_f64 v[88:89], v[88:89], -v[90:91]
	v_mul_f64 v[88:89], v[86:87], v[88:89]
	ds_bpermute_b32 v86, v150, v16 offset:8
	ds_bpermute_b32 v87, v150, v17 offset:8
	s_waitcnt lgkmcnt(2)
	v_fmac_f64_e32 v[138:139], v[88:89], v[84:85]
	ds_bpermute_b32 v84, v150, v18 offset:8
	ds_bpermute_b32 v85, v150, v19 offset:8
	v_add_f64 v[12:13], v[12:13], v[76:77]
	s_waitcnt lgkmcnt(2)
	v_add_f64 v[82:83], v[82:83], -v[86:87]
	v_mul_f64 v[82:83], v[76:77], v[82:83]
	ds_bpermute_b32 v76, v150, v18 offset:12
	s_waitcnt lgkmcnt(1)
	v_fmac_f64_e32 v[138:139], v[82:83], v[84:85]
	ds_bpermute_b32 v82, v150, v16 offset:12
	ds_bpermute_b32 v83, v150, v17 offset:12
	;; [unrolled: 1-line block ×3, first 2 shown]
	v_add_f64 v[12:13], v[12:13], v[78:79]
	s_waitcnt lgkmcnt(1)
	v_add_f64 v[80:81], v[80:81], -v[82:83]
	v_mul_f64 v[80:81], v[78:79], v[80:81]
	ds_bpermute_b32 v78, v150, v16 offset:16
	ds_bpermute_b32 v79, v150, v17 offset:16
	s_waitcnt lgkmcnt(2)
	v_fmac_f64_e32 v[138:139], v[80:81], v[76:77]
	ds_bpermute_b32 v76, v150, v18 offset:16
	ds_bpermute_b32 v77, v150, v19 offset:16
	s_waitcnt lgkmcnt(2)
	v_add_f64 v[72:73], v[72:73], -v[78:79]
	v_mul_f64 v[72:73], v[6:7], v[72:73]
	v_add_f64 v[6:7], v[12:13], v[6:7]
	s_waitcnt lgkmcnt(0)
	v_fmac_f64_e32 v[138:139], v[72:73], v[76:77]
	ds_bpermute_b32 v72, v150, v16 offset:20
	ds_bpermute_b32 v73, v150, v17 offset:20
	;; [unrolled: 1-line block ×4, first 2 shown]
	v_add_f64 v[6:7], v[6:7], v[30:31]
	v_add_f64 v[6:7], v[6:7], v[68:69]
	s_waitcnt lgkmcnt(2)
	v_add_f64 v[72:73], v[74:75], -v[72:73]
	v_mul_f64 v[72:73], v[30:31], v[72:73]
	ds_bpermute_b32 v30, v150, v16 offset:24
	ds_bpermute_b32 v31, v150, v17 offset:24
	s_waitcnt lgkmcnt(2)
	v_fmac_f64_e32 v[138:139], v[72:73], v[12:13]
	ds_bpermute_b32 v12, v150, v18 offset:24
	ds_bpermute_b32 v13, v150, v19 offset:24
	v_add_f64 v[6:7], v[6:7], v[26:27]
	s_waitcnt lgkmcnt(2)
	v_add_f64 v[30:31], v[70:71], -v[30:31]
	v_mul_f64 v[30:31], v[68:69], v[30:31]
	v_accvgpr_read_b32 v68, a146
	s_waitcnt lgkmcnt(0)
	v_fmac_f64_e32 v[138:139], v[30:31], v[12:13]
	ds_bpermute_b32 v30, v150, v16 offset:28
	ds_bpermute_b32 v31, v150, v17 offset:28
	;; [unrolled: 1-line block ×4, first 2 shown]
	v_accvgpr_read_b32 v69, a147
	v_add_f64 v[6:7], v[6:7], v[64:65]
	s_waitcnt lgkmcnt(2)
	v_add_f64 v[30:31], v[68:69], -v[30:31]
	v_mul_f64 v[30:31], v[26:27], v[30:31]
	ds_bpermute_b32 v26, v150, v16 offset:32
	ds_bpermute_b32 v27, v150, v17 offset:32
	s_waitcnt lgkmcnt(2)
	v_fmac_f64_e32 v[138:139], v[30:31], v[12:13]
	ds_bpermute_b32 v12, v150, v18 offset:32
	ds_bpermute_b32 v13, v150, v19 offset:32
	v_accvgpr_read_b32 v30, a144
	v_accvgpr_read_b32 v31, a145
	s_waitcnt lgkmcnt(2)
	v_add_f64 v[26:27], v[30:31], -v[26:27]
	v_mul_f64 v[26:27], v[64:65], v[26:27]
	s_waitcnt lgkmcnt(0)
	v_fmac_f64_e32 v[138:139], v[26:27], v[12:13]
	ds_bpermute_b32 v26, v150, v16 offset:36
	ds_bpermute_b32 v27, v150, v17 offset:36
	ds_bpermute_b32 v12, v150, v18 offset:36
	ds_bpermute_b32 v13, v150, v19 offset:36
	v_accvgpr_read_b32 v30, a142
	v_accvgpr_read_b32 v31, a143
	s_waitcnt lgkmcnt(2)
	v_add_f64 v[26:27], v[30:31], -v[26:27]
	v_mul_f64 v[26:27], v[66:67], v[26:27]
	s_waitcnt lgkmcnt(0)
	v_fmac_f64_e32 v[138:139], v[26:27], v[12:13]
	ds_bpermute_b32 v26, v150, v16 offset:40
	ds_bpermute_b32 v27, v150, v17 offset:40
	;; [unrolled: 11-line block ×16, first 2 shown]
	ds_bpermute_b32 v12, v150, v18 offset:96
	ds_bpermute_b32 v13, v150, v19 offset:96
	v_accvgpr_read_b32 v31, a23
	v_accvgpr_read_b32 v30, a22
	s_waitcnt lgkmcnt(2)
	v_add_f64 v[26:27], v[30:31], -v[26:27]
	v_mul_f64 v[26:27], v[32:33], v[26:27]
	v_add_f64 v[6:7], v[6:7], v[66:67]
	s_waitcnt lgkmcnt(0)
	v_fmac_f64_e32 v[138:139], v[26:27], v[12:13]
	ds_bpermute_b32 v26, v150, v16 offset:100
	ds_bpermute_b32 v27, v150, v17 offset:100
	v_add_f64 v[6:7], v[6:7], v[60:61]
	v_add_f64 v[6:7], v[6:7], v[62:63]
	ds_bpermute_b32 v12, v150, v18 offset:100
	ds_bpermute_b32 v13, v150, v19 offset:100
	v_add_f64 v[6:7], v[6:7], v[56:57]
	v_accvgpr_read_b32 v31, a21
	v_add_f64 v[6:7], v[6:7], v[58:59]
	v_accvgpr_read_b32 v30, a20
	v_add_f64 v[6:7], v[6:7], v[52:53]
	s_waitcnt lgkmcnt(2)
	v_add_f64 v[26:27], v[30:31], -v[26:27]
	v_add_f64 v[6:7], v[6:7], v[54:55]
	v_mul_f64 v[26:27], v[34:35], v[26:27]
	v_add_f64 v[6:7], v[6:7], v[48:49]
	s_waitcnt lgkmcnt(0)
	v_fmac_f64_e32 v[138:139], v[26:27], v[12:13]
	ds_bpermute_b32 v26, v150, v16 offset:104
	ds_bpermute_b32 v27, v150, v17 offset:104
	v_add_f64 v[6:7], v[6:7], v[50:51]
	v_add_f64 v[6:7], v[6:7], v[44:45]
	ds_bpermute_b32 v12, v150, v18 offset:104
	ds_bpermute_b32 v13, v150, v19 offset:104
	v_add_f64 v[6:7], v[6:7], v[46:47]
	v_accvgpr_read_b32 v31, a19
	v_add_f64 v[6:7], v[6:7], v[40:41]
	v_accvgpr_read_b32 v30, a18
	v_add_f64 v[6:7], v[6:7], v[42:43]
	s_waitcnt lgkmcnt(2)
	v_add_f64 v[26:27], v[30:31], -v[26:27]
	v_add_f64 v[6:7], v[6:7], v[36:37]
	v_mul_f64 v[26:27], v[28:29], v[26:27]
	v_add_f64 v[6:7], v[6:7], v[38:39]
	s_waitcnt lgkmcnt(0)
	v_fmac_f64_e32 v[138:139], v[26:27], v[12:13]
	ds_bpermute_b32 v26, v150, v16 offset:108
	ds_bpermute_b32 v27, v150, v17 offset:108
	v_add_f64 v[6:7], v[6:7], v[32:33]
	v_add_f64 v[6:7], v[6:7], v[34:35]
	;; [unrolled: 1-line block ×3, first 2 shown]
	ds_bpermute_b32 v12, v150, v18 offset:108
	ds_bpermute_b32 v13, v150, v19 offset:108
	v_accvgpr_read_b32 v29, a17
	v_accvgpr_read_b32 v28, a16
	s_waitcnt lgkmcnt(2)
	v_add_f64 v[26:27], v[28:29], -v[26:27]
	v_accvgpr_read_b32 v29, a15
	v_accvgpr_read_b32 v28, a14
	v_mul_f64 v[26:27], v[28:29], v[26:27]
	s_waitcnt lgkmcnt(0)
	v_fmac_f64_e32 v[138:139], v[26:27], v[12:13]
	ds_bpermute_b32 v26, v150, v16 offset:112
	ds_bpermute_b32 v27, v150, v17 offset:112
	v_add_f64 v[6:7], v[6:7], v[28:29]
	v_accvgpr_read_b32 v29, a13
	ds_bpermute_b32 v12, v150, v18 offset:112
	ds_bpermute_b32 v13, v150, v19 offset:112
	v_accvgpr_read_b32 v28, a12
	s_waitcnt lgkmcnt(2)
	v_add_f64 v[26:27], v[28:29], -v[26:27]
	v_mul_f64 v[26:27], v[24:25], v[26:27]
	v_add_f64 v[6:7], v[6:7], v[24:25]
	ds_bpermute_b32 v24, v150, v16 offset:116
	ds_bpermute_b32 v25, v150, v17 offset:116
	s_waitcnt lgkmcnt(2)
	v_fmac_f64_e32 v[138:139], v[26:27], v[12:13]
	ds_bpermute_b32 v12, v150, v18 offset:116
	ds_bpermute_b32 v13, v150, v19 offset:116
	v_accvgpr_read_b32 v27, a9
	v_accvgpr_read_b32 v26, a8
	s_waitcnt lgkmcnt(2)
	v_add_f64 v[24:25], v[26:27], -v[24:25]
	v_accvgpr_read_b32 v27, a1
	v_accvgpr_read_b32 v26, a0
	v_mul_f64 v[24:25], v[26:27], v[24:25]
	s_waitcnt lgkmcnt(0)
	v_fmac_f64_e32 v[138:139], v[24:25], v[12:13]
	ds_bpermute_b32 v24, v150, v16 offset:120
	ds_bpermute_b32 v25, v150, v17 offset:120
	;; [unrolled: 1-line block ×4, first 2 shown]
	v_add_f64 v[6:7], v[6:7], v[26:27]
	v_accvgpr_read_b32 v27, a11
	v_accvgpr_read_b32 v26, a10
	s_waitcnt lgkmcnt(2)
	v_add_f64 v[24:25], v[26:27], -v[24:25]
	v_mul_f64 v[24:25], v[22:23], v[24:25]
	s_waitcnt lgkmcnt(0)
	v_fmac_f64_e32 v[138:139], v[24:25], v[12:13]
	ds_bpermute_b32 v12, v150, v18 offset:124
	ds_bpermute_b32 v13, v150, v19 offset:124
	;; [unrolled: 1-line block ×4, first 2 shown]
	v_add_f64 v[6:7], v[6:7], v[22:23]
	s_and_b64 vcc, exec, s[18:19]
	s_cbranch_vccnz .LBB28_220
	s_branch .LBB28_225
.LBB28_219:                             ;   in Loop: Header=BB28_149 Depth=1
                                        ; implicit-def: $vgpr12_vgpr13
                                        ; implicit-def: $vgpr20_vgpr21
                                        ; implicit-def: $vgpr104_vgpr105
                                        ; implicit-def: $vgpr16
                                        ; implicit-def: $vgpr6_vgpr7
                                        ; implicit-def: $vgpr138_vgpr139
	s_cbranch_execz .LBB28_225
.LBB28_220:                             ;   in Loop: Header=BB28_149 Depth=1
	s_load_dword s3, s[6:7], 0x0
	s_waitcnt lgkmcnt(0)
	v_accvgpr_read_b32 v13, a5
	v_accvgpr_read_b32 v7, a2
	v_accvgpr_read_b32 v12, a3
	v_accvgpr_write_b32 a0, v140
	s_cmp_lt_u32 s2, s3
	s_cselect_b32 s3, 12, 18
	s_add_u32 s18, s6, s3
	s_addc_u32 s19, s7, 0
	global_load_ushort v6, v13, s[18:19]
	v_mov_b64_e32 v[16:17], 0
	v_mov_b64_e32 v[78:79], v[166:167]
	;; [unrolled: 1-line block ×5, first 2 shown]
	v_accvgpr_write_b32 a1, v141
	s_waitcnt vmcnt(0)
	v_mad_u32_u24 v6, v12, v6, v7
	v_and_b32_e32 v12, 63, v6
	v_accvgpr_write_b32 a4, v12
	v_accvgpr_write_b32 a5, v13
	v_cmp_gt_u32_e32 vcc, 32, v12
	v_mov_b64_e32 v[6:7], v[16:17]
	s_and_saveexec_b64 s[18:19], vcc
	s_cbranch_execz .LBB28_224
; %bb.221:                              ;   in Loop: Header=BB28_149 Depth=1
	v_accvgpr_read_b32 v7, a5
	v_accvgpr_read_b32 v6, a4
	v_lshl_add_u64 v[12:13], v[14:15], 0, v[6:7]
	v_mov_b64_e32 v[6:7], 0
	v_cmp_gt_i64_e32 vcc, s[12:13], v[12:13]
	v_mov_b64_e32 v[16:17], v[6:7]
	s_and_saveexec_b64 s[28:29], vcc
	s_cbranch_execz .LBB28_223
; %bb.222:                              ;   in Loop: Header=BB28_149 Depth=1
	v_lshlrev_b64 v[6:7], 3, v[12:13]
	v_lshl_add_u64 v[12:13], s[22:23], 0, v[6:7]
	v_lshl_add_u64 v[6:7], s[20:21], 0, v[6:7]
	global_load_dwordx2 v[6:7], v[6:7], off
	s_nop 0
	global_load_dwordx2 v[16:17], v[12:13], off
.LBB28_223:                             ;   in Loop: Header=BB28_149 Depth=1
	s_or_b64 exec, exec, s[28:29]
.LBB28_224:                             ;   in Loop: Header=BB28_149 Depth=1
	s_or_b64 exec, exec, s[18:19]
	v_accvgpr_read_b32 v12, a42
	v_accvgpr_read_b32 v13, a43
	v_lshl_add_u64 v[12:13], v[12:13], 0, v[8:9]
	global_load_dwordx2 v[20:21], v[12:13], off
	v_lshl_add_u64 v[12:13], v[136:137], 0, v[8:9]
	global_load_dwordx2 v[34:35], v[12:13], off
	;; [unrolled: 2-line block ×3, first 2 shown]
	v_accvgpr_read_b32 v12, a44
	v_accvgpr_read_b32 v13, a45
	v_lshl_add_u64 v[12:13], v[12:13], 0, v[8:9]
	global_load_dwordx2 v[46:47], v[12:13], off
	v_lshl_add_u64 v[12:13], v[108:109], 0, v[8:9]
	global_load_dwordx2 v[144:145], v[12:13], off
	v_accvgpr_read_b32 v12, a46
	v_accvgpr_read_b32 v13, a47
	v_lshl_add_u64 v[12:13], v[12:13], 0, v[8:9]
	global_load_dwordx2 v[48:49], v[12:13], off
	v_lshl_add_u64 v[12:13], v[142:143], 0, v[8:9]
	global_load_dwordx2 v[104:105], v[12:13], off
	v_accvgpr_read_b32 v12, a48
	v_accvgpr_read_b32 v13, a49
	v_lshl_add_u64 v[12:13], v[12:13], 0, v[8:9]
	global_load_dwordx2 v[54:55], v[12:13], off
	v_lshl_add_u64 v[12:13], v[146:147], 0, v[8:9]
	v_accvgpr_write_b32 a8, v106
	v_accvgpr_write_b32 a9, v107
	global_load_dwordx2 v[106:107], v[12:13], off
	v_accvgpr_read_b32 v12, a50
	v_accvgpr_read_b32 v13, a51
	v_lshl_add_u64 v[12:13], v[12:13], 0, v[8:9]
	global_load_dwordx2 v[60:61], v[12:13], off
	v_lshl_add_u64 v[12:13], v[148:149], 0, v[8:9]
	v_accvgpr_write_b32 a14, v146
	v_accvgpr_write_b32 a15, v147
	;; [unrolled: 8-line block ×3, first 2 shown]
	global_load_dwordx2 v[148:149], v[12:13], off
	v_accvgpr_read_b32 v12, a54
	v_accvgpr_read_b32 v13, a55
	v_lshl_add_u64 v[12:13], v[12:13], 0, v[8:9]
	global_load_dwordx2 v[76:77], v[12:13], off
	v_lshl_add_u64 v[12:13], v[94:95], 0, v[8:9]
	global_load_dwordx2 v[102:103], v[12:13], off
	v_accvgpr_read_b32 v12, a56
	v_accvgpr_read_b32 v13, a57
	v_lshl_add_u64 v[12:13], v[12:13], 0, v[8:9]
	v_accvgpr_write_b32 a10, v108
	v_accvgpr_read_b32 v14, a58
	v_accvgpr_write_b32 a11, v109
	global_load_dwordx2 v[108:109], v[12:13], off
	v_accvgpr_read_b32 v15, a59
	v_lshl_add_u64 v[14:15], v[14:15], 0, v[8:9]
	v_accvgpr_write_b32 a12, v142
	v_accvgpr_write_b32 a13, v143
	global_load_dwordx2 v[142:143], v[14:15], off
	v_lshl_add_u64 v[14:15], v[98:99], 0, v[8:9]
	v_accvgpr_write_b32 a24, v98
	v_accvgpr_write_b32 a25, v99
	global_load_dwordx2 v[98:99], v[14:15], off
	v_accvgpr_read_b32 v14, a60
	v_accvgpr_read_b32 v15, a61
	v_lshl_add_u64 v[14:15], v[14:15], 0, v[8:9]
	global_load_dwordx2 v[140:141], v[14:15], off
	v_lshl_add_u64 v[14:15], v[100:101], 0, v[8:9]
	v_accvgpr_write_b32 a20, v94
	v_lshl_add_u64 v[12:13], v[96:97], 0, v[8:9]
	v_accvgpr_write_b32 a21, v95
	global_load_dwordx2 v[94:95], v[14:15], off
	v_accvgpr_read_b32 v14, a62
	global_load_dwordx2 v[12:13], v[12:13], off
	v_accvgpr_read_b32 v15, a63
	v_lshl_add_u64 v[14:15], v[14:15], 0, v[8:9]
	v_accvgpr_write_b32 a26, v100
	v_accvgpr_write_b32 a27, v101
	global_load_dwordx2 v[100:101], v[14:15], off
	v_lshl_add_u64 v[14:15], v[114:115], 0, v[8:9]
	global_load_dwordx2 v[90:91], v[14:15], off
	v_accvgpr_read_b32 v14, a64
	v_accvgpr_read_b32 v15, a65
	v_lshl_add_u64 v[14:15], v[14:15], 0, v[8:9]
	v_accvgpr_write_b32 a22, v96
	v_accvgpr_write_b32 a23, v97
	global_load_dwordx2 v[96:97], v[14:15], off
	v_lshl_add_u64 v[14:15], v[152:153], 0, v[8:9]
	global_load_dwordx2 v[88:89], v[14:15], off
	v_accvgpr_read_b32 v14, a66
	v_accvgpr_read_b32 v15, a67
	v_lshl_add_u64 v[14:15], v[14:15], 0, v[8:9]
	v_accvgpr_write_b32 a18, v92
	v_accvgpr_write_b32 a19, v93
	global_load_dwordx2 v[92:93], v[14:15], off
	v_lshl_add_u64 v[14:15], v[110:111], 0, v[8:9]
	global_load_dwordx2 v[84:85], v[14:15], off
	v_accvgpr_read_b32 v14, a68
	s_waitcnt vmcnt(28)
	ds_bpermute_b32 v40, v150, v6
	ds_bpermute_b32 v41, v150, v7
	v_accvgpr_read_b32 v15, a69
	v_lshl_add_u64 v[14:15], v[14:15], 0, v[8:9]
	s_waitcnt vmcnt(27)
	ds_bpermute_b32 v70, v150, v16
	ds_bpermute_b32 v71, v150, v17
	global_load_dwordx2 v[138:139], v[14:15], off
	v_lshl_add_u64 v[14:15], v[154:155], 0, v[8:9]
	global_load_dwordx2 v[80:81], v[14:15], off
	v_accvgpr_read_b32 v14, a70
	v_accvgpr_read_b32 v15, a71
	s_waitcnt vmcnt(27) lgkmcnt(2)
	v_add_f64 v[34:35], v[34:35], -v[40:41]
	v_lshl_add_u64 v[14:15], v[14:15], 0, v[8:9]
	v_mul_f64 v[34:35], v[20:21], v[34:35]
	global_load_dwordx2 v[86:87], v[14:15], off
	v_lshl_add_u64 v[14:15], v[156:157], 0, v[8:9]
	s_waitcnt lgkmcnt(0)
	v_fmac_f64_e32 v[2:3], v[34:35], v[70:71]
	ds_bpermute_b32 v34, v150, v6 offset:4
	ds_bpermute_b32 v35, v150, v7 offset:4
	global_load_dwordx2 v[72:73], v[14:15], off
	v_accvgpr_read_b32 v14, a72
	v_accvgpr_read_b32 v15, a73
	ds_bpermute_b32 v70, v150, v16 offset:4
	ds_bpermute_b32 v71, v150, v17 offset:4
	v_lshl_add_u64 v[14:15], v[14:15], 0, v[8:9]
	global_load_dwordx2 v[82:83], v[14:15], off
	v_lshl_add_u64 v[14:15], v[112:113], 0, v[8:9]
	global_load_dwordx2 v[62:63], v[14:15], off
	v_accvgpr_read_b32 v14, a74
	s_waitcnt vmcnt(29) lgkmcnt(2)
	v_add_f64 v[34:35], v[46:47], -v[34:35]
	ds_bpermute_b32 v46, v150, v6 offset:8
	ds_bpermute_b32 v47, v150, v7 offset:8
	v_accvgpr_read_b32 v15, a75
	v_mul_f64 v[34:35], v[68:69], v[34:35]
	v_lshl_add_u64 v[14:15], v[14:15], 0, v[8:9]
	s_waitcnt lgkmcnt(2)
	v_fmac_f64_e32 v[2:3], v[34:35], v[70:71]
	ds_bpermute_b32 v70, v150, v16 offset:8
	ds_bpermute_b32 v71, v150, v17 offset:8
	global_load_dwordx2 v[74:75], v[14:15], off
	v_lshl_add_u64 v[14:15], v[158:159], 0, v[8:9]
	global_load_dwordx2 v[56:57], v[14:15], off
	v_accvgpr_read_b32 v14, a76
	v_accvgpr_read_b32 v15, a77
	s_waitcnt vmcnt(29) lgkmcnt(2)
	v_add_f64 v[46:47], v[48:49], -v[46:47]
	v_lshl_add_u64 v[14:15], v[14:15], 0, v[8:9]
	v_mul_f64 v[46:47], v[144:145], v[46:47]
	global_load_dwordx2 v[66:67], v[14:15], off
	v_lshl_add_u64 v[14:15], v[160:161], 0, v[8:9]
	s_waitcnt lgkmcnt(0)
	v_fmac_f64_e32 v[2:3], v[46:47], v[70:71]
	ds_bpermute_b32 v46, v150, v6 offset:12
	ds_bpermute_b32 v47, v150, v7 offset:12
	global_load_dwordx2 v[50:51], v[14:15], off
	v_accvgpr_read_b32 v14, a78
	v_accvgpr_read_b32 v15, a79
	ds_bpermute_b32 v70, v150, v16 offset:12
	ds_bpermute_b32 v71, v150, v17 offset:12
	v_lshl_add_u64 v[14:15], v[14:15], 0, v[8:9]
	global_load_dwordx2 v[58:59], v[14:15], off
	v_lshl_add_u64 v[14:15], v[26:27], 0, v[8:9]
	global_load_dwordx2 v[42:43], v[14:15], off
	v_accvgpr_read_b32 v14, a80
	s_waitcnt vmcnt(31) lgkmcnt(2)
	v_add_f64 v[46:47], v[54:55], -v[46:47]
	ds_bpermute_b32 v54, v150, v6 offset:16
	ds_bpermute_b32 v55, v150, v7 offset:16
	v_accvgpr_read_b32 v15, a81
	v_mul_f64 v[46:47], v[104:105], v[46:47]
	v_lshl_add_u64 v[14:15], v[14:15], 0, v[8:9]
	s_waitcnt lgkmcnt(2)
	v_fmac_f64_e32 v[2:3], v[46:47], v[70:71]
	ds_bpermute_b32 v70, v150, v16 offset:16
	ds_bpermute_b32 v71, v150, v17 offset:16
	global_load_dwordx2 v[52:53], v[14:15], off
	v_lshl_add_u64 v[14:15], v[116:117], 0, v[8:9]
	global_load_dwordx2 v[36:37], v[14:15], off
	v_accvgpr_read_b32 v14, a82
	v_accvgpr_read_b32 v15, a83
	s_waitcnt vmcnt(31) lgkmcnt(2)
	v_add_f64 v[54:55], v[60:61], -v[54:55]
	v_lshl_add_u64 v[14:15], v[14:15], 0, v[8:9]
	v_mul_f64 v[54:55], v[106:107], v[54:55]
	global_load_dwordx2 v[44:45], v[14:15], off
	v_lshl_add_u64 v[14:15], v[166:167], 0, v[8:9]
	s_waitcnt lgkmcnt(0)
	v_fmac_f64_e32 v[2:3], v[54:55], v[70:71]
	ds_bpermute_b32 v54, v150, v6 offset:20
	ds_bpermute_b32 v55, v150, v7 offset:20
	global_load_dwordx2 v[30:31], v[14:15], off
	v_accvgpr_read_b32 v14, a84
	v_lshl_add_u64 v[60:61], v[126:127], 0, v[8:9]
	v_accvgpr_read_b32 v15, a85
	global_load_dwordx2 v[70:71], v[60:61], off
	ds_bpermute_b32 v60, v150, v16 offset:20
	ds_bpermute_b32 v61, v150, v17 offset:20
	v_lshl_add_u64 v[14:15], v[14:15], 0, v[8:9]
	global_load_dwordx2 v[38:39], v[14:15], off
	v_lshl_add_u64 v[14:15], v[162:163], 0, v[8:9]
	v_accvgpr_write_b32 a28, v116
	v_accvgpr_write_b32 a29, v117
	global_load_dwordx2 v[116:117], v[14:15], off
	v_accvgpr_read_b32 v14, a86
	s_waitcnt vmcnt(34) lgkmcnt(2)
	v_add_f64 v[54:55], v[64:65], -v[54:55]
	v_accvgpr_read_b32 v15, a87
	v_mul_f64 v[54:55], v[146:147], v[54:55]
	v_lshl_add_u64 v[14:15], v[14:15], 0, v[8:9]
	s_waitcnt lgkmcnt(0)
	v_fmac_f64_e32 v[2:3], v[54:55], v[60:61]
	v_accvgpr_read_b32 v55, a35
	global_load_dwordx2 v[32:33], v[14:15], off
	v_lshl_add_u64 v[14:15], v[164:165], 0, v[8:9]
	ds_bpermute_b32 v64, v150, v6 offset:24
	ds_bpermute_b32 v65, v150, v7 offset:24
	v_accvgpr_read_b32 v54, a34
	global_load_dwordx2 v[18:19], v[14:15], off
	v_accvgpr_read_b32 v14, a88
	v_lshl_add_u64 v[54:55], v[54:55], 0, v[8:9]
	v_accvgpr_read_b32 v15, a89
	global_load_dwordx2 v[60:61], v[54:55], off
	ds_bpermute_b32 v54, v150, v16 offset:24
	ds_bpermute_b32 v55, v150, v17 offset:24
	v_lshl_add_u64 v[14:15], v[14:15], 0, v[8:9]
	global_load_dwordx2 v[28:29], v[14:15], off
	s_waitcnt vmcnt(36) lgkmcnt(2)
	v_add_f64 v[64:65], v[76:77], -v[64:65]
	v_lshl_add_u64 v[22:23], v[120:121], 0, v[8:9]
	v_mul_f64 v[64:65], v[148:149], v[64:65]
	v_lshl_add_u64 v[14:15], v[118:119], 0, v[8:9]
	global_load_dwordx2 v[22:23], v[22:23], off
	s_waitcnt lgkmcnt(0)
	v_fmac_f64_e32 v[2:3], v[64:65], v[54:55]
	v_accvgpr_read_b32 v55, a37
	global_load_dwordx2 v[14:15], v[14:15], off
	v_accvgpr_read_b32 v54, a36
	v_lshl_add_u64 v[54:55], v[54:55], 0, v[8:9]
	v_lshl_add_u64 v[40:41], v[122:123], 0, v[8:9]
	;; [unrolled: 1-line block ×3, first 2 shown]
	v_accvgpr_write_b32 a30, v168
	global_load_dwordx2 v[64:65], v[54:55], off
	v_lshl_add_u64 v[54:55], v[130:131], 0, v[8:9]
	v_lshl_add_u64 v[24:25], v[78:79], 0, v[8:9]
	global_load_dwordx2 v[40:41], v[40:41], off
	v_lshl_add_u64 v[34:35], v[168:169], 0, v[8:9]
	v_accvgpr_write_b32 a31, v169
	global_load_dwordx2 v[168:169], v[76:77], off
	v_lshl_add_u64 v[48:49], v[124:125], 0, v[8:9]
	global_load_dwordx2 v[76:77], v[54:55], off
	v_accvgpr_read_b32 v55, a1
	global_load_dwordx2 v[24:25], v[24:25], off
	v_accvgpr_read_b32 v54, a0
	v_add_f64 v[20:21], v[54:55], v[20:21]
	v_add_f64 v[20:21], v[20:21], v[68:69]
	;; [unrolled: 1-line block ×3, first 2 shown]
	global_load_dwordx2 v[48:49], v[48:49], off
	v_add_f64 v[104:105], v[144:145], v[104:105]
	global_load_dwordx2 v[34:35], v[34:35], off
	v_add_f64 v[104:105], v[104:105], v[106:107]
	ds_bpermute_b32 v106, v150, v6 offset:28
	ds_bpermute_b32 v107, v150, v7 offset:28
	v_accvgpr_read_b32 v47, a33
	v_accvgpr_read_b32 v46, a32
	v_lshl_add_u64 v[46:47], v[46:47], 0, v[8:9]
	v_lshl_add_u64 v[144:145], v[134:135], 0, v[8:9]
	global_load_dwordx2 v[46:47], v[46:47], off
	s_waitcnt vmcnt(44) lgkmcnt(0)
	v_add_f64 v[106:107], v[108:109], -v[106:107]
	global_load_dwordx2 a[0:1], v[144:145], off
	ds_bpermute_b32 v144, v150, v16 offset:28
	ds_bpermute_b32 v145, v150, v17 offset:28
	;; [unrolled: 1-line block ×4, first 2 shown]
	v_add_f64 v[104:105], v[104:105], v[146:147]
	v_add_f64 v[104:105], v[104:105], v[148:149]
	v_mul_f64 v[106:107], v[102:103], v[106:107]
	v_add_f64 v[102:103], v[104:105], v[102:103]
	ds_bpermute_b32 v104, v150, v16 offset:32
	ds_bpermute_b32 v105, v150, v17 offset:32
	s_waitcnt lgkmcnt(4)
	v_fmac_f64_e32 v[2:3], v[106:107], v[144:145]
	s_waitcnt vmcnt(44) lgkmcnt(2)
	v_add_f64 v[106:107], v[142:143], -v[108:109]
	ds_bpermute_b32 v108, v150, v6 offset:36
	ds_bpermute_b32 v109, v150, v7 offset:36
	s_waitcnt vmcnt(40)
	v_mul_f64 v[106:107], v[12:13], v[106:107]
	v_add_f64 v[12:13], v[102:103], v[12:13]
	ds_bpermute_b32 v102, v150, v16 offset:36
	ds_bpermute_b32 v103, v150, v17 offset:36
	s_waitcnt lgkmcnt(4)
	v_fmac_f64_e32 v[2:3], v[106:107], v[104:105]
	ds_bpermute_b32 v106, v150, v6 offset:40
	ds_bpermute_b32 v107, v150, v7 offset:40
	s_waitcnt lgkmcnt(4)
	v_add_f64 v[104:105], v[140:141], -v[108:109]
	v_mul_f64 v[104:105], v[98:99], v[104:105]
	v_add_f64 v[12:13], v[12:13], v[98:99]
	ds_bpermute_b32 v98, v150, v16 offset:40
	ds_bpermute_b32 v99, v150, v17 offset:40
	v_accvgpr_read_b32 v55, a39
	v_accvgpr_read_b32 v54, a38
	v_lshl_add_u64 v[68:69], v[132:133], 0, v[8:9]
	s_waitcnt lgkmcnt(4)
	v_fmac_f64_e32 v[2:3], v[104:105], v[102:103]
	ds_bpermute_b32 v102, v150, v6 offset:44
	ds_bpermute_b32 v103, v150, v7 offset:44
	v_lshl_add_u64 v[54:55], v[54:55], 0, v[8:9]
	global_load_dwordx2 v[68:69], v[68:69], off
	s_waitcnt vmcnt(40) lgkmcnt(4)
	v_add_f64 v[100:101], v[100:101], -v[106:107]
	global_load_dwordx2 v[54:55], v[54:55], off
	v_accvgpr_read_b32 v20, a40
	v_mul_f64 v[100:101], v[94:95], v[100:101]
	v_add_f64 v[12:13], v[12:13], v[94:95]
	ds_bpermute_b32 v94, v150, v16 offset:44
	ds_bpermute_b32 v95, v150, v17 offset:44
	v_accvgpr_read_b32 v21, a41
	s_waitcnt lgkmcnt(4)
	v_fmac_f64_e32 v[2:3], v[100:101], v[98:99]
	ds_bpermute_b32 v98, v150, v6 offset:48
	ds_bpermute_b32 v99, v150, v7 offset:48
	v_lshl_add_u64 v[20:21], v[20:21], 0, v[8:9]
	global_load_dwordx2 v[20:21], v[20:21], off
	s_waitcnt vmcnt(40) lgkmcnt(4)
	v_add_f64 v[96:97], v[96:97], -v[102:103]
	v_mul_f64 v[96:97], v[90:91], v[96:97]
	v_add_f64 v[12:13], v[12:13], v[90:91]
	ds_bpermute_b32 v90, v150, v16 offset:48
	ds_bpermute_b32 v91, v150, v17 offset:48
	s_waitcnt lgkmcnt(4)
	v_fmac_f64_e32 v[2:3], v[96:97], v[94:95]
	ds_bpermute_b32 v94, v150, v6 offset:52
	ds_bpermute_b32 v95, v150, v7 offset:52
	s_waitcnt vmcnt(38) lgkmcnt(4)
	v_add_f64 v[92:93], v[92:93], -v[98:99]
	v_mul_f64 v[92:93], v[88:89], v[92:93]
	v_add_f64 v[12:13], v[12:13], v[88:89]
	ds_bpermute_b32 v88, v150, v16 offset:52
	ds_bpermute_b32 v89, v150, v17 offset:52
	s_waitcnt lgkmcnt(4)
	v_fmac_f64_e32 v[2:3], v[92:93], v[90:91]
	ds_bpermute_b32 v92, v150, v6 offset:56
	ds_bpermute_b32 v93, v150, v7 offset:56
	;; [unrolled: 10-line block ×11, first 2 shown]
	s_waitcnt vmcnt(17) lgkmcnt(4)
	v_add_f64 v[32:33], v[32:33], -v[42:43]
	v_mov_b64_e32 v[144:145], v[114:115]
	v_mov_b64_e32 v[114:115], v[26:27]
	v_mul_f64 v[32:33], v[116:117], v[32:33]
	ds_bpermute_b32 v26, v150, v16 offset:92
	ds_bpermute_b32 v27, v150, v17 offset:92
	s_waitcnt lgkmcnt(4)
	v_fmac_f64_e32 v[2:3], v[32:33], v[30:31]
	ds_bpermute_b32 v30, v150, v6 offset:96
	ds_bpermute_b32 v31, v150, v7 offset:96
	s_waitcnt vmcnt(14) lgkmcnt(4)
	v_add_f64 v[28:29], v[28:29], -v[36:37]
	v_add_f64 v[12:13], v[12:13], v[116:117]
	v_mul_f64 v[28:29], v[18:19], v[28:29]
	s_waitcnt lgkmcnt(2)
	v_fmac_f64_e32 v[2:3], v[28:29], v[26:27]
	v_add_f64 v[12:13], v[12:13], v[18:19]
	ds_bpermute_b32 v18, v150, v16 offset:96
	ds_bpermute_b32 v19, v150, v17 offset:96
	;; [unrolled: 1-line block ×4, first 2 shown]
	s_waitcnt vmcnt(13) lgkmcnt(4)
	v_add_f64 v[22:23], v[22:23], -v[30:31]
	s_waitcnt vmcnt(12)
	v_mul_f64 v[22:23], v[14:15], v[22:23]
	v_add_f64 v[12:13], v[12:13], v[14:15]
	ds_bpermute_b32 v14, v150, v16 offset:100
	ds_bpermute_b32 v15, v150, v17 offset:100
	s_waitcnt lgkmcnt(4)
	v_fmac_f64_e32 v[2:3], v[22:23], v[18:19]
	s_waitcnt vmcnt(10) lgkmcnt(2)
	v_add_f64 v[18:19], v[40:41], -v[26:27]
	ds_bpermute_b32 v22, v150, v6 offset:104
	ds_bpermute_b32 v23, v150, v7 offset:104
	s_waitcnt vmcnt(7)
	v_mul_f64 v[18:19], v[24:25], v[18:19]
	s_waitcnt lgkmcnt(2)
	v_fmac_f64_e32 v[2:3], v[18:19], v[14:15]
	ds_bpermute_b32 v14, v150, v16 offset:104
	ds_bpermute_b32 v15, v150, v17 offset:104
	s_waitcnt vmcnt(6) lgkmcnt(2)
	v_add_f64 v[18:19], v[48:49], -v[22:23]
	ds_bpermute_b32 v22, v150, v6 offset:108
	ds_bpermute_b32 v23, v150, v7 offset:108
	s_waitcnt vmcnt(5)
	v_mul_f64 v[18:19], v[34:35], v[18:19]
	s_waitcnt lgkmcnt(2)
	v_fmac_f64_e32 v[2:3], v[18:19], v[14:15]
	ds_bpermute_b32 v14, v150, v16 offset:108
	ds_bpermute_b32 v15, v150, v17 offset:108
	s_waitcnt lgkmcnt(2)
	v_add_f64 v[18:19], v[70:71], -v[22:23]
	ds_bpermute_b32 v22, v150, v6 offset:112
	ds_bpermute_b32 v23, v150, v7 offset:112
	s_waitcnt vmcnt(4)
	v_mul_f64 v[18:19], v[46:47], v[18:19]
	s_waitcnt lgkmcnt(2)
	v_fmac_f64_e32 v[2:3], v[18:19], v[14:15]
	ds_bpermute_b32 v14, v150, v16 offset:112
	ds_bpermute_b32 v15, v150, v17 offset:112
	s_waitcnt lgkmcnt(2)
	v_add_f64 v[18:19], v[168:169], -v[22:23]
	ds_bpermute_b32 v22, v150, v6 offset:116
	ds_bpermute_b32 v23, v150, v7 offset:116
	v_mul_f64 v[18:19], v[60:61], v[18:19]
	s_waitcnt lgkmcnt(2)
	v_fmac_f64_e32 v[2:3], v[18:19], v[14:15]
	ds_bpermute_b32 v14, v150, v16 offset:116
	ds_bpermute_b32 v15, v150, v17 offset:116
	s_waitcnt lgkmcnt(2)
	v_add_f64 v[18:19], v[76:77], -v[22:23]
	ds_bpermute_b32 v22, v150, v6 offset:120
	ds_bpermute_b32 v23, v150, v7 offset:120
	v_mul_f64 v[18:19], v[64:65], v[18:19]
	v_add_f64 v[12:13], v[12:13], v[24:25]
	s_waitcnt lgkmcnt(2)
	v_fmac_f64_e32 v[2:3], v[18:19], v[14:15]
	ds_bpermute_b32 v18, v150, v16 offset:120
	ds_bpermute_b32 v19, v150, v17 offset:120
	v_add_f64 v[12:13], v[12:13], v[34:35]
	v_add_f64 v[12:13], v[12:13], v[46:47]
	;; [unrolled: 1-line block ×3, first 2 shown]
	s_waitcnt vmcnt(2) lgkmcnt(2)
	v_add_f64 v[22:23], v[68:69], -v[22:23]
	v_add_f64 v[14:15], v[12:13], v[64:65]
	ds_bpermute_b32 v12, v150, v16 offset:124
	ds_bpermute_b32 v13, v150, v17 offset:124
	;; [unrolled: 1-line block ×4, first 2 shown]
	s_waitcnt vmcnt(1)
	v_mul_f64 v[6:7], v[54:55], v[22:23]
	v_accvgpr_read_b32 v147, a15
	v_accvgpr_read_b32 v149, a17
	;; [unrolled: 1-line block ×13, first 2 shown]
	s_waitcnt lgkmcnt(4)
	v_fmac_f64_e32 v[2:3], v[6:7], v[18:19]
	v_accvgpr_read_b32 v146, a14
	v_accvgpr_read_b32 v148, a16
	v_accvgpr_read_b32 v142, a12
	v_accvgpr_read_b32 v108, a10
	v_accvgpr_read_b32 v104, a0
	v_accvgpr_read_b32 v106, a8
	v_accvgpr_read_b32 v100, a26
	v_mov_b64_e32 v[102:103], v[166:167]
	v_mov_b64_e32 v[166:167], v[78:79]
	v_accvgpr_read_b32 v96, a22
	v_accvgpr_read_b32 v98, a24
	;; [unrolled: 1-line block ×6, first 2 shown]
	v_add_f64 v[6:7], v[14:15], v[54:55]
	v_mov_b64_e32 v[138:139], v[2:3]
.LBB28_225:                             ;   in Loop: Header=BB28_149 Depth=1
	s_waitcnt vmcnt(0) lgkmcnt(0)
	v_add_f64 v[2:3], v[104:105], -v[16:17]
	v_mul_f64 v[2:3], v[20:21], v[2:3]
	s_add_u32 s16, s16, s4
	v_fmac_f64_e32 v[138:139], v[2:3], v[12:13]
	s_addc_u32 s17, s17, 0
	v_mov_b64_e32 v[2:3], s[12:13]
	v_cmp_ge_i64_e32 vcc, s[16:17], v[2:3]
	v_accvgpr_read_b32 v2, a32
	v_accvgpr_read_b32 v3, a33
	v_lshl_add_u64 v[2:3], v[2:3], 0, s[24:25]
	v_accvgpr_write_b32 a33, v3
	v_accvgpr_write_b32 a32, v2
	v_accvgpr_read_b32 v2, a34
	v_accvgpr_read_b32 v3, a35
	v_lshl_add_u64 v[2:3], v[2:3], 0, s[24:25]
	v_accvgpr_write_b32 a35, v3
	v_accvgpr_write_b32 a34, v2
	;; [unrolled: 5-line block ×43, first 2 shown]
	v_accvgpr_read_b32 v2, a118
	v_accvgpr_read_b32 v3, a119
	v_lshl_add_u64 v[2:3], v[2:3], 0, s[24:25]
	v_accvgpr_write_b32 a119, v3
	v_accvgpr_read_b32 v105, a7
	v_accvgpr_write_b32 a118, v2
	v_accvgpr_read_b32 v2, a120
	v_accvgpr_read_b32 v104, a6
	;; [unrolled: 1-line block ×3, first 2 shown]
	s_add_u32 s26, s26, s4
	v_add_f64 v[140:141], v[6:7], v[20:21]
	v_lshl_add_u64 v[104:105], v[104:105], 0, s[4:5]
	v_lshl_add_u64 v[106:107], v[106:107], 0, s[24:25]
	;; [unrolled: 1-line block ×83, first 2 shown]
	s_addc_u32 s27, s27, 0
	s_cbranch_vccnz .LBB28_227
; %bb.226:                              ;   in Loop: Header=BB28_149 Depth=1
	v_accvgpr_write_b32 a121, v3
	v_accvgpr_write_b32 a120, v2
	v_mov_b64_e32 v[2:3], v[138:139]
	s_branch .LBB28_149
.LBB28_227:
	v_mov_b32_e32 v11, v151
.LBB28_228:
	s_mov_b32 s3, 0
	s_lshl_b64 s[2:3], s[2:3], 6
	v_and_b32_e32 v0, 0x3ff, v11
	v_or_b32_e32 v0, s2, v0
	v_mov_b32_e32 v1, s3
	v_cmp_gt_i64_e32 vcc, s[14:15], v[0:1]
	s_and_saveexec_b64 s[2:3], vcc
	s_cbranch_execz .LBB28_233
; %bb.229:
	s_load_dword s2, s[0:1], 0x4c
	s_load_dwordx4 s[4:7], s[0:1], 0x30
	v_bfe_u32 v2, v11, 10, 10
	v_mov_b32_e32 v3, 0
	v_mov_b32_e32 v4, s8
	s_waitcnt lgkmcnt(0)
	s_lshr_b32 s0, s2, 16
	v_mad_u64_u32 v[2:3], s[0:1], s0, v4, v[2:3]
	s_cmp_eq_u64 s[4:5], 0
	v_mul_lo_u32 v3, v3, s14
	v_mul_lo_u32 v4, v2, s15
	s_cbranch_scc1 .LBB28_231
; %bb.230:
	v_mad_u64_u32 v[6:7], s[0:1], v2, s14, 0
	v_add3_u32 v7, v7, v4, v3
	v_lshl_add_u64 v[6:7], v[6:7], 3, s[4:5]
	v_lshl_add_u64 v[6:7], v[0:1], 3, v[6:7]
	global_store_dwordx2 v[6:7], v[138:139], off
.LBB28_231:
	s_cmp_eq_u64 s[6:7], 0
	s_cbranch_scc1 .LBB28_233
; %bb.232:
	v_mad_u64_u32 v[6:7], s[0:1], v2, s14, 0
	v_add3_u32 v7, v7, v4, v3
	v_lshl_add_u64 v[2:3], v[6:7], 3, s[6:7]
	v_lshl_add_u64 v[0:1], v[0:1], 3, v[2:3]
	global_store_dwordx2 v[0:1], v[140:141], off
.LBB28_233:
	s_endpgm
	.section	.rodata,"a",@progbits
	.p2align	6, 0x0
	.amdhsa_kernel _ZN2at6native12_GLOBAL__N_135GammaBetaBackwardCUDAKernelTemplateIddLj64ELj1ELj32ELb1ELb0ELb0EEEvllPKT_S5_PKT0_S8_PS3_S9_
		.amdhsa_group_segment_fixed_size 0
		.amdhsa_private_segment_fixed_size 0
		.amdhsa_kernarg_size 320
		.amdhsa_user_sgpr_count 2
		.amdhsa_user_sgpr_dispatch_ptr 0
		.amdhsa_user_sgpr_queue_ptr 0
		.amdhsa_user_sgpr_kernarg_segment_ptr 1
		.amdhsa_user_sgpr_dispatch_id 0
		.amdhsa_user_sgpr_kernarg_preload_length 0
		.amdhsa_user_sgpr_kernarg_preload_offset 0
		.amdhsa_user_sgpr_private_segment_size 0
		.amdhsa_uses_dynamic_stack 0
		.amdhsa_enable_private_segment 0
		.amdhsa_system_sgpr_workgroup_id_x 1
		.amdhsa_system_sgpr_workgroup_id_y 1
		.amdhsa_system_sgpr_workgroup_id_z 0
		.amdhsa_system_sgpr_workgroup_info 0
		.amdhsa_system_vgpr_workitem_id 1
		.amdhsa_next_free_vgpr 404
		.amdhsa_next_free_sgpr 44
		.amdhsa_accum_offset 256
		.amdhsa_reserve_vcc 1
		.amdhsa_float_round_mode_32 0
		.amdhsa_float_round_mode_16_64 0
		.amdhsa_float_denorm_mode_32 3
		.amdhsa_float_denorm_mode_16_64 3
		.amdhsa_dx10_clamp 1
		.amdhsa_ieee_mode 1
		.amdhsa_fp16_overflow 0
		.amdhsa_tg_split 0
		.amdhsa_exception_fp_ieee_invalid_op 0
		.amdhsa_exception_fp_denorm_src 0
		.amdhsa_exception_fp_ieee_div_zero 0
		.amdhsa_exception_fp_ieee_overflow 0
		.amdhsa_exception_fp_ieee_underflow 0
		.amdhsa_exception_fp_ieee_inexact 0
		.amdhsa_exception_int_div_zero 0
	.end_amdhsa_kernel
	.section	.text._ZN2at6native12_GLOBAL__N_135GammaBetaBackwardCUDAKernelTemplateIddLj64ELj1ELj32ELb1ELb0ELb0EEEvllPKT_S5_PKT0_S8_PS3_S9_,"axG",@progbits,_ZN2at6native12_GLOBAL__N_135GammaBetaBackwardCUDAKernelTemplateIddLj64ELj1ELj32ELb1ELb0ELb0EEEvllPKT_S5_PKT0_S8_PS3_S9_,comdat
.Lfunc_end28:
	.size	_ZN2at6native12_GLOBAL__N_135GammaBetaBackwardCUDAKernelTemplateIddLj64ELj1ELj32ELb1ELb0ELb0EEEvllPKT_S5_PKT0_S8_PS3_S9_, .Lfunc_end28-_ZN2at6native12_GLOBAL__N_135GammaBetaBackwardCUDAKernelTemplateIddLj64ELj1ELj32ELb1ELb0ELb0EEEvllPKT_S5_PKT0_S8_PS3_S9_
                                        ; -- End function
	.section	.AMDGPU.csdata,"",@progbits
; Kernel info:
; codeLenInByte = 29544
; NumSgprs: 50
; NumVgprs: 256
; NumAgprs: 148
; TotalNumVgprs: 404
; ScratchSize: 0
; MemoryBound: 0
; FloatMode: 240
; IeeeMode: 1
; LDSByteSize: 0 bytes/workgroup (compile time only)
; SGPRBlocks: 6
; VGPRBlocks: 50
; NumSGPRsForWavesPerEU: 50
; NumVGPRsForWavesPerEU: 404
; AccumOffset: 256
; Occupancy: 1
; WaveLimiterHint : 0
; COMPUTE_PGM_RSRC2:SCRATCH_EN: 0
; COMPUTE_PGM_RSRC2:USER_SGPR: 2
; COMPUTE_PGM_RSRC2:TRAP_HANDLER: 0
; COMPUTE_PGM_RSRC2:TGID_X_EN: 1
; COMPUTE_PGM_RSRC2:TGID_Y_EN: 1
; COMPUTE_PGM_RSRC2:TGID_Z_EN: 0
; COMPUTE_PGM_RSRC2:TIDIG_COMP_CNT: 1
; COMPUTE_PGM_RSRC3_GFX90A:ACCUM_OFFSET: 63
; COMPUTE_PGM_RSRC3_GFX90A:TG_SPLIT: 0
	.section	.text._ZN2at6native12_GLOBAL__N_135GammaBetaBackwardCUDAKernelTemplateIddLj64ELj1ELj8ELb1ELb1ELb0EEEvllPKT_S5_PKT0_S8_PS3_S9_,"axG",@progbits,_ZN2at6native12_GLOBAL__N_135GammaBetaBackwardCUDAKernelTemplateIddLj64ELj1ELj8ELb1ELb1ELb0EEEvllPKT_S5_PKT0_S8_PS3_S9_,comdat
	.globl	_ZN2at6native12_GLOBAL__N_135GammaBetaBackwardCUDAKernelTemplateIddLj64ELj1ELj8ELb1ELb1ELb0EEEvllPKT_S5_PKT0_S8_PS3_S9_ ; -- Begin function _ZN2at6native12_GLOBAL__N_135GammaBetaBackwardCUDAKernelTemplateIddLj64ELj1ELj8ELb1ELb1ELb0EEEvllPKT_S5_PKT0_S8_PS3_S9_
	.p2align	8
	.type	_ZN2at6native12_GLOBAL__N_135GammaBetaBackwardCUDAKernelTemplateIddLj64ELj1ELj8ELb1ELb1ELb0EEEvllPKT_S5_PKT0_S8_PS3_S9_,@function
_ZN2at6native12_GLOBAL__N_135GammaBetaBackwardCUDAKernelTemplateIddLj64ELj1ELj8ELb1ELb1ELb0EEEvllPKT_S5_PKT0_S8_PS3_S9_: ; @_ZN2at6native12_GLOBAL__N_135GammaBetaBackwardCUDAKernelTemplateIddLj64ELj1ELj8ELb1ELb1ELb0EEEvllPKT_S5_PKT0_S8_PS3_S9_
; %bb.0:
	s_load_dwordx4 s[16:19], s[0:1], 0x0
	s_lshl_b32 s6, s3, 3
	s_mov_b32 s7, 0
	s_mov_b32 s4, s3
	v_bfe_u32 v1, v0, 10, 10
	s_waitcnt lgkmcnt(0)
	v_mov_b64_e32 v[2:3], s[16:17]
	v_cmp_lt_i64_e32 vcc, s[6:7], v[2:3]
	s_cbranch_vccnz .LBB29_2
; %bb.1:
	s_add_u32 s24, s0, 64
	s_addc_u32 s25, s1, 0
	s_mov_b64 s[8:9], 0
	s_mov_b64 s[10:11], 0
	v_bfe_u32 v4, v0, 10, 10
	s_branch .LBB29_3
.LBB29_2:
	s_mov_b64 s[8:9], -1
                                        ; implicit-def: $sgpr10_sgpr11
                                        ; implicit-def: $sgpr24_sgpr25
                                        ; implicit-def: $vgpr4
.LBB29_3:
	s_load_dwordx4 s[20:23], s[0:1], 0x30
	v_and_b32_e32 v0, 0x3ff, v0
	s_andn2_b64 vcc, exec, s[8:9]
	v_mov_b64_e32 v[14:15], s[10:11]
	v_mov_b64_e32 v[2:3], s[10:11]
	s_cbranch_vccnz .LBB29_11
; %bb.4:
	s_load_dword s3, s[0:1], 0x4c
	s_load_dword s5, s[0:1], 0x44
	s_load_dwordx8 s[8:15], s[0:1], 0x10
	s_add_u32 s24, s0, 64
	s_addc_u32 s25, s1, 0
	s_waitcnt lgkmcnt(0)
	s_and_b32 s0, s3, 0xffff
	v_mad_u32_u24 v2, v1, s0, v0
	v_lshlrev_b32_e32 v4, 3, v1
	v_mov_b32_e32 v5, 0
	v_mbcnt_lo_u32_b32 v6, -1, 0
	v_and_b32_e32 v2, 63, v2
	v_mov_b32_e32 v3, v5
	v_mbcnt_hi_u32_b32 v6, -1, v6
	s_lshl_b32 s26, s5, 3
	v_lshl_add_u64 v[10:11], v[4:5], 0, s[6:7]
	v_cmp_gt_u32_e64 s[0:1], 8, v2
	v_lshl_add_u32 v8, s2, 6, v0
	v_mov_b32_e32 v9, v5
	v_lshlrev_b32_e32 v6, 2, v6
	v_lshl_add_u64 v[4:5], v[10:11], 0, v[2:3]
	v_mul_lo_u32 v12, s19, v10
	v_mul_lo_u32 v11, s18, v11
	v_mad_u64_u32 v[2:3], s[30:31], s18, v10, 0
	s_mul_i32 s3, s19, s26
	s_mul_hi_u32 s5, s18, s26
	s_mov_b32 s27, 0
	v_and_b32_e32 v20, 0x100, v6
	v_add3_u32 v3, v3, v11, v12
	v_lshlrev_b64 v[8:9], 3, v[8:9]
	s_add_i32 s31, s5, s3
	s_mul_i32 s30, s18, s26
	v_mov_b64_e32 v[10:11], 0
	v_or_b32_e32 v21, 4, v20
	v_or_b32_e32 v22, 8, v20
	;; [unrolled: 1-line block ×7, first 2 shown]
	v_lshlrev_b64 v[6:7], 3, v[4:5]
	s_lshl_b64 s[28:29], s[26:27], 3
	v_lshl_add_u64 v[8:9], v[2:3], 3, v[8:9]
	s_lshl_b64 s[30:31], s[30:31], 3
	s_lshl_b64 s[34:35], s[18:19], 3
	v_mov_b64_e32 v[12:13], s[16:17]
	v_mov_b64_e32 v[2:3], v[10:11]
	;; [unrolled: 1-line block ×3, first 2 shown]
	s_branch .LBB29_7
.LBB29_5:                               ;   in Loop: Header=BB29_7 Depth=1
	s_or_b64 exec, exec, s[38:39]
.LBB29_6:                               ;   in Loop: Header=BB29_7 Depth=1
	s_or_b64 exec, exec, s[36:37]
	v_lshl_add_u64 v[28:29], s[10:11], 0, v[8:9]
	global_load_dwordx2 v[30:31], v[28:29], off
	v_lshl_add_u64 v[32:33], s[8:9], 0, v[8:9]
	global_load_dwordx2 v[34:35], v[32:33], off
	;; [unrolled: 2-line block ×6, first 2 shown]
	v_lshl_add_u64 v[28:29], v[28:29], 0, s[34:35]
	v_lshl_add_u64 v[32:33], v[32:33], 0, s[34:35]
	global_load_dwordx2 v[44:45], v[28:29], off
	global_load_dwordx2 v[46:47], v[32:33], off
	v_lshl_add_u64 v[28:29], v[28:29], 0, s[34:35]
	v_lshl_add_u64 v[32:33], v[32:33], 0, s[34:35]
	global_load_dwordx2 v[48:49], v[28:29], off
	global_load_dwordx2 v[50:51], v[32:33], off
	;; [unrolled: 4-line block ×3, first 2 shown]
	v_lshl_add_u64 v[28:29], v[28:29], 0, s[34:35]
	global_load_dwordx2 v[56:57], v[28:29], off
	v_lshl_add_u64 v[32:33], v[32:33], 0, s[34:35]
	global_load_dwordx2 v[58:59], v[32:33], off
	v_lshl_add_u64 v[28:29], v[28:29], 0, s[34:35]
	v_lshl_add_u64 v[32:33], v[32:33], 0, s[34:35]
	global_load_dwordx2 v[60:61], v[28:29], off
	global_load_dwordx2 v[62:63], v[32:33], off
	s_waitcnt vmcnt(17)
	ds_bpermute_b32 v28, v20, v18
	ds_bpermute_b32 v29, v20, v19
	s_waitcnt vmcnt(16)
	ds_bpermute_b32 v32, v20, v16
	ds_bpermute_b32 v33, v20, v17
	s_add_u32 s6, s6, s26
	s_addc_u32 s7, s7, 0
	v_cmp_lt_i64_e32 vcc, s[6:7], v[12:13]
	v_lshl_add_u64 v[6:7], v[6:7], 0, s[28:29]
	v_lshl_add_u64 v[4:5], v[4:5], 0, s[26:27]
	;; [unrolled: 1-line block ×3, first 2 shown]
	s_and_b64 vcc, exec, vcc
	s_waitcnt vmcnt(15) lgkmcnt(2)
	v_add_f64 v[28:29], v[30:31], -v[28:29]
	ds_bpermute_b32 v30, v21, v18
	ds_bpermute_b32 v31, v21, v19
	s_waitcnt vmcnt(14)
	v_mul_f64 v[28:29], v[34:35], v[28:29]
	s_waitcnt lgkmcnt(2)
	v_fmac_f64_e32 v[2:3], v[28:29], v[32:33]
	ds_bpermute_b32 v28, v21, v16
	ds_bpermute_b32 v29, v21, v17
	s_waitcnt vmcnt(13) lgkmcnt(2)
	v_add_f64 v[30:31], v[36:37], -v[30:31]
	ds_bpermute_b32 v36, v22, v18
	ds_bpermute_b32 v37, v22, v19
	;; [unrolled: 1-line block ×4, first 2 shown]
	s_waitcnt vmcnt(12)
	v_mul_f64 v[30:31], v[38:39], v[30:31]
	s_waitcnt lgkmcnt(4)
	v_fmac_f64_e32 v[2:3], v[30:31], v[28:29]
	ds_bpermute_b32 v28, v23, v18
	ds_bpermute_b32 v29, v23, v19
	s_waitcnt vmcnt(11) lgkmcnt(4)
	v_add_f64 v[36:37], v[40:41], -v[36:37]
	ds_bpermute_b32 v30, v24, v18
	ds_bpermute_b32 v31, v24, v19
	s_waitcnt vmcnt(10)
	v_mul_f64 v[36:37], v[42:43], v[36:37]
	ds_bpermute_b32 v40, v25, v18
	ds_bpermute_b32 v41, v25, v19
	s_waitcnt lgkmcnt(6)
	v_fmac_f64_e32 v[2:3], v[36:37], v[32:33]
	ds_bpermute_b32 v36, v23, v16
	ds_bpermute_b32 v37, v23, v17
	ds_bpermute_b32 v32, v26, v18
	ds_bpermute_b32 v33, v26, v19
	v_add_f64 v[14:15], v[14:15], v[34:35]
	ds_bpermute_b32 v34, v24, v16
	ds_bpermute_b32 v35, v24, v17
	;; [unrolled: 1-line block ×4, first 2 shown]
	v_add_f64 v[14:15], v[14:15], v[38:39]
	ds_bpermute_b32 v38, v25, v16
	ds_bpermute_b32 v39, v25, v17
	v_add_f64 v[14:15], v[14:15], v[42:43]
	ds_bpermute_b32 v42, v26, v16
	ds_bpermute_b32 v43, v26, v17
	s_waitcnt vmcnt(9) lgkmcnt(14)
	v_add_f64 v[28:29], v[44:45], -v[28:29]
	ds_bpermute_b32 v16, v27, v16
	s_waitcnt vmcnt(8)
	v_mul_f64 v[28:29], v[46:47], v[28:29]
	s_waitcnt vmcnt(7)
	v_add_f64 v[30:31], v[48:49], -v[30:31]
	ds_bpermute_b32 v17, v27, v17
	v_add_f64 v[14:15], v[14:15], v[46:47]
	s_waitcnt lgkmcnt(12)
	v_fmac_f64_e32 v[2:3], v[28:29], v[36:37]
	s_waitcnt vmcnt(6)
	v_mul_f64 v[28:29], v[50:51], v[30:31]
	s_waitcnt vmcnt(5)
	v_add_f64 v[30:31], v[52:53], -v[40:41]
	v_add_f64 v[14:15], v[14:15], v[50:51]
	s_waitcnt lgkmcnt(8)
	v_fmac_f64_e32 v[2:3], v[28:29], v[34:35]
	s_waitcnt vmcnt(4)
	v_mul_f64 v[28:29], v[54:55], v[30:31]
	s_waitcnt vmcnt(3)
	v_add_f64 v[30:31], v[56:57], -v[32:33]
	;; [unrolled: 7-line block ×3, first 2 shown]
	s_waitcnt lgkmcnt(2)
	v_fmac_f64_e32 v[2:3], v[28:29], v[42:43]
	v_add_f64 v[14:15], v[14:15], v[58:59]
	s_waitcnt vmcnt(0)
	v_mul_f64 v[18:19], v[62:63], v[18:19]
	s_waitcnt lgkmcnt(0)
	v_fmac_f64_e32 v[2:3], v[18:19], v[16:17]
	v_add_f64 v[14:15], v[14:15], v[62:63]
	s_cbranch_vccz .LBB29_10
.LBB29_7:                               ; =>This Inner Loop Header: Depth=1
	v_mov_b64_e32 v[16:17], v[10:11]
	v_mov_b64_e32 v[18:19], v[10:11]
	s_and_saveexec_b64 s[36:37], s[0:1]
	s_cbranch_execz .LBB29_6
; %bb.8:                                ;   in Loop: Header=BB29_7 Depth=1
	v_mov_b64_e32 v[18:19], 0
	v_cmp_gt_i64_e32 vcc, s[16:17], v[4:5]
	v_mov_b64_e32 v[16:17], v[18:19]
	s_and_saveexec_b64 s[38:39], vcc
	s_cbranch_execz .LBB29_5
; %bb.9:                                ;   in Loop: Header=BB29_7 Depth=1
	v_lshl_add_u64 v[30:31], s[12:13], 0, v[6:7]
	v_lshl_add_u64 v[28:29], s[14:15], 0, v[6:7]
	global_load_dwordx2 v[18:19], v[30:31], off
	global_load_dwordx2 v[16:17], v[28:29], off
	s_branch .LBB29_5
.LBB29_10:
	v_mov_b32_e32 v4, v1
.LBB29_11:
	s_load_dword s5, s[24:25], 0xc
	s_mov_b32 s3, 0
	v_mov_b32_e32 v1, 0
	s_lshl_b64 s[0:1], s[2:3], 6
	v_lshl_add_u64 v[6:7], s[0:1], 0, v[0:1]
	s_waitcnt lgkmcnt(0)
	s_lshr_b32 s0, s5, 16
	v_mov_b32_e32 v5, v1
	v_mov_b32_e32 v0, s4
	v_mad_u64_u32 v[0:1], s[0:1], s0, v0, v[4:5]
	s_cmp_eq_u64 s[20:21], 0
	v_mul_lo_u32 v1, v1, s18
	v_mul_lo_u32 v4, v0, s19
	s_cbranch_scc1 .LBB29_13
; %bb.12:
	v_mad_u64_u32 v[8:9], s[0:1], v0, s18, 0
	v_add3_u32 v9, v9, v4, v1
	v_lshl_add_u64 v[8:9], v[8:9], 3, s[20:21]
	v_lshl_add_u64 v[8:9], v[6:7], 3, v[8:9]
	global_store_dwordx2 v[8:9], v[2:3], off
.LBB29_13:
	s_cmp_eq_u64 s[22:23], 0
	s_cbranch_scc1 .LBB29_15
; %bb.14:
	v_mad_u64_u32 v[2:3], s[0:1], v0, s18, 0
	v_add3_u32 v3, v3, v4, v1
	v_lshl_add_u64 v[0:1], v[2:3], 3, s[22:23]
	v_lshl_add_u64 v[0:1], v[6:7], 3, v[0:1]
	global_store_dwordx2 v[0:1], v[14:15], off
.LBB29_15:
	s_endpgm
	.section	.rodata,"a",@progbits
	.p2align	6, 0x0
	.amdhsa_kernel _ZN2at6native12_GLOBAL__N_135GammaBetaBackwardCUDAKernelTemplateIddLj64ELj1ELj8ELb1ELb1ELb0EEEvllPKT_S5_PKT0_S8_PS3_S9_
		.amdhsa_group_segment_fixed_size 0
		.amdhsa_private_segment_fixed_size 0
		.amdhsa_kernarg_size 320
		.amdhsa_user_sgpr_count 2
		.amdhsa_user_sgpr_dispatch_ptr 0
		.amdhsa_user_sgpr_queue_ptr 0
		.amdhsa_user_sgpr_kernarg_segment_ptr 1
		.amdhsa_user_sgpr_dispatch_id 0
		.amdhsa_user_sgpr_kernarg_preload_length 0
		.amdhsa_user_sgpr_kernarg_preload_offset 0
		.amdhsa_user_sgpr_private_segment_size 0
		.amdhsa_uses_dynamic_stack 0
		.amdhsa_enable_private_segment 0
		.amdhsa_system_sgpr_workgroup_id_x 1
		.amdhsa_system_sgpr_workgroup_id_y 1
		.amdhsa_system_sgpr_workgroup_id_z 0
		.amdhsa_system_sgpr_workgroup_info 0
		.amdhsa_system_vgpr_workitem_id 1
		.amdhsa_next_free_vgpr 64
		.amdhsa_next_free_sgpr 40
		.amdhsa_accum_offset 64
		.amdhsa_reserve_vcc 1
		.amdhsa_float_round_mode_32 0
		.amdhsa_float_round_mode_16_64 0
		.amdhsa_float_denorm_mode_32 3
		.amdhsa_float_denorm_mode_16_64 3
		.amdhsa_dx10_clamp 1
		.amdhsa_ieee_mode 1
		.amdhsa_fp16_overflow 0
		.amdhsa_tg_split 0
		.amdhsa_exception_fp_ieee_invalid_op 0
		.amdhsa_exception_fp_denorm_src 0
		.amdhsa_exception_fp_ieee_div_zero 0
		.amdhsa_exception_fp_ieee_overflow 0
		.amdhsa_exception_fp_ieee_underflow 0
		.amdhsa_exception_fp_ieee_inexact 0
		.amdhsa_exception_int_div_zero 0
	.end_amdhsa_kernel
	.section	.text._ZN2at6native12_GLOBAL__N_135GammaBetaBackwardCUDAKernelTemplateIddLj64ELj1ELj8ELb1ELb1ELb0EEEvllPKT_S5_PKT0_S8_PS3_S9_,"axG",@progbits,_ZN2at6native12_GLOBAL__N_135GammaBetaBackwardCUDAKernelTemplateIddLj64ELj1ELj8ELb1ELb1ELb0EEEvllPKT_S5_PKT0_S8_PS3_S9_,comdat
.Lfunc_end29:
	.size	_ZN2at6native12_GLOBAL__N_135GammaBetaBackwardCUDAKernelTemplateIddLj64ELj1ELj8ELb1ELb1ELb0EEEvllPKT_S5_PKT0_S8_PS3_S9_, .Lfunc_end29-_ZN2at6native12_GLOBAL__N_135GammaBetaBackwardCUDAKernelTemplateIddLj64ELj1ELj8ELb1ELb1ELb0EEEvllPKT_S5_PKT0_S8_PS3_S9_
                                        ; -- End function
	.section	.AMDGPU.csdata,"",@progbits
; Kernel info:
; codeLenInByte = 1516
; NumSgprs: 46
; NumVgprs: 64
; NumAgprs: 0
; TotalNumVgprs: 64
; ScratchSize: 0
; MemoryBound: 0
; FloatMode: 240
; IeeeMode: 1
; LDSByteSize: 0 bytes/workgroup (compile time only)
; SGPRBlocks: 5
; VGPRBlocks: 7
; NumSGPRsForWavesPerEU: 46
; NumVGPRsForWavesPerEU: 64
; AccumOffset: 64
; Occupancy: 8
; WaveLimiterHint : 0
; COMPUTE_PGM_RSRC2:SCRATCH_EN: 0
; COMPUTE_PGM_RSRC2:USER_SGPR: 2
; COMPUTE_PGM_RSRC2:TRAP_HANDLER: 0
; COMPUTE_PGM_RSRC2:TGID_X_EN: 1
; COMPUTE_PGM_RSRC2:TGID_Y_EN: 1
; COMPUTE_PGM_RSRC2:TGID_Z_EN: 0
; COMPUTE_PGM_RSRC2:TIDIG_COMP_CNT: 1
; COMPUTE_PGM_RSRC3_GFX90A:ACCUM_OFFSET: 15
; COMPUTE_PGM_RSRC3_GFX90A:TG_SPLIT: 0
	.section	.text._ZN2at6native12_GLOBAL__N_135GammaBetaBackwardCUDAKernelTemplateIddLj64ELj1ELj8ELb1ELb0ELb0EEEvllPKT_S5_PKT0_S8_PS3_S9_,"axG",@progbits,_ZN2at6native12_GLOBAL__N_135GammaBetaBackwardCUDAKernelTemplateIddLj64ELj1ELj8ELb1ELb0ELb0EEEvllPKT_S5_PKT0_S8_PS3_S9_,comdat
	.globl	_ZN2at6native12_GLOBAL__N_135GammaBetaBackwardCUDAKernelTemplateIddLj64ELj1ELj8ELb1ELb0ELb0EEEvllPKT_S5_PKT0_S8_PS3_S9_ ; -- Begin function _ZN2at6native12_GLOBAL__N_135GammaBetaBackwardCUDAKernelTemplateIddLj64ELj1ELj8ELb1ELb0ELb0EEEvllPKT_S5_PKT0_S8_PS3_S9_
	.p2align	8
	.type	_ZN2at6native12_GLOBAL__N_135GammaBetaBackwardCUDAKernelTemplateIddLj64ELj1ELj8ELb1ELb0ELb0EEEvllPKT_S5_PKT0_S8_PS3_S9_,@function
_ZN2at6native12_GLOBAL__N_135GammaBetaBackwardCUDAKernelTemplateIddLj64ELj1ELj8ELb1ELb0ELb0EEEvllPKT_S5_PKT0_S8_PS3_S9_: ; @_ZN2at6native12_GLOBAL__N_135GammaBetaBackwardCUDAKernelTemplateIddLj64ELj1ELj8ELb1ELb0ELb0EEEvllPKT_S5_PKT0_S8_PS3_S9_
; %bb.0:
	s_load_dwordx8 s[36:43], s[0:1], 0x0
	s_load_dwordx4 s[28:31], s[0:1], 0x20
	s_mov_b32 s8, s3
	s_lshl_b32 s3, s2, 6
	s_or_b32 s10, s3, 63
	s_mov_b32 s11, 0
	s_waitcnt lgkmcnt(0)
	v_mov_b64_e32 v[2:3], s[38:39]
	v_cmp_ge_i64_e32 vcc, s[10:11], v[2:3]
	s_lshl_b32 s10, s8, 3
	v_mov_b64_e32 v[2:3], s[36:37]
	v_cmp_lt_i64_e64 s[4:5], s[10:11], v[2:3]
	s_nop 1
	v_cndmask_b32_e64 v1, 0, 1, s[4:5]
	v_cmp_ne_u32_e64 s[4:5], 1, v1
	s_cbranch_vccz .LBB30_49
; %bb.1:
	v_mov_b64_e32 v[50:51], 0
	s_mov_b64 s[34:35], 0
	s_and_b64 vcc, exec, s[4:5]
	v_mov_b64_e32 v[52:53], v[50:51]
	s_cbranch_vccnz .LBB30_50
; %bb.2:
	v_mov_b32_e32 v5, 0
	v_bfe_u32 v98, v0, 10, 10
	s_load_dword s9, s[0:1], 0x44
	v_lshlrev_b32_e32 v54, 3, v98
	v_mov_b32_e32 v55, v5
	v_and_b32_e32 v1, 0x3ff, v0
	v_lshl_add_u64 v[2:3], v[54:55], 0, s[10:11]
	v_add_u32_e32 v4, s3, v1
	v_lshl_add_u64 v[6:7], v[2:3], 0, 7
	s_add_u32 s44, s0, 64
	v_cmp_gt_i64_e64 s[6:7], s[38:39], v[4:5]
	v_lshlrev_b64 v[56:57], 3, v[4:5]
	v_mul_lo_u32 v4, s39, v6
	v_mul_lo_u32 v8, s38, v7
	v_mad_u64_u32 v[6:7], s[14:15], s38, v6, 0
	s_addc_u32 s45, s1, 0
	s_waitcnt lgkmcnt(0)
	s_lshl_b32 s46, s9, 3
	v_add3_u32 v7, v7, v8, v4
	v_lshlrev_b64 v[6:7], 3, v[6:7]
	s_mul_i32 s9, s39, s46
	s_mul_hi_u32 s13, s38, s46
	v_lshl_add_u64 v[58:59], s[40:41], 0, v[6:7]
	s_add_i32 s15, s13, s9
	s_mul_i32 s14, s38, s46
	v_lshl_add_u64 v[60:61], s[42:43], 0, v[6:7]
	v_lshl_add_u64 v[6:7], v[2:3], 0, 6
	s_lshl_b64 s[50:51], s[14:15], 3
	v_mul_lo_u32 v4, s39, v6
	v_mul_lo_u32 v8, s38, v7
	v_mad_u64_u32 v[6:7], s[14:15], s38, v6, 0
	v_add3_u32 v7, v7, v8, v4
	v_lshlrev_b64 v[6:7], 3, v[6:7]
	v_lshl_add_u64 v[62:63], s[40:41], 0, v[6:7]
	v_lshl_add_u64 v[64:65], s[42:43], 0, v[6:7]
	v_lshl_add_u64 v[6:7], v[2:3], 0, 5
	v_mul_lo_u32 v4, s39, v6
	v_mul_lo_u32 v8, s38, v7
	v_mad_u64_u32 v[6:7], s[14:15], s38, v6, 0
	v_add3_u32 v7, v7, v8, v4
	v_lshlrev_b64 v[6:7], 3, v[6:7]
	v_lshl_add_u64 v[66:67], s[40:41], 0, v[6:7]
	v_lshl_add_u64 v[68:69], s[42:43], 0, v[6:7]
	v_lshl_add_u64 v[6:7], v[2:3], 0, 4
	;; [unrolled: 8-line block ×4, first 2 shown]
	v_mul_lo_u32 v4, s39, v6
	v_mul_lo_u32 v8, s38, v7
	v_mad_u64_u32 v[6:7], s[14:15], s38, v6, 0
	v_add3_u32 v7, v7, v8, v4
	v_lshlrev_b64 v[6:7], 3, v[6:7]
	v_lshl_add_u64 v[78:79], s[40:41], 0, v[6:7]
	v_lshl_add_u64 v[80:81], s[42:43], 0, v[6:7]
	v_mov_b64_e32 v[6:7], s[38:39]
	v_mad_u64_u32 v[6:7], s[14:15], s38, v2, v[6:7]
	v_mul_lo_u32 v4, s38, v3
	v_mul_lo_u32 v8, s39, v2
	v_mad_u64_u32 v[2:3], s[14:15], s38, v2, 0
	v_add3_u32 v3, v3, v4, v8
	v_lshlrev_b64 v[2:3], 3, v[2:3]
	v_lshl_add_u64 v[86:87], s[40:41], 0, v[2:3]
	v_lshl_add_u64 v[88:89], s[42:43], 0, v[2:3]
	v_mbcnt_lo_u32_b32 v2, -1, 0
	v_add3_u32 v7, v8, v7, v4
	v_mbcnt_hi_u32_b32 v2, -1, v2
	s_mov_b32 s12, 0
	v_lshlrev_b64 v[6:7], 3, v[6:7]
	v_mov_b64_e32 v[90:91], 0
	v_lshlrev_b32_e32 v2, 2, v2
	s_mov_b32 s47, s12
	s_mov_b64 s[48:49], 7
	v_lshl_add_u64 v[82:83], s[40:41], 0, v[6:7]
	v_lshl_add_u64 v[84:85], s[42:43], 0, v[6:7]
	v_and_b32_e32 v99, 0x100, v2
	v_mov_b64_e32 v[50:51], v[90:91]
	s_mov_b64 s[52:53], s[10:11]
.LBB30_3:                               ; =>This Inner Loop Header: Depth=1
	s_add_u32 s14, s10, s48
	s_addc_u32 s15, 0, s49
	v_mov_b64_e32 v[2:3], s[36:37]
	v_cmp_ge_i64_e32 vcc, s[14:15], v[2:3]
	v_lshl_add_u64 v[92:93], s[10:11], 0, v[54:55]
	s_cbranch_vccz .LBB30_25
; %bb.4:                                ;   in Loop: Header=BB30_3 Depth=1
	s_load_dword s9, s[44:45], 0xc
	v_mov_b64_e32 v[96:97], 0
	v_mov_b64_e32 v[94:95], v[96:97]
	s_waitcnt lgkmcnt(0)
	s_and_b32 s9, s9, 0xffff
	v_mad_u32_u24 v2, v98, s9, v1
	v_and_b32_e32 v4, 63, v2
	v_cmp_gt_u32_e32 vcc, 8, v4
	s_and_saveexec_b64 s[14:15], vcc
	s_cbranch_execz .LBB30_8
; %bb.5:                                ;   in Loop: Header=BB30_3 Depth=1
	v_lshl_add_u64 v[2:3], v[92:93], 0, v[4:5]
	v_mov_b64_e32 v[94:95], 0
	v_cmp_gt_i64_e32 vcc, s[36:37], v[2:3]
	v_mov_b64_e32 v[96:97], v[94:95]
	s_and_saveexec_b64 s[16:17], vcc
	s_cbranch_execz .LBB30_7
; %bb.6:                                ;   in Loop: Header=BB30_3 Depth=1
	v_lshlrev_b64 v[2:3], 3, v[2:3]
	v_lshl_add_u64 v[6:7], s[30:31], 0, v[2:3]
	v_lshl_add_u64 v[2:3], s[28:29], 0, v[2:3]
	global_load_dwordx2 v[94:95], v[2:3], off
	global_load_dwordx2 v[96:97], v[6:7], off
.LBB30_7:                               ;   in Loop: Header=BB30_3 Depth=1
	s_or_b64 exec, exec, s[16:17]
.LBB30_8:                               ;   in Loop: Header=BB30_3 Depth=1
	s_or_b64 exec, exec, s[14:15]
	s_mov_b32 s26, s12
	s_mov_b32 s27, s12
	;; [unrolled: 1-line block ×15, first 2 shown]
	v_mov_b64_e32 v[32:33], s[26:27]
	v_cmp_gt_i64_e32 vcc, s[36:37], v[92:93]
	v_mov_b64_e32 v[30:31], s[24:25]
	v_mov_b64_e32 v[28:29], s[22:23]
	;; [unrolled: 1-line block ×8, first 2 shown]
	s_and_b64 s[54:55], s[6:7], vcc
	v_mov_b64_e32 v[46:47], v[30:31]
	v_mov_b64_e32 v[44:45], v[28:29]
	;; [unrolled: 1-line block ×7, first 2 shown]
	s_and_saveexec_b64 s[14:15], s[54:55]
	s_cbranch_execz .LBB30_10
; %bb.9:                                ;   in Loop: Header=BB30_3 Depth=1
	v_lshl_add_u64 v[2:3], v[86:87], 0, v[56:57]
	global_load_dwordx2 v[2:3], v[2:3], off
	v_lshl_add_u64 v[6:7], v[88:89], 0, v[56:57]
	global_load_dwordx2 v[18:19], v[6:7], off
	v_mov_b32_e32 v16, v5
	v_mov_b32_e32 v17, v5
	;; [unrolled: 1-line block ×13, first 2 shown]
	s_waitcnt vmcnt(1)
	v_mov_b64_e32 v[48:49], v[16:17]
	v_mov_b32_e32 v20, v5
	v_mov_b32_e32 v21, v5
	;; [unrolled: 1-line block ×14, first 2 shown]
	v_mov_b64_e32 v[46:47], v[14:15]
	v_mov_b64_e32 v[44:45], v[12:13]
	;; [unrolled: 1-line block ×7, first 2 shown]
.LBB30_10:                              ;   in Loop: Header=BB30_3 Depth=1
	s_or_b64 exec, exec, s[14:15]
	v_lshl_add_u64 v[2:3], v[92:93], 0, 1
	v_cmp_gt_i64_e32 vcc, s[36:37], v[2:3]
	s_and_b64 s[16:17], s[6:7], vcc
	s_and_saveexec_b64 s[14:15], s[16:17]
	s_cbranch_execz .LBB30_12
; %bb.11:                               ;   in Loop: Header=BB30_3 Depth=1
	v_lshl_add_u64 v[2:3], v[82:83], 0, v[56:57]
	global_load_dwordx2 v[36:37], v[2:3], off
	v_lshl_add_u64 v[2:3], v[84:85], 0, v[56:57]
	global_load_dwordx2 v[20:21], v[2:3], off
.LBB30_12:                              ;   in Loop: Header=BB30_3 Depth=1
	s_or_b64 exec, exec, s[14:15]
	v_lshl_add_u64 v[2:3], v[92:93], 0, 2
	v_cmp_gt_i64_e32 vcc, s[36:37], v[2:3]
	s_and_b64 s[16:17], s[6:7], vcc
	s_and_saveexec_b64 s[14:15], s[16:17]
	s_cbranch_execz .LBB30_14
; %bb.13:                               ;   in Loop: Header=BB30_3 Depth=1
	v_lshl_add_u64 v[2:3], v[78:79], 0, v[56:57]
	global_load_dwordx2 v[38:39], v[2:3], off
	v_lshl_add_u64 v[2:3], v[80:81], 0, v[56:57]
	global_load_dwordx2 v[22:23], v[2:3], off
.LBB30_14:                              ;   in Loop: Header=BB30_3 Depth=1
	;; [unrolled: 12-line block ×7, first 2 shown]
	s_or_b64 exec, exec, s[14:15]
	s_waitcnt vmcnt(1)
	ds_bpermute_b32 v2, v99, v94
	ds_bpermute_b32 v3, v99, v95
	s_waitcnt vmcnt(0)
	ds_bpermute_b32 v6, v99, v96
	ds_bpermute_b32 v7, v99, v97
	ds_bpermute_b32 v8, v99, v94 offset:4
	ds_bpermute_b32 v9, v99, v95 offset:4
	s_waitcnt lgkmcnt(4)
	v_add_f64 v[2:3], v[18:19], -v[2:3]
	v_mul_f64 v[2:3], v[34:35], v[2:3]
	s_waitcnt lgkmcnt(2)
	v_fma_f64 v[52:53], v[2:3], v[6:7], v[90:91]
	ds_bpermute_b32 v6, v99, v96 offset:4
	ds_bpermute_b32 v7, v99, v97 offset:4
	;; [unrolled: 1-line block ×4, first 2 shown]
	s_waitcnt lgkmcnt(4)
	v_add_f64 v[8:9], v[20:21], -v[8:9]
	v_mul_f64 v[8:9], v[36:37], v[8:9]
	s_waitcnt lgkmcnt(2)
	v_fmac_f64_e32 v[52:53], v[8:9], v[6:7]
	ds_bpermute_b32 v6, v99, v96 offset:8
	ds_bpermute_b32 v7, v99, v97 offset:8
	s_waitcnt lgkmcnt(2)
	v_add_f64 v[8:9], v[22:23], -v[10:11]
	ds_bpermute_b32 v10, v99, v94 offset:12
	ds_bpermute_b32 v11, v99, v95 offset:12
	v_mul_f64 v[8:9], v[38:39], v[8:9]
	s_waitcnt lgkmcnt(2)
	v_fmac_f64_e32 v[52:53], v[8:9], v[6:7]
	ds_bpermute_b32 v6, v99, v96 offset:12
	ds_bpermute_b32 v7, v99, v97 offset:12
	s_waitcnt lgkmcnt(2)
	v_add_f64 v[8:9], v[24:25], -v[10:11]
	ds_bpermute_b32 v10, v99, v94 offset:16
	ds_bpermute_b32 v11, v99, v95 offset:16
	;; [unrolled: 9-line block ×3, first 2 shown]
	v_mul_f64 v[8:9], v[42:43], v[8:9]
	v_add_f64 v[2:3], v[50:51], v[34:35]
	s_waitcnt lgkmcnt(2)
	v_fmac_f64_e32 v[52:53], v[8:9], v[6:7]
	ds_bpermute_b32 v6, v99, v96 offset:20
	ds_bpermute_b32 v7, v99, v97 offset:20
	v_add_f64 v[2:3], v[36:37], v[2:3]
	v_add_f64 v[2:3], v[38:39], v[2:3]
	s_waitcnt lgkmcnt(2)
	v_add_f64 v[8:9], v[28:29], -v[10:11]
	ds_bpermute_b32 v10, v99, v94 offset:24
	ds_bpermute_b32 v11, v99, v95 offset:24
	v_add_f64 v[2:3], v[40:41], v[2:3]
	v_add_f64 v[2:3], v[42:43], v[2:3]
	v_mul_f64 v[8:9], v[44:45], v[8:9]
	ds_bpermute_b32 v12, v99, v96 offset:24
	ds_bpermute_b32 v13, v99, v97 offset:24
	s_waitcnt lgkmcnt(4)
	v_fmac_f64_e32 v[52:53], v[8:9], v[6:7]
	v_add_f64 v[8:9], v[44:45], v[2:3]
	ds_bpermute_b32 v2, v99, v96 offset:28
	ds_bpermute_b32 v3, v99, v97 offset:28
	;; [unrolled: 1-line block ×4, first 2 shown]
	s_waitcnt lgkmcnt(6)
	v_add_f64 v[10:11], v[30:31], -v[10:11]
	v_mul_f64 v[10:11], v[46:47], v[10:11]
	s_waitcnt lgkmcnt(4)
	v_fmac_f64_e32 v[52:53], v[10:11], v[12:13]
	v_add_f64 v[8:9], v[46:47], v[8:9]
	s_branch .LBB30_40
.LBB30_25:                              ;   in Loop: Header=BB30_3 Depth=1
                                        ; implicit-def: $vgpr2_vgpr3
                                        ; implicit-def: $vgpr18_vgpr19_vgpr20_vgpr21_vgpr22_vgpr23_vgpr24_vgpr25_vgpr26_vgpr27_vgpr28_vgpr29_vgpr30_vgpr31_vgpr32_vgpr33
                                        ; implicit-def: $vgpr34_vgpr35_vgpr36_vgpr37_vgpr38_vgpr39_vgpr40_vgpr41_vgpr42_vgpr43_vgpr44_vgpr45_vgpr46_vgpr47_vgpr48_vgpr49
                                        ; implicit-def: $vgpr6
                                        ; implicit-def: $vgpr8_vgpr9
                                        ; implicit-def: $vgpr52_vgpr53
	s_cbranch_execz .LBB30_40
; %bb.26:                               ;   in Loop: Header=BB30_3 Depth=1
	s_load_dword s9, s[44:45], 0x0
	v_mov_b64_e32 v[94:95], 0
	v_mov_b64_e32 v[52:53], v[94:95]
	s_waitcnt lgkmcnt(0)
	s_cmp_lt_u32 s2, s9
	s_cselect_b32 s9, 12, 18
	s_add_u32 s14, s44, s9
	s_addc_u32 s15, s45, 0
	global_load_ushort v2, v5, s[14:15]
	s_waitcnt vmcnt(0)
	v_mad_u32_u24 v2, v98, v2, v1
	v_and_b32_e32 v4, 63, v2
	v_cmp_gt_u32_e32 vcc, 8, v4
	s_and_saveexec_b64 s[14:15], vcc
	s_cbranch_execz .LBB30_30
; %bb.27:                               ;   in Loop: Header=BB30_3 Depth=1
	v_lshl_add_u64 v[2:3], v[92:93], 0, v[4:5]
	v_mov_b64_e32 v[52:53], 0
	v_cmp_gt_i64_e32 vcc, s[36:37], v[2:3]
	v_mov_b64_e32 v[94:95], v[52:53]
	s_and_saveexec_b64 s[16:17], vcc
	s_cbranch_execz .LBB30_29
; %bb.28:                               ;   in Loop: Header=BB30_3 Depth=1
	v_lshlrev_b64 v[2:3], 3, v[2:3]
	v_lshl_add_u64 v[6:7], s[30:31], 0, v[2:3]
	v_lshl_add_u64 v[2:3], s[28:29], 0, v[2:3]
	global_load_dwordx2 v[52:53], v[2:3], off
	global_load_dwordx2 v[94:95], v[6:7], off
.LBB30_29:                              ;   in Loop: Header=BB30_3 Depth=1
	s_or_b64 exec, exec, s[16:17]
.LBB30_30:                              ;   in Loop: Header=BB30_3 Depth=1
	s_or_b64 exec, exec, s[14:15]
	s_mov_b32 s26, s12
	s_mov_b32 s27, s12
	;; [unrolled: 1-line block ×15, first 2 shown]
	v_mov_b64_e32 v[32:33], s[26:27]
	v_mov_b64_e32 v[30:31], s[24:25]
	;; [unrolled: 1-line block ×16, first 2 shown]
	s_and_saveexec_b64 s[14:15], s[6:7]
	s_cbranch_execnz .LBB30_42
; %bb.31:                               ;   in Loop: Header=BB30_3 Depth=1
	s_or_b64 exec, exec, s[14:15]
	s_and_saveexec_b64 s[14:15], s[6:7]
	s_cbranch_execnz .LBB30_43
.LBB30_32:                              ;   in Loop: Header=BB30_3 Depth=1
	s_or_b64 exec, exec, s[14:15]
	s_and_saveexec_b64 s[14:15], s[6:7]
	s_cbranch_execnz .LBB30_44
.LBB30_33:                              ;   in Loop: Header=BB30_3 Depth=1
	s_or_b64 exec, exec, s[14:15]
	s_and_saveexec_b64 s[14:15], s[6:7]
	s_cbranch_execnz .LBB30_45
.LBB30_34:                              ;   in Loop: Header=BB30_3 Depth=1
	s_or_b64 exec, exec, s[14:15]
	s_and_saveexec_b64 s[14:15], s[6:7]
	s_cbranch_execnz .LBB30_46
.LBB30_35:                              ;   in Loop: Header=BB30_3 Depth=1
	s_or_b64 exec, exec, s[14:15]
	s_and_saveexec_b64 s[14:15], s[6:7]
	s_cbranch_execnz .LBB30_47
.LBB30_36:                              ;   in Loop: Header=BB30_3 Depth=1
	s_or_b64 exec, exec, s[14:15]
	s_and_saveexec_b64 s[14:15], s[6:7]
	s_cbranch_execnz .LBB30_48
.LBB30_37:                              ;   in Loop: Header=BB30_3 Depth=1
	s_or_b64 exec, exec, s[14:15]
	s_and_saveexec_b64 s[14:15], s[6:7]
	s_cbranch_execz .LBB30_39
.LBB30_38:                              ;   in Loop: Header=BB30_3 Depth=1
	v_lshl_add_u64 v[2:3], v[58:59], 0, v[56:57]
	global_load_dwordx2 v[48:49], v[2:3], off
	v_lshl_add_u64 v[2:3], v[60:61], 0, v[56:57]
	global_load_dwordx2 v[32:33], v[2:3], off
.LBB30_39:                              ;   in Loop: Header=BB30_3 Depth=1
	s_or_b64 exec, exec, s[14:15]
	s_waitcnt vmcnt(1)
	ds_bpermute_b32 v2, v99, v52
	ds_bpermute_b32 v3, v99, v53
	s_waitcnt vmcnt(0)
	ds_bpermute_b32 v6, v99, v94
	ds_bpermute_b32 v7, v99, v95
	ds_bpermute_b32 v8, v99, v52 offset:4
	ds_bpermute_b32 v9, v99, v53 offset:4
	s_waitcnt lgkmcnt(4)
	v_add_f64 v[2:3], v[18:19], -v[2:3]
	v_mul_f64 v[2:3], v[34:35], v[2:3]
	s_waitcnt lgkmcnt(2)
	v_fmac_f64_e32 v[90:91], v[2:3], v[6:7]
	ds_bpermute_b32 v6, v99, v94 offset:4
	ds_bpermute_b32 v7, v99, v95 offset:4
	;; [unrolled: 1-line block ×4, first 2 shown]
	s_waitcnt lgkmcnt(4)
	v_add_f64 v[8:9], v[20:21], -v[8:9]
	v_mul_f64 v[8:9], v[36:37], v[8:9]
	s_waitcnt lgkmcnt(2)
	v_fmac_f64_e32 v[90:91], v[8:9], v[6:7]
	ds_bpermute_b32 v6, v99, v94 offset:8
	ds_bpermute_b32 v7, v99, v95 offset:8
	s_waitcnt lgkmcnt(2)
	v_add_f64 v[8:9], v[22:23], -v[10:11]
	ds_bpermute_b32 v10, v99, v52 offset:12
	ds_bpermute_b32 v11, v99, v53 offset:12
	v_mul_f64 v[8:9], v[38:39], v[8:9]
	s_waitcnt lgkmcnt(2)
	v_fmac_f64_e32 v[90:91], v[8:9], v[6:7]
	ds_bpermute_b32 v6, v99, v94 offset:12
	ds_bpermute_b32 v7, v99, v95 offset:12
	s_waitcnt lgkmcnt(2)
	v_add_f64 v[8:9], v[24:25], -v[10:11]
	ds_bpermute_b32 v10, v99, v52 offset:16
	ds_bpermute_b32 v11, v99, v53 offset:16
	;; [unrolled: 9-line block ×4, first 2 shown]
	v_add_f64 v[2:3], v[50:51], v[34:35]
	ds_bpermute_b32 v12, v99, v94 offset:24
	ds_bpermute_b32 v13, v99, v95 offset:24
	v_add_f64 v[2:3], v[36:37], v[2:3]
	v_add_f64 v[2:3], v[38:39], v[2:3]
	;; [unrolled: 1-line block ×3, first 2 shown]
	v_mul_f64 v[8:9], v[44:45], v[8:9]
	s_waitcnt lgkmcnt(2)
	v_add_f64 v[10:11], v[30:31], -v[10:11]
	v_add_f64 v[2:3], v[42:43], v[2:3]
	v_fmac_f64_e32 v[90:91], v[8:9], v[6:7]
	v_mul_f64 v[10:11], v[46:47], v[10:11]
	v_add_f64 v[8:9], v[44:45], v[2:3]
	s_waitcnt lgkmcnt(0)
	v_fmac_f64_e32 v[90:91], v[10:11], v[12:13]
	ds_bpermute_b32 v2, v99, v94 offset:28
	ds_bpermute_b32 v3, v99, v95 offset:28
	;; [unrolled: 1-line block ×4, first 2 shown]
	v_add_f64 v[8:9], v[46:47], v[8:9]
	v_mov_b64_e32 v[52:53], v[90:91]
.LBB30_40:                              ;   in Loop: Header=BB30_3 Depth=1
	s_waitcnt lgkmcnt(0)
	v_add_f64 v[6:7], v[32:33], -v[6:7]
	v_mul_f64 v[6:7], v[48:49], v[6:7]
	s_add_u32 s52, s52, s46
	v_fmac_f64_e32 v[52:53], v[6:7], v[2:3]
	s_addc_u32 s53, s53, 0
	v_mov_b64_e32 v[2:3], s[36:37]
	s_add_u32 s48, s48, s46
	v_cmp_lt_i64_e32 vcc, s[52:53], v[2:3]
	v_add_f64 v[50:51], v[8:9], v[48:49]
	v_lshl_add_u64 v[58:59], v[58:59], 0, s[50:51]
	v_lshl_add_u64 v[60:61], v[60:61], 0, s[50:51]
	;; [unrolled: 1-line block ×17, first 2 shown]
	s_addc_u32 s49, s49, 0
	s_cbranch_vccz .LBB30_50
; %bb.41:                               ;   in Loop: Header=BB30_3 Depth=1
	v_mov_b64_e32 v[90:91], v[52:53]
	s_branch .LBB30_3
.LBB30_42:                              ;   in Loop: Header=BB30_3 Depth=1
	v_lshl_add_u64 v[2:3], v[86:87], 0, v[56:57]
	global_load_dwordx2 v[2:3], v[2:3], off
	v_lshl_add_u64 v[6:7], v[88:89], 0, v[56:57]
	global_load_dwordx2 v[18:19], v[6:7], off
	v_mov_b32_e32 v16, v5
	v_mov_b32_e32 v17, v5
	;; [unrolled: 1-line block ×13, first 2 shown]
	s_waitcnt vmcnt(1)
	v_mov_b64_e32 v[48:49], v[16:17]
	v_mov_b32_e32 v20, v5
	v_mov_b32_e32 v21, v5
	;; [unrolled: 1-line block ×14, first 2 shown]
	v_mov_b64_e32 v[46:47], v[14:15]
	v_mov_b64_e32 v[44:45], v[12:13]
	;; [unrolled: 1-line block ×7, first 2 shown]
	s_or_b64 exec, exec, s[14:15]
	s_and_saveexec_b64 s[14:15], s[6:7]
	s_cbranch_execz .LBB30_32
.LBB30_43:                              ;   in Loop: Header=BB30_3 Depth=1
	v_lshl_add_u64 v[2:3], v[82:83], 0, v[56:57]
	global_load_dwordx2 v[36:37], v[2:3], off
	v_lshl_add_u64 v[2:3], v[84:85], 0, v[56:57]
	global_load_dwordx2 v[20:21], v[2:3], off
	s_or_b64 exec, exec, s[14:15]
	s_and_saveexec_b64 s[14:15], s[6:7]
	s_cbranch_execz .LBB30_33
.LBB30_44:                              ;   in Loop: Header=BB30_3 Depth=1
	v_lshl_add_u64 v[2:3], v[78:79], 0, v[56:57]
	global_load_dwordx2 v[38:39], v[2:3], off
	v_lshl_add_u64 v[2:3], v[80:81], 0, v[56:57]
	global_load_dwordx2 v[22:23], v[2:3], off
	s_or_b64 exec, exec, s[14:15]
	s_and_saveexec_b64 s[14:15], s[6:7]
	s_cbranch_execz .LBB30_34
.LBB30_45:                              ;   in Loop: Header=BB30_3 Depth=1
	v_lshl_add_u64 v[2:3], v[74:75], 0, v[56:57]
	global_load_dwordx2 v[40:41], v[2:3], off
	v_lshl_add_u64 v[2:3], v[76:77], 0, v[56:57]
	global_load_dwordx2 v[24:25], v[2:3], off
	s_or_b64 exec, exec, s[14:15]
	s_and_saveexec_b64 s[14:15], s[6:7]
	s_cbranch_execz .LBB30_35
.LBB30_46:                              ;   in Loop: Header=BB30_3 Depth=1
	v_lshl_add_u64 v[2:3], v[70:71], 0, v[56:57]
	global_load_dwordx2 v[42:43], v[2:3], off
	v_lshl_add_u64 v[2:3], v[72:73], 0, v[56:57]
	global_load_dwordx2 v[26:27], v[2:3], off
	s_or_b64 exec, exec, s[14:15]
	s_and_saveexec_b64 s[14:15], s[6:7]
	s_cbranch_execz .LBB30_36
.LBB30_47:                              ;   in Loop: Header=BB30_3 Depth=1
	v_lshl_add_u64 v[2:3], v[66:67], 0, v[56:57]
	global_load_dwordx2 v[44:45], v[2:3], off
	v_lshl_add_u64 v[2:3], v[68:69], 0, v[56:57]
	global_load_dwordx2 v[28:29], v[2:3], off
	s_or_b64 exec, exec, s[14:15]
	s_and_saveexec_b64 s[14:15], s[6:7]
	s_cbranch_execz .LBB30_37
.LBB30_48:                              ;   in Loop: Header=BB30_3 Depth=1
	v_lshl_add_u64 v[2:3], v[62:63], 0, v[56:57]
	global_load_dwordx2 v[46:47], v[2:3], off
	v_lshl_add_u64 v[2:3], v[64:65], 0, v[56:57]
	global_load_dwordx2 v[30:31], v[2:3], off
	s_or_b64 exec, exec, s[14:15]
	s_and_saveexec_b64 s[14:15], s[6:7]
	s_cbranch_execnz .LBB30_38
	s_branch .LBB30_39
.LBB30_49:
	s_mov_b64 s[34:35], -1
                                        ; implicit-def: $vgpr50_vgpr51
                                        ; implicit-def: $vgpr52_vgpr53
.LBB30_50:
	s_andn2_b64 vcc, exec, s[34:35]
	s_cbranch_vccnz .LBB30_82
; %bb.51:
	v_mov_b64_e32 v[50:51], 0
	s_and_b64 vcc, exec, s[4:5]
	v_mov_b64_e32 v[52:53], v[50:51]
	s_cbranch_vccnz .LBB30_82
; %bb.52:
	v_and_b32_e32 v1, 0x3ff, v0
	v_add_u32_e32 v4, s3, v1
	v_mov_b32_e32 v5, 0
	v_bfe_u32 v112, v0, 10, 10
	v_lshlrev_b64 v[40:41], 3, v[4:5]
	v_lshlrev_b32_e32 v4, 6, v112
	v_lshl_add_u64 v[2:3], s[10:11], 3, v[4:5]
	v_lshl_add_u64 v[6:7], v[2:3], 0, 8
	v_mov_b64_e32 v[8:9], s[40:41]
	v_mov_b64_e32 v[18:19], s[42:43]
	v_mad_u64_u32 v[42:43], s[4:5], s38, v6, v[8:9]
	v_mul_lo_u32 v4, s38, v7
	v_mul_lo_u32 v7, s39, v6
	v_mad_u64_u32 v[56:57], s[4:5], s38, v6, v[18:19]
	v_lshlrev_b32_e32 v38, 3, v112
	v_mov_b32_e32 v39, v5
	v_add3_u32 v43, v7, v43, v4
	v_lshl_add_u64 v[10:11], v[2:3], 0, 16
	v_lshl_add_u64 v[12:13], v[2:3], 0, 24
	;; [unrolled: 1-line block ×4, first 2 shown]
	v_add3_u32 v57, v7, v57, v4
	v_lshl_add_u64 v[6:7], v[2:3], 0, 48
	v_lshl_add_u64 v[2:3], v[2:3], 0, 56
	v_mad_u64_u32 v[44:45], s[4:5], s38, v10, v[8:9]
	v_mul_lo_u32 v20, s39, v10
	v_mad_u64_u32 v[46:47], s[4:5], s38, v12, v[8:9]
	v_mad_u64_u32 v[48:49], s[4:5], s38, v14, v[8:9]
	;; [unrolled: 1-line block ×6, first 2 shown]
	v_mul_lo_u32 v3, s38, v3
	v_mul_lo_u32 v10, s39, v2
	v_lshl_add_u64 v[8:9], v[38:39], 0, s[10:11]
	v_mad_u64_u32 v[72:73], s[4:5], s38, v2, v[18:19]
	v_mul_lo_u32 v4, s38, v7
	v_mul_lo_u32 v7, s39, v6
	v_add3_u32 v65, v10, v65, v3
	v_mad_u64_u32 v[70:71], s[4:5], s38, v6, v[18:19]
	v_add3_u32 v73, v10, v73, v3
	v_lshl_add_u64 v[2:3], v[8:9], 0, 7
	v_add3_u32 v61, v7, v61, v4
	v_add3_u32 v71, v7, v71, v4
	v_mul_lo_u32 v4, s39, v2
	v_mul_lo_u32 v6, s38, v3
	v_mad_u64_u32 v[2:3], s[4:5], s38, v2, 0
	v_add3_u32 v3, v3, v6, v4
	v_lshl_add_u64 v[6:7], v[8:9], 0, 6
	v_mul_lo_u32 v11, s38, v11
	v_mul_lo_u32 v4, s39, v6
	;; [unrolled: 1-line block ×3, first 2 shown]
	v_mad_u64_u32 v[6:7], s[4:5], s38, v6, 0
	v_add3_u32 v45, v20, v45, v11
	v_add3_u32 v59, v20, v59, v11
	v_add3_u32 v7, v7, v10, v4
	v_lshl_add_u64 v[10:11], v[8:9], 0, 5
	v_mul_lo_u32 v13, s38, v13
	v_mul_lo_u32 v21, s39, v12
	v_mad_u64_u32 v[62:63], s[4:5], s38, v12, v[18:19]
	v_mul_lo_u32 v4, s39, v10
	v_mul_lo_u32 v12, s38, v11
	v_mad_u64_u32 v[10:11], s[4:5], s38, v10, 0
	v_add3_u32 v47, v21, v47, v13
	v_add3_u32 v63, v21, v63, v13
	v_add3_u32 v11, v11, v12, v4
	v_lshl_add_u64 v[12:13], v[8:9], 0, 4
	v_mul_lo_u32 v15, s38, v15
	v_mul_lo_u32 v22, s39, v14
	v_mad_u64_u32 v[66:67], s[4:5], s38, v14, v[18:19]
	v_mul_lo_u32 v4, s39, v12
	v_mul_lo_u32 v14, s38, v13
	;; [unrolled: 10-line block ×3, first 2 shown]
	v_mad_u64_u32 v[14:15], s[4:5], s38, v14, 0
	v_lshlrev_b64 v[2:3], 3, v[2:3]
	v_add3_u32 v55, v23, v55, v17
	v_add3_u32 v69, v23, v69, v17
	;; [unrolled: 1-line block ×3, first 2 shown]
	v_lshl_add_u64 v[16:17], v[8:9], 0, 2
	v_lshl_add_u64 v[78:79], s[40:41], 0, v[2:3]
	;; [unrolled: 1-line block ×3, first 2 shown]
	v_lshlrev_b64 v[2:3], 3, v[6:7]
	v_mul_lo_u32 v4, s39, v16
	v_mul_lo_u32 v18, s38, v17
	v_mad_u64_u32 v[16:17], s[4:5], s38, v16, 0
	s_load_dword s3, s[0:1], 0x44
	v_lshl_add_u64 v[82:83], s[40:41], 0, v[2:3]
	v_lshl_add_u64 v[84:85], s[42:43], 0, v[2:3]
	v_lshlrev_b64 v[2:3], 3, v[10:11]
	v_add3_u32 v17, v17, v18, v4
	v_mov_b64_e32 v[18:19], s[38:39]
	v_lshl_add_u64 v[86:87], s[40:41], 0, v[2:3]
	v_lshl_add_u64 v[88:89], s[42:43], 0, v[2:3]
	v_lshlrev_b64 v[2:3], 3, v[12:13]
	v_mad_u64_u32 v[18:19], s[4:5], s38, v8, v[18:19]
	v_mul_lo_u32 v4, s39, v8
	v_mul_lo_u32 v20, s38, v9
	v_lshl_add_u64 v[90:91], s[40:41], 0, v[2:3]
	v_lshl_add_u64 v[92:93], s[42:43], 0, v[2:3]
	v_lshlrev_b64 v[2:3], 3, v[14:15]
	v_mad_u64_u32 v[8:9], s[4:5], s38, v8, 0
	v_add3_u32 v19, v4, v19, v20
	v_lshl_add_u64 v[94:95], s[40:41], 0, v[2:3]
	v_lshl_add_u64 v[96:97], s[42:43], 0, v[2:3]
	v_lshlrev_b64 v[2:3], 3, v[16:17]
	s_add_u32 s4, s0, 64
	v_lshl_add_u64 v[98:99], s[40:41], 0, v[2:3]
	v_lshl_add_u64 v[100:101], s[42:43], 0, v[2:3]
	v_lshlrev_b64 v[2:3], 3, v[18:19]
	s_addc_u32 s5, s1, 0
	s_waitcnt lgkmcnt(0)
	s_lshl_b32 s6, s3, 3
	v_lshl_add_u64 v[102:103], s[40:41], 0, v[2:3]
	v_lshl_add_u64 v[104:105], s[42:43], 0, v[2:3]
	v_mbcnt_lo_u32_b32 v2, -1, 0
	v_add3_u32 v9, v9, v20, v4
	s_mul_i32 s3, s39, s6
	s_mul_hi_u32 s9, s38, s6
	v_mbcnt_hi_u32_b32 v2, -1, v2
	s_mov_b32 s12, 0
	s_add_i32 s15, s9, s3
	s_mul_i32 s14, s38, s6
	v_lshlrev_b64 v[8:9], 3, v[8:9]
	v_lshlrev_b32_e32 v2, 2, v2
	v_mov_b64_e32 v[52:53], 0
	s_mov_b32 s7, s12
	s_lshl_b64 s[34:35], s[14:15], 3
	v_lshl_add_u64 v[74:75], s[40:41], 0, v[8:9]
	v_lshl_add_u64 v[76:77], s[42:43], 0, v[8:9]
	s_mov_b64 s[44:45], 7
	v_and_b32_e32 v113, 0x100, v2
	s_mov_b64 s[40:41], s[10:11]
	v_mov_b64_e32 v[50:51], v[52:53]
	s_branch .LBB30_56
.LBB30_53:                              ;   in Loop: Header=BB30_56 Depth=1
	s_or_b64 exec, exec, s[16:17]
.LBB30_54:                              ;   in Loop: Header=BB30_56 Depth=1
	s_or_b64 exec, exec, s[14:15]
	v_lshl_add_u64 v[12:13], v[58:59], 0, v[40:41]
	global_load_dwordx2 v[12:13], v[12:13], off
	v_lshl_add_u64 v[14:15], v[62:63], 0, v[40:41]
	global_load_dwordx2 v[14:15], v[14:15], off
	;; [unrolled: 2-line block ×3, first 2 shown]
	v_lshl_add_u64 v[10:11], v[56:57], 0, v[40:41]
	v_lshl_add_u64 v[18:19], v[74:75], 0, v[40:41]
	global_load_dwordx2 v[10:11], v[10:11], off
	v_lshl_add_u64 v[16:17], v[66:67], 0, v[40:41]
	global_load_dwordx2 v[18:19], v[18:19], off
	;; [unrolled: 2-line block ×4, first 2 shown]
	global_load_dwordx2 v[26:27], v[22:23], off
	s_waitcnt vmcnt(9)
	ds_bpermute_b32 v106, v113, v6 offset:8
	ds_bpermute_b32 v107, v113, v7 offset:8
	;; [unrolled: 1-line block ×4, first 2 shown]
	ds_bpermute_b32 v34, v113, v6
	ds_bpermute_b32 v35, v113, v7
	ds_bpermute_b32 v36, v113, v6 offset:4
	ds_bpermute_b32 v37, v113, v7 offset:4
	v_lshl_add_u64 v[20:21], v[46:47], 0, v[40:41]
	ds_bpermute_b32 v110, v113, v6 offset:16
	ds_bpermute_b32 v111, v113, v7 offset:16
	global_load_dwordx2 v[120:121], v[20:21], off
	s_waitcnt vmcnt(9)
	ds_bpermute_b32 v20, v113, v2 offset:8
	ds_bpermute_b32 v21, v113, v3 offset:8
	v_lshl_add_u64 v[30:31], v[68:69], 0, v[40:41]
	ds_bpermute_b32 v114, v113, v6 offset:20
	ds_bpermute_b32 v115, v113, v7 offset:20
	;; [unrolled: 1-line block ×6, first 2 shown]
	v_lshl_add_u64 v[6:7], v[70:71], 0, v[40:41]
	global_load_dwordx2 v[30:31], v[30:31], off
	v_lshl_add_u64 v[22:23], v[48:49], 0, v[40:41]
	global_load_dwordx2 v[6:7], v[6:7], off
	v_lshl_add_u64 v[28:29], v[54:55], 0, v[40:41]
	v_lshl_add_u64 v[32:33], v[60:61], 0, v[40:41]
	s_waitcnt vmcnt(10) lgkmcnt(14)
	v_add_f64 v[12:13], v[12:13], -v[106:107]
	ds_bpermute_b32 v106, v113, v2
	ds_bpermute_b32 v107, v113, v3
	s_waitcnt vmcnt(9)
	v_add_f64 v[14:15], v[14:15], -v[108:109]
	ds_bpermute_b32 v108, v113, v2 offset:4
	ds_bpermute_b32 v109, v113, v3 offset:4
	s_waitcnt vmcnt(8) lgkmcnt(14)
	v_add_f64 v[8:9], v[8:9], -v[34:35]
	s_waitcnt vmcnt(7)
	v_add_f64 v[10:11], v[10:11], -v[36:37]
	v_lshl_add_u64 v[36:37], v[72:73], 0, v[40:41]
	s_waitcnt vmcnt(6)
	v_mul_f64 v[8:9], v[18:19], v[8:9]
	s_waitcnt lgkmcnt(2)
	v_fmac_f64_e32 v[52:53], v[8:9], v[106:107]
	v_lshl_add_u64 v[34:35], v[64:65], 0, v[40:41]
	s_waitcnt vmcnt(4)
	v_mul_f64 v[10:11], v[24:25], v[10:11]
	v_add_f64 v[16:17], v[16:17], -v[110:111]
	global_load_dwordx2 v[110:111], v[22:23], off
	global_load_dwordx2 v[122:123], v[28:29], off
	;; [unrolled: 1-line block ×3, first 2 shown]
	s_waitcnt vmcnt(6)
	v_mul_f64 v[12:13], v[26:27], v[12:13]
	global_load_dwordx2 v[22:23], v[36:37], off
	s_waitcnt lgkmcnt(0)
	v_fmac_f64_e32 v[52:53], v[10:11], v[108:109]
	v_fmac_f64_e32 v[52:53], v[12:13], v[20:21]
	global_load_dwordx2 v[20:21], v[34:35], off
	ds_bpermute_b32 v10, v113, v2 offset:12
	ds_bpermute_b32 v11, v113, v3 offset:12
	v_add_f64 v[28:29], v[50:51], v[18:19]
	ds_bpermute_b32 v12, v113, v2 offset:16
	ds_bpermute_b32 v13, v113, v3 offset:16
	v_add_f64 v[18:19], v[28:29], v[24:25]
	ds_bpermute_b32 v24, v113, v2 offset:20
	ds_bpermute_b32 v25, v113, v3 offset:20
	v_add_f64 v[18:19], v[18:19], v[26:27]
	ds_bpermute_b32 v26, v113, v2 offset:24
	ds_bpermute_b32 v27, v113, v3 offset:24
	s_waitcnt vmcnt(7)
	v_mul_f64 v[14:15], v[120:121], v[14:15]
	ds_bpermute_b32 v2, v113, v2 offset:28
	ds_bpermute_b32 v3, v113, v3 offset:28
	s_waitcnt lgkmcnt(8)
	v_fmac_f64_e32 v[52:53], v[14:15], v[10:11]
	v_add_f64 v[18:19], v[18:19], v[120:121]
	s_waitcnt vmcnt(6)
	v_add_f64 v[8:9], v[30:31], -v[114:115]
	s_waitcnt vmcnt(5)
	v_add_f64 v[6:7], v[6:7], -v[116:117]
	s_waitcnt vmcnt(4)
	v_mul_f64 v[16:17], v[110:111], v[16:17]
	s_waitcnt vmcnt(3)
	v_mul_f64 v[8:9], v[122:123], v[8:9]
	s_waitcnt lgkmcnt(6)
	v_fmac_f64_e32 v[52:53], v[16:17], v[12:13]
	s_waitcnt vmcnt(2)
	v_mul_f64 v[6:7], v[124:125], v[6:7]
	v_add_f64 v[18:19], v[18:19], v[110:111]
	s_waitcnt lgkmcnt(4)
	v_fmac_f64_e32 v[52:53], v[8:9], v[24:25]
	s_waitcnt vmcnt(1)
	v_add_f64 v[8:9], v[22:23], -v[118:119]
	v_add_f64 v[10:11], v[18:19], v[122:123]
	s_waitcnt lgkmcnt(2)
	v_fmac_f64_e32 v[52:53], v[6:7], v[26:27]
	s_waitcnt vmcnt(0)
	v_mul_f64 v[8:9], v[20:21], v[8:9]
	v_add_f64 v[6:7], v[10:11], v[124:125]
	s_waitcnt lgkmcnt(0)
	v_mul_f64 v[8:9], v[8:9], v[2:3]
	v_mov_b64_e32 v[2:3], v[52:53]
.LBB30_55:                              ;   in Loop: Header=BB30_56 Depth=1
	s_add_u32 s40, s40, s6
	v_add_f64 v[52:53], v[2:3], v[8:9]
	s_addc_u32 s41, s41, 0
	v_mov_b64_e32 v[2:3], s[36:37]
	s_add_u32 s44, s44, s6
	v_cmp_ge_i64_e32 vcc, s[40:41], v[2:3]
	v_add_f64 v[50:51], v[6:7], v[20:21]
	v_lshl_add_u64 v[38:39], v[38:39], 0, s[6:7]
	v_lshl_add_u64 v[42:43], v[42:43], 0, s[34:35]
	v_lshl_add_u64 v[44:45], v[44:45], 0, s[34:35]
	v_lshl_add_u64 v[46:47], v[46:47], 0, s[34:35]
	v_lshl_add_u64 v[48:49], v[48:49], 0, s[34:35]
	v_lshl_add_u64 v[54:55], v[54:55], 0, s[34:35]
	v_lshl_add_u64 v[60:61], v[60:61], 0, s[34:35]
	v_lshl_add_u64 v[64:65], v[64:65], 0, s[34:35]
	v_lshl_add_u64 v[74:75], v[74:75], 0, s[34:35]
	v_lshl_add_u64 v[56:57], v[56:57], 0, s[34:35]
	v_lshl_add_u64 v[58:59], v[58:59], 0, s[34:35]
	v_lshl_add_u64 v[62:63], v[62:63], 0, s[34:35]
	v_lshl_add_u64 v[66:67], v[66:67], 0, s[34:35]
	v_lshl_add_u64 v[68:69], v[68:69], 0, s[34:35]
	v_lshl_add_u64 v[70:71], v[70:71], 0, s[34:35]
	v_lshl_add_u64 v[72:73], v[72:73], 0, s[34:35]
	v_lshl_add_u64 v[76:77], v[76:77], 0, s[34:35]
	v_lshl_add_u64 v[78:79], v[78:79], 0, s[34:35]
	v_lshl_add_u64 v[80:81], v[80:81], 0, s[34:35]
	v_lshl_add_u64 v[82:83], v[82:83], 0, s[34:35]
	v_lshl_add_u64 v[84:85], v[84:85], 0, s[34:35]
	v_lshl_add_u64 v[86:87], v[86:87], 0, s[34:35]
	v_lshl_add_u64 v[88:89], v[88:89], 0, s[34:35]
	v_lshl_add_u64 v[90:91], v[90:91], 0, s[34:35]
	v_lshl_add_u64 v[92:93], v[92:93], 0, s[34:35]
	v_lshl_add_u64 v[94:95], v[94:95], 0, s[34:35]
	v_lshl_add_u64 v[96:97], v[96:97], 0, s[34:35]
	v_lshl_add_u64 v[98:99], v[98:99], 0, s[34:35]
	v_lshl_add_u64 v[100:101], v[100:101], 0, s[34:35]
	v_lshl_add_u64 v[102:103], v[102:103], 0, s[34:35]
	v_lshl_add_u64 v[104:105], v[104:105], 0, s[34:35]
	s_addc_u32 s45, s45, 0
	s_cbranch_vccnz .LBB30_82
.LBB30_56:                              ; =>This Inner Loop Header: Depth=1
	s_add_u32 s14, s10, s44
	s_addc_u32 s15, 0, s45
	v_mov_b64_e32 v[2:3], s[36:37]
	v_cmp_ge_i64_e32 vcc, s[14:15], v[2:3]
	v_lshl_add_u64 v[106:107], s[10:11], 0, v[38:39]
	s_cbranch_vccz .LBB30_78
; %bb.57:                               ;   in Loop: Header=BB30_56 Depth=1
	s_load_dword s3, s[4:5], 0xc
	v_mov_b64_e32 v[108:109], 0
	v_mov_b64_e32 v[110:111], v[108:109]
	s_waitcnt lgkmcnt(0)
	s_and_b32 s3, s3, 0xffff
	v_mad_u32_u24 v2, v112, s3, v1
	v_and_b32_e32 v4, 63, v2
	v_cmp_gt_u32_e32 vcc, 8, v4
	s_and_saveexec_b64 s[14:15], vcc
	s_cbranch_execz .LBB30_61
; %bb.58:                               ;   in Loop: Header=BB30_56 Depth=1
	v_lshl_add_u64 v[2:3], v[106:107], 0, v[4:5]
	v_mov_b64_e32 v[110:111], 0
	v_cmp_gt_i64_e32 vcc, s[36:37], v[2:3]
	v_mov_b64_e32 v[108:109], v[110:111]
	s_and_saveexec_b64 s[16:17], vcc
	s_cbranch_execz .LBB30_60
; %bb.59:                               ;   in Loop: Header=BB30_56 Depth=1
	v_lshlrev_b64 v[2:3], 3, v[2:3]
	v_lshl_add_u64 v[6:7], s[30:31], 0, v[2:3]
	v_lshl_add_u64 v[2:3], s[28:29], 0, v[2:3]
	global_load_dwordx2 v[110:111], v[2:3], off
	global_load_dwordx2 v[108:109], v[6:7], off
.LBB30_60:                              ;   in Loop: Header=BB30_56 Depth=1
	s_or_b64 exec, exec, s[16:17]
.LBB30_61:                              ;   in Loop: Header=BB30_56 Depth=1
	s_or_b64 exec, exec, s[14:15]
	s_mov_b32 s26, s12
	s_mov_b32 s27, s12
	;; [unrolled: 1-line block ×15, first 2 shown]
	v_mov_b64_e32 v[36:37], s[26:27]
	v_mov_b64_e32 v[22:23], s[12:13]
	;; [unrolled: 1-line block ×9, first 2 shown]
	v_cmp_gt_i64_e32 vcc, s[36:37], v[106:107]
	v_mov_b64_e32 v[8:9], v[24:25]
	v_mov_b64_e32 v[10:11], v[26:27]
	;; [unrolled: 1-line block ×7, first 2 shown]
	s_and_saveexec_b64 s[14:15], vcc
	s_cbranch_execz .LBB30_63
; %bb.62:                               ;   in Loop: Header=BB30_56 Depth=1
	v_lshl_add_u64 v[2:3], v[74:75], 0, v[40:41]
	global_load_dwordx2 v[2:3], v[2:3], off
	v_lshl_add_u64 v[6:7], v[76:77], 0, v[40:41]
	global_load_dwordx2 v[22:23], v[6:7], off
	v_mov_b32_e32 v6, v5
	v_mov_b32_e32 v7, v5
	;; [unrolled: 1-line block ×13, first 2 shown]
	s_waitcnt vmcnt(1)
	v_mov_b64_e32 v[20:21], v[16:17]
	v_mov_b32_e32 v24, v5
	v_mov_b32_e32 v25, v5
	;; [unrolled: 1-line block ×14, first 2 shown]
	v_mov_b64_e32 v[18:19], v[14:15]
	v_mov_b64_e32 v[16:17], v[12:13]
	;; [unrolled: 1-line block ×7, first 2 shown]
.LBB30_63:                              ;   in Loop: Header=BB30_56 Depth=1
	s_or_b64 exec, exec, s[14:15]
	v_lshl_add_u64 v[2:3], v[106:107], 0, 1
	v_cmp_gt_i64_e32 vcc, s[36:37], v[2:3]
	s_and_saveexec_b64 s[14:15], vcc
	s_cbranch_execz .LBB30_65
; %bb.64:                               ;   in Loop: Header=BB30_56 Depth=1
	v_lshl_add_u64 v[2:3], v[102:103], 0, v[40:41]
	global_load_dwordx2 v[8:9], v[2:3], off
	v_lshl_add_u64 v[2:3], v[104:105], 0, v[40:41]
	global_load_dwordx2 v[24:25], v[2:3], off
.LBB30_65:                              ;   in Loop: Header=BB30_56 Depth=1
	s_or_b64 exec, exec, s[14:15]
	v_lshl_add_u64 v[2:3], v[106:107], 0, 2
	v_cmp_gt_i64_e32 vcc, s[36:37], v[2:3]
	s_and_saveexec_b64 s[14:15], vcc
	s_cbranch_execz .LBB30_67
; %bb.66:                               ;   in Loop: Header=BB30_56 Depth=1
	v_lshl_add_u64 v[2:3], v[98:99], 0, v[40:41]
	global_load_dwordx2 v[10:11], v[2:3], off
	v_lshl_add_u64 v[2:3], v[100:101], 0, v[40:41]
	global_load_dwordx2 v[26:27], v[2:3], off
.LBB30_67:                              ;   in Loop: Header=BB30_56 Depth=1
	;; [unrolled: 11-line block ×7, first 2 shown]
	s_or_b64 exec, exec, s[14:15]
	s_waitcnt vmcnt(1)
	ds_bpermute_b32 v2, v113, v110
	ds_bpermute_b32 v3, v113, v111
	s_waitcnt vmcnt(0)
	ds_bpermute_b32 v114, v113, v108
	ds_bpermute_b32 v115, v113, v109
	ds_bpermute_b32 v116, v113, v110 offset:4
	ds_bpermute_b32 v117, v113, v111 offset:4
	s_waitcnt lgkmcnt(4)
	v_add_f64 v[2:3], v[22:23], -v[2:3]
	v_mul_f64 v[2:3], v[6:7], v[2:3]
	s_waitcnt lgkmcnt(2)
	v_fma_f64 v[2:3], v[2:3], v[114:115], v[52:53]
	ds_bpermute_b32 v22, v113, v108 offset:4
	ds_bpermute_b32 v23, v113, v109 offset:4
	;; [unrolled: 1-line block ×4, first 2 shown]
	v_add_f64 v[6:7], v[50:51], v[6:7]
	s_waitcnt lgkmcnt(4)
	v_add_f64 v[24:25], v[24:25], -v[116:117]
	v_mul_f64 v[24:25], v[8:9], v[24:25]
	v_add_f64 v[6:7], v[8:9], v[6:7]
	ds_bpermute_b32 v8, v113, v108 offset:8
	ds_bpermute_b32 v9, v113, v109 offset:8
	s_waitcnt lgkmcnt(4)
	v_fmac_f64_e32 v[2:3], v[24:25], v[22:23]
	s_waitcnt lgkmcnt(2)
	v_add_f64 v[22:23], v[26:27], -v[114:115]
	ds_bpermute_b32 v24, v113, v110 offset:12
	ds_bpermute_b32 v25, v113, v111 offset:12
	v_mul_f64 v[22:23], v[10:11], v[22:23]
	s_waitcnt lgkmcnt(2)
	v_fmac_f64_e32 v[2:3], v[22:23], v[8:9]
	ds_bpermute_b32 v8, v113, v108 offset:12
	ds_bpermute_b32 v9, v113, v109 offset:12
	v_add_f64 v[6:7], v[10:11], v[6:7]
	s_waitcnt lgkmcnt(2)
	v_add_f64 v[10:11], v[28:29], -v[24:25]
	ds_bpermute_b32 v22, v113, v110 offset:16
	ds_bpermute_b32 v23, v113, v111 offset:16
	v_mul_f64 v[10:11], v[12:13], v[10:11]
	s_waitcnt lgkmcnt(2)
	v_fmac_f64_e32 v[2:3], v[10:11], v[8:9]
	v_add_f64 v[6:7], v[12:13], v[6:7]
	ds_bpermute_b32 v8, v113, v108 offset:16
	ds_bpermute_b32 v9, v113, v109 offset:16
	;; [unrolled: 1-line block ×4, first 2 shown]
	s_waitcnt lgkmcnt(4)
	v_add_f64 v[10:11], v[30:31], -v[22:23]
	v_mul_f64 v[10:11], v[14:15], v[10:11]
	s_waitcnt lgkmcnt(2)
	v_fmac_f64_e32 v[2:3], v[10:11], v[8:9]
	ds_bpermute_b32 v8, v113, v108 offset:20
	ds_bpermute_b32 v9, v113, v109 offset:20
	s_waitcnt lgkmcnt(2)
	v_add_f64 v[10:11], v[32:33], -v[12:13]
	ds_bpermute_b32 v12, v113, v110 offset:24
	ds_bpermute_b32 v13, v113, v111 offset:24
	v_mul_f64 v[10:11], v[16:17], v[10:11]
	s_waitcnt lgkmcnt(2)
	v_fmac_f64_e32 v[2:3], v[10:11], v[8:9]
	ds_bpermute_b32 v8, v113, v108 offset:24
	ds_bpermute_b32 v9, v113, v109 offset:24
	s_waitcnt lgkmcnt(2)
	v_add_f64 v[10:11], v[34:35], -v[12:13]
	ds_bpermute_b32 v12, v113, v110 offset:28
	ds_bpermute_b32 v13, v113, v111 offset:28
	v_add_f64 v[6:7], v[14:15], v[6:7]
	ds_bpermute_b32 v14, v113, v108 offset:28
	ds_bpermute_b32 v15, v113, v109 offset:28
	v_mul_f64 v[10:11], v[18:19], v[10:11]
	s_waitcnt lgkmcnt(4)
	v_fmac_f64_e32 v[2:3], v[10:11], v[8:9]
	s_waitcnt lgkmcnt(2)
	v_add_f64 v[8:9], v[36:37], -v[12:13]
	v_add_f64 v[6:7], v[16:17], v[6:7]
	v_mul_f64 v[8:9], v[20:21], v[8:9]
	v_add_f64 v[6:7], v[18:19], v[6:7]
	s_waitcnt lgkmcnt(0)
	v_mul_f64 v[8:9], v[8:9], v[14:15]
	s_branch .LBB30_55
.LBB30_78:                              ;   in Loop: Header=BB30_56 Depth=1
                                        ; implicit-def: $vgpr20_vgpr21
                                        ; implicit-def: $vgpr8_vgpr9
                                        ; implicit-def: $vgpr6_vgpr7
                                        ; implicit-def: $vgpr2_vgpr3
	s_cbranch_execz .LBB30_55
; %bb.79:                               ;   in Loop: Header=BB30_56 Depth=1
	s_load_dword s3, s[4:5], 0x0
	v_mov_b64_e32 v[2:3], 0
	v_mov_b64_e32 v[6:7], v[2:3]
	s_waitcnt lgkmcnt(0)
	s_cmp_lt_u32 s2, s3
	s_cselect_b32 s3, 12, 18
	s_add_u32 s14, s4, s3
	s_addc_u32 s15, s5, 0
	global_load_ushort v4, v5, s[14:15]
	s_waitcnt vmcnt(0)
	v_mad_u32_u24 v4, v112, v4, v1
	v_and_b32_e32 v4, 63, v4
	v_cmp_gt_u32_e32 vcc, 8, v4
	s_and_saveexec_b64 s[14:15], vcc
	s_cbranch_execz .LBB30_54
; %bb.80:                               ;   in Loop: Header=BB30_56 Depth=1
	v_lshl_add_u64 v[8:9], v[106:107], 0, v[4:5]
	v_mov_b64_e32 v[6:7], 0
	v_cmp_gt_i64_e32 vcc, s[36:37], v[8:9]
	v_mov_b64_e32 v[2:3], v[6:7]
	s_and_saveexec_b64 s[16:17], vcc
	s_cbranch_execz .LBB30_53
; %bb.81:                               ;   in Loop: Header=BB30_56 Depth=1
	v_lshlrev_b64 v[2:3], 3, v[8:9]
	v_lshl_add_u64 v[10:11], s[28:29], 0, v[2:3]
	v_lshl_add_u64 v[8:9], s[30:31], 0, v[2:3]
	global_load_dwordx2 v[6:7], v[10:11], off
	global_load_dwordx2 v[2:3], v[8:9], off
	s_branch .LBB30_53
.LBB30_82:
	s_mov_b32 s3, 0
	s_lshl_b64 s[2:3], s[2:3], 6
	v_and_b32_e32 v1, 0x3ff, v0
	v_or_b32_e32 v2, s2, v1
	v_mov_b32_e32 v3, s3
	v_cmp_gt_i64_e32 vcc, s[38:39], v[2:3]
	s_and_saveexec_b64 s[2:3], vcc
	s_cbranch_execz .LBB30_87
; %bb.83:
	s_load_dword s2, s[0:1], 0x4c
	s_load_dwordx4 s[4:7], s[0:1], 0x30
	v_bfe_u32 v0, v0, 10, 10
	v_mov_b32_e32 v1, 0
	v_mov_b32_e32 v4, s8
	s_waitcnt lgkmcnt(0)
	s_lshr_b32 s0, s2, 16
	v_mad_u64_u32 v[0:1], s[0:1], s0, v4, v[0:1]
	s_cmp_eq_u64 s[4:5], 0
	v_mul_lo_u32 v1, v1, s38
	v_mul_lo_u32 v4, v0, s39
	s_cbranch_scc1 .LBB30_85
; %bb.84:
	v_mad_u64_u32 v[6:7], s[0:1], v0, s38, 0
	v_add3_u32 v7, v7, v4, v1
	v_lshl_add_u64 v[6:7], v[6:7], 3, s[4:5]
	v_lshl_add_u64 v[6:7], v[2:3], 3, v[6:7]
	global_store_dwordx2 v[6:7], v[52:53], off
.LBB30_85:
	s_cmp_eq_u64 s[6:7], 0
	s_cbranch_scc1 .LBB30_87
; %bb.86:
	v_mad_u64_u32 v[6:7], s[0:1], v0, s38, 0
	v_add3_u32 v7, v7, v4, v1
	v_lshl_add_u64 v[0:1], v[6:7], 3, s[6:7]
	v_lshl_add_u64 v[0:1], v[2:3], 3, v[0:1]
	global_store_dwordx2 v[0:1], v[50:51], off
.LBB30_87:
	s_endpgm
	.section	.rodata,"a",@progbits
	.p2align	6, 0x0
	.amdhsa_kernel _ZN2at6native12_GLOBAL__N_135GammaBetaBackwardCUDAKernelTemplateIddLj64ELj1ELj8ELb1ELb0ELb0EEEvllPKT_S5_PKT0_S8_PS3_S9_
		.amdhsa_group_segment_fixed_size 0
		.amdhsa_private_segment_fixed_size 0
		.amdhsa_kernarg_size 320
		.amdhsa_user_sgpr_count 2
		.amdhsa_user_sgpr_dispatch_ptr 0
		.amdhsa_user_sgpr_queue_ptr 0
		.amdhsa_user_sgpr_kernarg_segment_ptr 1
		.amdhsa_user_sgpr_dispatch_id 0
		.amdhsa_user_sgpr_kernarg_preload_length 0
		.amdhsa_user_sgpr_kernarg_preload_offset 0
		.amdhsa_user_sgpr_private_segment_size 0
		.amdhsa_uses_dynamic_stack 0
		.amdhsa_enable_private_segment 0
		.amdhsa_system_sgpr_workgroup_id_x 1
		.amdhsa_system_sgpr_workgroup_id_y 1
		.amdhsa_system_sgpr_workgroup_id_z 0
		.amdhsa_system_sgpr_workgroup_info 0
		.amdhsa_system_vgpr_workitem_id 1
		.amdhsa_next_free_vgpr 126
		.amdhsa_next_free_sgpr 56
		.amdhsa_accum_offset 128
		.amdhsa_reserve_vcc 1
		.amdhsa_float_round_mode_32 0
		.amdhsa_float_round_mode_16_64 0
		.amdhsa_float_denorm_mode_32 3
		.amdhsa_float_denorm_mode_16_64 3
		.amdhsa_dx10_clamp 1
		.amdhsa_ieee_mode 1
		.amdhsa_fp16_overflow 0
		.amdhsa_tg_split 0
		.amdhsa_exception_fp_ieee_invalid_op 0
		.amdhsa_exception_fp_denorm_src 0
		.amdhsa_exception_fp_ieee_div_zero 0
		.amdhsa_exception_fp_ieee_overflow 0
		.amdhsa_exception_fp_ieee_underflow 0
		.amdhsa_exception_fp_ieee_inexact 0
		.amdhsa_exception_int_div_zero 0
	.end_amdhsa_kernel
	.section	.text._ZN2at6native12_GLOBAL__N_135GammaBetaBackwardCUDAKernelTemplateIddLj64ELj1ELj8ELb1ELb0ELb0EEEvllPKT_S5_PKT0_S8_PS3_S9_,"axG",@progbits,_ZN2at6native12_GLOBAL__N_135GammaBetaBackwardCUDAKernelTemplateIddLj64ELj1ELj8ELb1ELb0ELb0EEEvllPKT_S5_PKT0_S8_PS3_S9_,comdat
.Lfunc_end30:
	.size	_ZN2at6native12_GLOBAL__N_135GammaBetaBackwardCUDAKernelTemplateIddLj64ELj1ELj8ELb1ELb0ELb0EEEvllPKT_S5_PKT0_S8_PS3_S9_, .Lfunc_end30-_ZN2at6native12_GLOBAL__N_135GammaBetaBackwardCUDAKernelTemplateIddLj64ELj1ELj8ELb1ELb0ELb0EEEvllPKT_S5_PKT0_S8_PS3_S9_
                                        ; -- End function
	.section	.AMDGPU.csdata,"",@progbits
; Kernel info:
; codeLenInByte = 7712
; NumSgprs: 62
; NumVgprs: 126
; NumAgprs: 0
; TotalNumVgprs: 126
; ScratchSize: 0
; MemoryBound: 1
; FloatMode: 240
; IeeeMode: 1
; LDSByteSize: 0 bytes/workgroup (compile time only)
; SGPRBlocks: 7
; VGPRBlocks: 15
; NumSGPRsForWavesPerEU: 62
; NumVGPRsForWavesPerEU: 126
; AccumOffset: 128
; Occupancy: 4
; WaveLimiterHint : 0
; COMPUTE_PGM_RSRC2:SCRATCH_EN: 0
; COMPUTE_PGM_RSRC2:USER_SGPR: 2
; COMPUTE_PGM_RSRC2:TRAP_HANDLER: 0
; COMPUTE_PGM_RSRC2:TGID_X_EN: 1
; COMPUTE_PGM_RSRC2:TGID_Y_EN: 1
; COMPUTE_PGM_RSRC2:TGID_Z_EN: 0
; COMPUTE_PGM_RSRC2:TIDIG_COMP_CNT: 1
; COMPUTE_PGM_RSRC3_GFX90A:ACCUM_OFFSET: 31
; COMPUTE_PGM_RSRC3_GFX90A:TG_SPLIT: 0
	.section	.text._ZN2at6native12_GLOBAL__N_135GammaBetaBackwardCUDAKernelTemplateIddLj64ELj8ELj64ELb0ELb1ELb0EEEvllPKT_S5_PKT0_S8_PS3_S9_,"axG",@progbits,_ZN2at6native12_GLOBAL__N_135GammaBetaBackwardCUDAKernelTemplateIddLj64ELj8ELj64ELb0ELb1ELb0EEEvllPKT_S5_PKT0_S8_PS3_S9_,comdat
	.globl	_ZN2at6native12_GLOBAL__N_135GammaBetaBackwardCUDAKernelTemplateIddLj64ELj8ELj64ELb0ELb1ELb0EEEvllPKT_S5_PKT0_S8_PS3_S9_ ; -- Begin function _ZN2at6native12_GLOBAL__N_135GammaBetaBackwardCUDAKernelTemplateIddLj64ELj8ELj64ELb0ELb1ELb0EEEvllPKT_S5_PKT0_S8_PS3_S9_
	.p2align	8
	.type	_ZN2at6native12_GLOBAL__N_135GammaBetaBackwardCUDAKernelTemplateIddLj64ELj8ELj64ELb0ELb1ELb0EEEvllPKT_S5_PKT0_S8_PS3_S9_,@function
_ZN2at6native12_GLOBAL__N_135GammaBetaBackwardCUDAKernelTemplateIddLj64ELj8ELj64ELb0ELb1ELb0EEEvllPKT_S5_PKT0_S8_PS3_S9_: ; @_ZN2at6native12_GLOBAL__N_135GammaBetaBackwardCUDAKernelTemplateIddLj64ELj8ELj64ELb0ELb1ELb0EEEvllPKT_S5_PKT0_S8_PS3_S9_
; %bb.0:
	s_load_dwordx4 s[16:19], s[0:1], 0x0
	s_lshl_b32 s6, s3, 6
	s_mov_b32 s7, 0
	v_bfe_u32 v20, v0, 10, 10
	s_waitcnt lgkmcnt(0)
	v_mov_b64_e32 v[2:3], s[16:17]
	v_cmp_lt_i64_e32 vcc, s[6:7], v[2:3]
	s_cbranch_vccnz .LBB31_2
; %bb.1:
	s_mov_b64 s[4:5], 0
	s_mov_b64 s[8:9], 0
	v_bfe_u32 v6, v0, 10, 10
	s_branch .LBB31_3
.LBB31_2:
	s_mov_b64 s[4:5], -1
                                        ; implicit-def: $sgpr8_sgpr9
                                        ; implicit-def: $vgpr6
.LBB31_3:
	v_and_b32_e32 v18, 0x3ff, v0
	s_andn2_b64 vcc, exec, s[4:5]
	v_mov_b64_e32 v[14:15], s[8:9]
	v_mbcnt_lo_u32_b32 v19, -1, 0
	v_mov_b64_e32 v[4:5], s[8:9]
	s_cbranch_vccnz .LBB31_11
; %bb.4:
	s_load_dword s3, s[0:1], 0x4c
	s_load_dword s20, s[0:1], 0x44
	s_load_dwordx8 s[8:15], s[0:1], 0x10
	v_mbcnt_hi_u32_b32 v6, -1, v19
	v_lshlrev_b32_e32 v0, 3, v20
	s_waitcnt lgkmcnt(0)
	s_and_b32 s3, s3, 0xffff
	v_mad_u32_u24 v1, v20, s3, v18
	v_and_b32_e32 v2, 63, v1
	v_mov_b32_e32 v1, 0
	v_lshlrev_b32_e32 v6, 2, v6
	v_mov_b32_e32 v3, v1
	v_and_b32_e32 v21, 0x100, v6
	v_lshl_add_u64 v[6:7], v[0:1], 0, s[6:7]
	v_mov_b32_e32 v5, v1
	s_lshl_b32 s20, s20, 6
	v_lshl_add_u64 v[0:1], v[6:7], 0, v[2:3]
	v_mul_lo_u32 v8, s19, v6
	v_mul_lo_u32 v9, s18, v7
	v_mad_u64_u32 v[6:7], s[24:25], s18, v6, 0
	v_lshl_add_u32 v4, s2, 6, v18
	s_mul_i32 s3, s19, s20
	s_mul_hi_u32 s24, s18, s20
	s_mov_b32 s21, 0
	v_add3_u32 v7, v7, v9, v8
	v_lshlrev_b64 v[4:5], 3, v[4:5]
	s_add_i32 s25, s24, s3
	s_mul_i32 s24, s18, s20
	v_mov_b64_e32 v[8:9], 0
	v_cmp_gt_u32_e64 s[4:5], 8, v2
	v_or_b32_e32 v22, 4, v21
	v_or_b32_e32 v23, 8, v21
	;; [unrolled: 1-line block ×7, first 2 shown]
	v_lshlrev_b64 v[2:3], 3, v[0:1]
	s_lshl_b64 s[22:23], s[20:21], 3
	v_lshl_add_u64 v[6:7], v[6:7], 3, v[4:5]
	s_lshl_b64 s[24:25], s[24:25], 3
	s_lshl_b64 s[18:19], s[18:19], 3
	v_mov_b64_e32 v[10:11], s[16:17]
	v_mov_b64_e32 v[4:5], v[8:9]
	;; [unrolled: 1-line block ×3, first 2 shown]
	s_branch .LBB31_7
.LBB31_5:                               ;   in Loop: Header=BB31_7 Depth=1
	s_or_b64 exec, exec, s[28:29]
.LBB31_6:                               ;   in Loop: Header=BB31_7 Depth=1
	s_or_b64 exec, exec, s[26:27]
	v_lshl_add_u64 v[30:31], s[10:11], 0, v[6:7]
	global_load_dwordx2 v[32:33], v[30:31], off
	v_lshl_add_u64 v[34:35], s[8:9], 0, v[6:7]
	global_load_dwordx2 v[36:37], v[34:35], off
	;; [unrolled: 2-line block ×6, first 2 shown]
	v_lshl_add_u64 v[30:31], v[30:31], 0, s[18:19]
	v_lshl_add_u64 v[34:35], v[34:35], 0, s[18:19]
	global_load_dwordx2 v[46:47], v[30:31], off
	global_load_dwordx2 v[48:49], v[34:35], off
	v_lshl_add_u64 v[30:31], v[30:31], 0, s[18:19]
	v_lshl_add_u64 v[34:35], v[34:35], 0, s[18:19]
	global_load_dwordx2 v[50:51], v[30:31], off
	global_load_dwordx2 v[52:53], v[34:35], off
	;; [unrolled: 4-line block ×3, first 2 shown]
	v_lshl_add_u64 v[30:31], v[30:31], 0, s[18:19]
	global_load_dwordx2 v[58:59], v[30:31], off
	v_lshl_add_u64 v[34:35], v[34:35], 0, s[18:19]
	global_load_dwordx2 v[60:61], v[34:35], off
	v_lshl_add_u64 v[34:35], v[34:35], 0, s[18:19]
	v_lshl_add_u64 v[30:31], v[30:31], 0, s[18:19]
	global_load_dwordx2 v[30:31], v[30:31], off
	s_nop 0
	global_load_dwordx2 v[34:35], v[34:35], off
	s_waitcnt vmcnt(17)
	ds_bpermute_b32 v62, v21, v16
	ds_bpermute_b32 v63, v21, v17
	s_waitcnt vmcnt(16)
	ds_bpermute_b32 v64, v21, v12
	ds_bpermute_b32 v65, v21, v13
	s_add_u32 s6, s6, s20
	s_addc_u32 s7, s7, 0
	v_cmp_lt_i64_e32 vcc, s[6:7], v[10:11]
	v_lshl_add_u64 v[2:3], v[2:3], 0, s[22:23]
	v_lshl_add_u64 v[0:1], v[0:1], 0, s[20:21]
	;; [unrolled: 1-line block ×3, first 2 shown]
	s_and_b64 vcc, exec, vcc
	s_waitcnt vmcnt(15) lgkmcnt(2)
	v_add_f64 v[32:33], v[32:33], -v[62:63]
	ds_bpermute_b32 v62, v22, v16
	ds_bpermute_b32 v63, v22, v17
	s_waitcnt vmcnt(14)
	v_mul_f64 v[32:33], v[36:37], v[32:33]
	s_waitcnt lgkmcnt(2)
	v_fmac_f64_e32 v[4:5], v[32:33], v[64:65]
	ds_bpermute_b32 v32, v22, v12
	ds_bpermute_b32 v33, v22, v13
	s_waitcnt vmcnt(13) lgkmcnt(2)
	v_add_f64 v[38:39], v[38:39], -v[62:63]
	ds_bpermute_b32 v62, v23, v16
	ds_bpermute_b32 v63, v23, v17
	;; [unrolled: 1-line block ×4, first 2 shown]
	s_waitcnt vmcnt(12)
	v_mul_f64 v[38:39], v[40:41], v[38:39]
	s_waitcnt lgkmcnt(4)
	v_fmac_f64_e32 v[4:5], v[38:39], v[32:33]
	ds_bpermute_b32 v32, v24, v16
	ds_bpermute_b32 v33, v24, v17
	s_waitcnt vmcnt(11) lgkmcnt(4)
	v_add_f64 v[42:43], v[42:43], -v[62:63]
	ds_bpermute_b32 v38, v25, v16
	ds_bpermute_b32 v39, v25, v17
	s_waitcnt vmcnt(10)
	v_mul_f64 v[42:43], v[44:45], v[42:43]
	ds_bpermute_b32 v62, v26, v16
	ds_bpermute_b32 v63, v26, v17
	s_waitcnt lgkmcnt(6)
	v_fmac_f64_e32 v[4:5], v[42:43], v[64:65]
	ds_bpermute_b32 v64, v24, v12
	ds_bpermute_b32 v65, v24, v13
	;; [unrolled: 1-line block ×4, first 2 shown]
	v_add_f64 v[14:15], v[14:15], v[36:37]
	ds_bpermute_b32 v36, v25, v12
	ds_bpermute_b32 v37, v25, v13
	;; [unrolled: 1-line block ×4, first 2 shown]
	v_add_f64 v[14:15], v[14:15], v[40:41]
	ds_bpermute_b32 v40, v26, v12
	ds_bpermute_b32 v41, v26, v13
	v_add_f64 v[14:15], v[14:15], v[44:45]
	ds_bpermute_b32 v44, v27, v12
	ds_bpermute_b32 v45, v27, v13
	s_waitcnt vmcnt(9) lgkmcnt(14)
	v_add_f64 v[32:33], v[46:47], -v[32:33]
	ds_bpermute_b32 v12, v28, v12
	s_waitcnt vmcnt(8)
	v_mul_f64 v[32:33], v[48:49], v[32:33]
	s_waitcnt vmcnt(7)
	v_add_f64 v[38:39], v[50:51], -v[38:39]
	ds_bpermute_b32 v13, v28, v13
	v_add_f64 v[14:15], v[14:15], v[48:49]
	s_waitcnt lgkmcnt(12)
	v_fmac_f64_e32 v[4:5], v[32:33], v[64:65]
	s_waitcnt vmcnt(6)
	v_mul_f64 v[32:33], v[52:53], v[38:39]
	s_waitcnt vmcnt(5)
	v_add_f64 v[38:39], v[54:55], -v[62:63]
	v_add_f64 v[14:15], v[14:15], v[52:53]
	s_waitcnt lgkmcnt(8)
	v_fmac_f64_e32 v[4:5], v[32:33], v[36:37]
	s_waitcnt vmcnt(4)
	v_mul_f64 v[32:33], v[56:57], v[38:39]
	s_waitcnt vmcnt(3)
	v_add_f64 v[36:37], v[58:59], -v[42:43]
	v_add_f64 v[14:15], v[14:15], v[56:57]
	s_waitcnt lgkmcnt(4)
	v_fmac_f64_e32 v[4:5], v[32:33], v[40:41]
	s_waitcnt vmcnt(2)
	v_mul_f64 v[32:33], v[60:61], v[36:37]
	s_waitcnt vmcnt(1)
	v_add_f64 v[16:17], v[30:31], -v[16:17]
	s_waitcnt lgkmcnt(2)
	v_fmac_f64_e32 v[4:5], v[32:33], v[44:45]
	v_add_f64 v[14:15], v[14:15], v[60:61]
	s_waitcnt vmcnt(0)
	v_mul_f64 v[16:17], v[34:35], v[16:17]
	s_waitcnt lgkmcnt(0)
	v_fmac_f64_e32 v[4:5], v[16:17], v[12:13]
	v_add_f64 v[14:15], v[14:15], v[34:35]
	s_cbranch_vccz .LBB31_10
.LBB31_7:                               ; =>This Inner Loop Header: Depth=1
	v_mov_b64_e32 v[12:13], v[8:9]
	v_mov_b64_e32 v[16:17], v[8:9]
	s_and_saveexec_b64 s[26:27], s[4:5]
	s_cbranch_execz .LBB31_6
; %bb.8:                                ;   in Loop: Header=BB31_7 Depth=1
	v_mov_b64_e32 v[16:17], 0
	v_cmp_gt_i64_e32 vcc, s[16:17], v[0:1]
	v_mov_b64_e32 v[12:13], v[16:17]
	s_and_saveexec_b64 s[28:29], vcc
	s_cbranch_execz .LBB31_5
; %bb.9:                                ;   in Loop: Header=BB31_7 Depth=1
	v_lshl_add_u64 v[32:33], s[12:13], 0, v[2:3]
	v_lshl_add_u64 v[30:31], s[14:15], 0, v[2:3]
	global_load_dwordx2 v[16:17], v[32:33], off
	global_load_dwordx2 v[12:13], v[30:31], off
	s_branch .LBB31_5
.LBB31_10:
	v_mov_b32_e32 v6, v20
.LBB31_11:
	s_load_dwordx4 s[4:7], s[0:1], 0x30
	s_movk_i32 s0, 0x41
	v_mad_u32_u24 v0, v6, s0, v18
	v_lshl_add_u32 v0, v0, 3, 0
	ds_write_b64 v0, v[4:5]
	ds_write_b64 v0, v[14:15] offset:4160
	v_lshrrev_b32_e32 v4, 6, v18
	v_add_u32_e32 v0, v4, v6
	s_mov_b32 s3, 0
	v_cmp_gt_u32_e32 vcc, 64, v0
	s_waitcnt lgkmcnt(0)
	s_barrier
	s_and_saveexec_b64 s[0:1], vcc
	s_cbranch_execz .LBB31_21
; %bb.12:
	v_and_b32_e32 v1, 63, v18
	v_cmp_gt_u32_e64 s[0:1], 8, v1
	v_mul_u32_u24_e32 v5, 0x41, v1
	v_mbcnt_hi_u32_b32 v1, -1, v19
	v_and_b32_e32 v2, 64, v1
	v_add_u32_e32 v2, 64, v2
	v_xor_b32_e32 v3, 4, v1
	v_cmp_lt_i32_e32 vcc, v3, v2
	s_lshl_b64 s[10:11], s[2:3], 6
	v_mov_b32_e32 v7, 0
	v_cndmask_b32_e32 v3, v1, v3, vcc
	v_lshlrev_b32_e32 v8, 2, v3
	v_xor_b32_e32 v3, 2, v1
	v_cmp_lt_i32_e32 vcc, v3, v2
	v_add_u32_e32 v11, -8, v0
	v_or_b32_e32 v0, s10, v4
	v_cndmask_b32_e32 v3, v1, v3, vcc
	v_lshlrev_b32_e32 v9, 2, v3
	v_xor_b32_e32 v3, 1, v1
	v_cmp_lt_i32_e32 vcc, v3, v2
	s_cmp_lg_u64 s[4:5], 0
	s_cselect_b64 s[12:13], -1, 0
	v_cndmask_b32_e32 v1, v1, v3, vcc
	v_lshlrev_b32_e32 v10, 2, v1
	v_mov_b32_e32 v1, s11
	v_lshl_add_u64 v[0:1], v[0:1], 0, v[6:7]
	s_cmp_lg_u64 s[6:7], 0
	v_lshlrev_b64 v[2:3], 3, v[0:1]
	v_add3_u32 v4, v5, v6, v4
	v_lshl_add_u64 v[0:1], s[6:7], 0, v[2:3]
	v_lshl_add_u32 v12, v4, 3, 0
	v_cndmask_b32_e64 v4, 0, 1, s[12:13]
	s_cselect_b64 s[6:7], -1, 0
	v_lshl_add_u64 v[2:3], s[4:5], 0, v[2:3]
	v_cmp_ne_u32_e64 s[4:5], 1, v4
	v_cndmask_b32_e64 v4, 0, 1, s[6:7]
	v_cmp_eq_u32_e64 s[2:3], 0, v18
	s_mov_b64 s[8:9], 0
	v_cmp_ne_u32_e64 s[6:7], 1, v4
                                        ; implicit-def: $vgpr4_vgpr5
                                        ; implicit-def: $vgpr6_vgpr7
	s_branch .LBB31_14
.LBB31_13:                              ;   in Loop: Header=BB31_14 Depth=1
	s_or_b64 exec, exec, s[10:11]
	v_add_u32_e32 v11, 8, v11
	v_cmp_lt_u32_e32 vcc, 55, v11
	v_lshl_add_u64 v[0:1], v[0:1], 0, 64
	v_lshl_add_u64 v[2:3], v[2:3], 0, 64
	s_or_b64 s[8:9], vcc, s[8:9]
	v_add_u32_e32 v12, 64, v12
	s_andn2_b64 exec, exec, s[8:9]
	s_cbranch_execz .LBB31_21
.LBB31_14:                              ; =>This Inner Loop Header: Depth=1
	s_and_saveexec_b64 s[10:11], s[0:1]
	s_cbranch_execz .LBB31_16
; %bb.15:                               ;   in Loop: Header=BB31_14 Depth=1
	ds_read_b64 v[4:5], v12
	ds_read_b64 v[6:7], v12 offset:4160
.LBB31_16:                              ;   in Loop: Header=BB31_14 Depth=1
	s_or_b64 exec, exec, s[10:11]
	s_waitcnt lgkmcnt(1)
	ds_bpermute_b32 v14, v8, v4
	ds_bpermute_b32 v15, v8, v5
	s_waitcnt lgkmcnt(2)
	ds_bpermute_b32 v16, v8, v6
	ds_bpermute_b32 v17, v8, v7
	s_waitcnt lgkmcnt(2)
	v_add_f64 v[4:5], v[4:5], v[14:15]
	ds_bpermute_b32 v14, v9, v4
	s_waitcnt lgkmcnt(1)
	v_add_f64 v[6:7], v[6:7], v[16:17]
	ds_bpermute_b32 v15, v9, v5
	ds_bpermute_b32 v16, v9, v6
	;; [unrolled: 1-line block ×3, first 2 shown]
	s_waitcnt lgkmcnt(2)
	v_add_f64 v[4:5], v[4:5], v[14:15]
	ds_bpermute_b32 v14, v10, v4
	s_waitcnt lgkmcnt(1)
	v_add_f64 v[6:7], v[6:7], v[16:17]
	ds_bpermute_b32 v15, v10, v5
	ds_bpermute_b32 v16, v10, v6
	;; [unrolled: 1-line block ×3, first 2 shown]
	s_waitcnt lgkmcnt(2)
	v_add_f64 v[4:5], v[4:5], v[14:15]
	s_waitcnt lgkmcnt(0)
	v_add_f64 v[6:7], v[6:7], v[16:17]
	s_and_saveexec_b64 s[10:11], s[2:3]
	s_cbranch_execz .LBB31_13
; %bb.17:                               ;   in Loop: Header=BB31_14 Depth=1
	s_and_b64 vcc, exec, s[4:5]
	s_cbranch_vccnz .LBB31_19
; %bb.18:                               ;   in Loop: Header=BB31_14 Depth=1
	global_store_dwordx2 v[2:3], v[4:5], off
.LBB31_19:                              ;   in Loop: Header=BB31_14 Depth=1
	s_and_b64 vcc, exec, s[6:7]
	s_cbranch_vccnz .LBB31_13
; %bb.20:                               ;   in Loop: Header=BB31_14 Depth=1
	global_store_dwordx2 v[0:1], v[6:7], off
	s_branch .LBB31_13
.LBB31_21:
	s_endpgm
	.section	.rodata,"a",@progbits
	.p2align	6, 0x0
	.amdhsa_kernel _ZN2at6native12_GLOBAL__N_135GammaBetaBackwardCUDAKernelTemplateIddLj64ELj8ELj64ELb0ELb1ELb0EEEvllPKT_S5_PKT0_S8_PS3_S9_
		.amdhsa_group_segment_fixed_size 0
		.amdhsa_private_segment_fixed_size 0
		.amdhsa_kernarg_size 320
		.amdhsa_user_sgpr_count 2
		.amdhsa_user_sgpr_dispatch_ptr 0
		.amdhsa_user_sgpr_queue_ptr 0
		.amdhsa_user_sgpr_kernarg_segment_ptr 1
		.amdhsa_user_sgpr_dispatch_id 0
		.amdhsa_user_sgpr_kernarg_preload_length 0
		.amdhsa_user_sgpr_kernarg_preload_offset 0
		.amdhsa_user_sgpr_private_segment_size 0
		.amdhsa_uses_dynamic_stack 0
		.amdhsa_enable_private_segment 0
		.amdhsa_system_sgpr_workgroup_id_x 1
		.amdhsa_system_sgpr_workgroup_id_y 1
		.amdhsa_system_sgpr_workgroup_id_z 0
		.amdhsa_system_sgpr_workgroup_info 0
		.amdhsa_system_vgpr_workitem_id 1
		.amdhsa_next_free_vgpr 66
		.amdhsa_next_free_sgpr 30
		.amdhsa_accum_offset 68
		.amdhsa_reserve_vcc 1
		.amdhsa_float_round_mode_32 0
		.amdhsa_float_round_mode_16_64 0
		.amdhsa_float_denorm_mode_32 3
		.amdhsa_float_denorm_mode_16_64 3
		.amdhsa_dx10_clamp 1
		.amdhsa_ieee_mode 1
		.amdhsa_fp16_overflow 0
		.amdhsa_tg_split 0
		.amdhsa_exception_fp_ieee_invalid_op 0
		.amdhsa_exception_fp_denorm_src 0
		.amdhsa_exception_fp_ieee_div_zero 0
		.amdhsa_exception_fp_ieee_overflow 0
		.amdhsa_exception_fp_ieee_underflow 0
		.amdhsa_exception_fp_ieee_inexact 0
		.amdhsa_exception_int_div_zero 0
	.end_amdhsa_kernel
	.section	.text._ZN2at6native12_GLOBAL__N_135GammaBetaBackwardCUDAKernelTemplateIddLj64ELj8ELj64ELb0ELb1ELb0EEEvllPKT_S5_PKT0_S8_PS3_S9_,"axG",@progbits,_ZN2at6native12_GLOBAL__N_135GammaBetaBackwardCUDAKernelTemplateIddLj64ELj8ELj64ELb0ELb1ELb0EEEvllPKT_S5_PKT0_S8_PS3_S9_,comdat
.Lfunc_end31:
	.size	_ZN2at6native12_GLOBAL__N_135GammaBetaBackwardCUDAKernelTemplateIddLj64ELj8ELj64ELb0ELb1ELb0EEEvllPKT_S5_PKT0_S8_PS3_S9_, .Lfunc_end31-_ZN2at6native12_GLOBAL__N_135GammaBetaBackwardCUDAKernelTemplateIddLj64ELj8ELj64ELb0ELb1ELb0EEEvllPKT_S5_PKT0_S8_PS3_S9_
                                        ; -- End function
	.section	.AMDGPU.csdata,"",@progbits
; Kernel info:
; codeLenInByte = 1912
; NumSgprs: 36
; NumVgprs: 66
; NumAgprs: 0
; TotalNumVgprs: 66
; ScratchSize: 0
; MemoryBound: 0
; FloatMode: 240
; IeeeMode: 1
; LDSByteSize: 0 bytes/workgroup (compile time only)
; SGPRBlocks: 4
; VGPRBlocks: 8
; NumSGPRsForWavesPerEU: 36
; NumVGPRsForWavesPerEU: 66
; AccumOffset: 68
; Occupancy: 7
; WaveLimiterHint : 0
; COMPUTE_PGM_RSRC2:SCRATCH_EN: 0
; COMPUTE_PGM_RSRC2:USER_SGPR: 2
; COMPUTE_PGM_RSRC2:TRAP_HANDLER: 0
; COMPUTE_PGM_RSRC2:TGID_X_EN: 1
; COMPUTE_PGM_RSRC2:TGID_Y_EN: 1
; COMPUTE_PGM_RSRC2:TGID_Z_EN: 0
; COMPUTE_PGM_RSRC2:TIDIG_COMP_CNT: 1
; COMPUTE_PGM_RSRC3_GFX90A:ACCUM_OFFSET: 16
; COMPUTE_PGM_RSRC3_GFX90A:TG_SPLIT: 0
	.section	.text._ZN2at6native12_GLOBAL__N_135GammaBetaBackwardCUDAKernelTemplateIddLj64ELj8ELj64ELb0ELb0ELb0EEEvllPKT_S5_PKT0_S8_PS3_S9_,"axG",@progbits,_ZN2at6native12_GLOBAL__N_135GammaBetaBackwardCUDAKernelTemplateIddLj64ELj8ELj64ELb0ELb0ELb0EEEvllPKT_S5_PKT0_S8_PS3_S9_,comdat
	.globl	_ZN2at6native12_GLOBAL__N_135GammaBetaBackwardCUDAKernelTemplateIddLj64ELj8ELj64ELb0ELb0ELb0EEEvllPKT_S5_PKT0_S8_PS3_S9_ ; -- Begin function _ZN2at6native12_GLOBAL__N_135GammaBetaBackwardCUDAKernelTemplateIddLj64ELj8ELj64ELb0ELb0ELb0EEEvllPKT_S5_PKT0_S8_PS3_S9_
	.p2align	8
	.type	_ZN2at6native12_GLOBAL__N_135GammaBetaBackwardCUDAKernelTemplateIddLj64ELj8ELj64ELb0ELb0ELb0EEEvllPKT_S5_PKT0_S8_PS3_S9_,@function
_ZN2at6native12_GLOBAL__N_135GammaBetaBackwardCUDAKernelTemplateIddLj64ELj8ELj64ELb0ELb0ELb0EEEvllPKT_S5_PKT0_S8_PS3_S9_: ; @_ZN2at6native12_GLOBAL__N_135GammaBetaBackwardCUDAKernelTemplateIddLj64ELj8ELj64ELb0ELb0ELb0EEEvllPKT_S5_PKT0_S8_PS3_S9_
; %bb.0:
	s_load_dwordx8 s[24:31], s[0:1], 0x0
	s_load_dwordx4 s[36:39], s[0:1], 0x20
	s_lshl_b32 s33, s2, 6
	s_or_b32 s34, s33, 63
	s_mov_b32 s35, 0
	s_waitcnt lgkmcnt(0)
	v_mov_b64_e32 v[2:3], s[26:27]
	v_cmp_ge_i64_e32 vcc, s[34:35], v[2:3]
	s_lshl_b32 s34, s3, 6
	v_mov_b64_e32 v[2:3], s[24:25]
	v_cmp_lt_i64_e64 s[4:5], s[34:35], v[2:3]
	s_nop 1
	v_cndmask_b32_e64 v1, 0, 1, s[4:5]
	v_cmp_ne_u32_e64 s[4:5], 1, v1
	s_cbranch_vccz .LBB32_49
; %bb.1:
	v_mov_b64_e32 v[50:51], 0
	s_mov_b64 s[40:41], 0
	s_and_b64 vcc, exec, s[4:5]
	v_mov_b64_e32 v[52:53], v[50:51]
	s_cbranch_vccnz .LBB32_50
; %bb.2:
	v_mov_b32_e32 v5, 0
	v_bfe_u32 v98, v0, 10, 10
	s_load_dword s3, s[0:1], 0x44
	v_lshlrev_b32_e32 v54, 3, v98
	v_mov_b32_e32 v55, v5
	v_and_b32_e32 v1, 0x3ff, v0
	v_lshl_add_u64 v[2:3], v[54:55], 0, s[34:35]
	v_add_u32_e32 v4, s33, v1
	v_lshl_add_u64 v[6:7], v[2:3], 0, 7
	s_add_u32 s42, s0, 64
	v_cmp_gt_i64_e64 s[6:7], s[26:27], v[4:5]
	v_lshlrev_b64 v[56:57], 3, v[4:5]
	v_mul_lo_u32 v4, s27, v6
	v_mul_lo_u32 v8, s26, v7
	v_mad_u64_u32 v[6:7], s[10:11], s26, v6, 0
	s_addc_u32 s43, s1, 0
	s_waitcnt lgkmcnt(0)
	s_lshl_b32 s3, s3, 6
	v_add3_u32 v7, v7, v8, v4
	v_lshlrev_b64 v[6:7], 3, v[6:7]
	s_mul_i32 s9, s27, s3
	s_mul_hi_u32 s10, s26, s3
	v_lshl_add_u64 v[58:59], s[28:29], 0, v[6:7]
	s_add_i32 s11, s10, s9
	s_mul_i32 s10, s26, s3
	v_lshl_add_u64 v[60:61], s[30:31], 0, v[6:7]
	v_lshl_add_u64 v[6:7], v[2:3], 0, 6
	s_lshl_b64 s[44:45], s[10:11], 3
	v_mul_lo_u32 v4, s27, v6
	v_mul_lo_u32 v8, s26, v7
	v_mad_u64_u32 v[6:7], s[10:11], s26, v6, 0
	v_add3_u32 v7, v7, v8, v4
	v_lshlrev_b64 v[6:7], 3, v[6:7]
	v_lshl_add_u64 v[62:63], s[28:29], 0, v[6:7]
	v_lshl_add_u64 v[64:65], s[30:31], 0, v[6:7]
	v_lshl_add_u64 v[6:7], v[2:3], 0, 5
	v_mul_lo_u32 v4, s27, v6
	v_mul_lo_u32 v8, s26, v7
	v_mad_u64_u32 v[6:7], s[10:11], s26, v6, 0
	v_add3_u32 v7, v7, v8, v4
	v_lshlrev_b64 v[6:7], 3, v[6:7]
	v_lshl_add_u64 v[66:67], s[28:29], 0, v[6:7]
	v_lshl_add_u64 v[68:69], s[30:31], 0, v[6:7]
	v_lshl_add_u64 v[6:7], v[2:3], 0, 4
	;; [unrolled: 8-line block ×4, first 2 shown]
	v_mul_lo_u32 v4, s27, v6
	v_mul_lo_u32 v8, s26, v7
	v_mad_u64_u32 v[6:7], s[10:11], s26, v6, 0
	v_add3_u32 v7, v7, v8, v4
	v_lshlrev_b64 v[6:7], 3, v[6:7]
	v_lshl_add_u64 v[78:79], s[28:29], 0, v[6:7]
	v_lshl_add_u64 v[80:81], s[30:31], 0, v[6:7]
	v_mov_b64_e32 v[6:7], s[26:27]
	v_mad_u64_u32 v[6:7], s[10:11], s26, v2, v[6:7]
	v_mul_lo_u32 v4, s26, v3
	v_mul_lo_u32 v8, s27, v2
	v_mad_u64_u32 v[2:3], s[10:11], s26, v2, 0
	v_add3_u32 v3, v3, v4, v8
	v_lshlrev_b64 v[2:3], 3, v[2:3]
	v_lshl_add_u64 v[86:87], s[28:29], 0, v[2:3]
	v_lshl_add_u64 v[88:89], s[30:31], 0, v[2:3]
	v_mbcnt_lo_u32_b32 v2, -1, 0
	v_add3_u32 v7, v8, v7, v4
	v_mbcnt_hi_u32_b32 v2, -1, v2
	v_lshlrev_b64 v[6:7], 3, v[6:7]
	s_add_u32 s46, s34, 63
	v_mov_b64_e32 v[90:91], 0
	s_movk_i32 s48, 0xffc1
	s_movk_i32 s50, 0xffc2
	;; [unrolled: 1-line block ×8, first 2 shown]
	v_lshlrev_b32_e32 v2, 2, v2
	s_mov_b32 s8, 0
	v_lshl_add_u64 v[82:83], s[28:29], 0, v[6:7]
	v_lshl_add_u64 v[84:85], s[30:31], 0, v[6:7]
	s_addc_u32 s47, 0, 0
	s_mov_b32 s49, -1
	s_mov_b32 s51, -1
	;; [unrolled: 1-line block ×8, first 2 shown]
	v_and_b32_e32 v99, 0x100, v2
	v_mov_b64_e32 v[50:51], v[90:91]
	s_mov_b64 s[64:65], s[34:35]
.LBB32_3:                               ; =>This Inner Loop Header: Depth=1
	v_mov_b64_e32 v[2:3], s[24:25]
	v_cmp_ge_i64_e32 vcc, s[46:47], v[2:3]
	v_lshl_add_u64 v[92:93], v[54:55], 0, s[46:47]
	s_cbranch_vccz .LBB32_25
; %bb.4:                                ;   in Loop: Header=BB32_3 Depth=1
	s_load_dword s9, s[42:43], 0xc
	v_mov_b64_e32 v[96:97], 0
	v_mov_b64_e32 v[94:95], v[96:97]
	s_waitcnt lgkmcnt(0)
	s_and_b32 s9, s9, 0xffff
	v_mad_u32_u24 v2, v98, s9, v1
	v_and_b32_e32 v4, 63, v2
	v_cmp_gt_u32_e32 vcc, 8, v4
	s_and_saveexec_b64 s[10:11], vcc
	s_cbranch_execz .LBB32_8
; %bb.5:                                ;   in Loop: Header=BB32_3 Depth=1
	v_lshl_add_u64 v[2:3], v[92:93], 0, v[4:5]
	v_lshl_add_u64 v[2:3], v[2:3], 0, s[48:49]
	v_mov_b64_e32 v[94:95], 0
	v_cmp_gt_i64_e32 vcc, s[24:25], v[2:3]
	v_mov_b64_e32 v[96:97], v[94:95]
	s_and_saveexec_b64 s[12:13], vcc
	s_cbranch_execz .LBB32_7
; %bb.6:                                ;   in Loop: Header=BB32_3 Depth=1
	v_lshlrev_b64 v[2:3], 3, v[2:3]
	v_lshl_add_u64 v[6:7], s[38:39], 0, v[2:3]
	v_lshl_add_u64 v[2:3], s[36:37], 0, v[2:3]
	global_load_dwordx2 v[94:95], v[2:3], off
	global_load_dwordx2 v[96:97], v[6:7], off
.LBB32_7:                               ;   in Loop: Header=BB32_3 Depth=1
	s_or_b64 exec, exec, s[12:13]
.LBB32_8:                               ;   in Loop: Header=BB32_3 Depth=1
	s_or_b64 exec, exec, s[10:11]
	s_mov_b32 s22, s8
	s_mov_b32 s23, s8
	v_lshl_add_u64 v[2:3], v[92:93], 0, s[48:49]
	s_mov_b32 s9, s8
	s_mov_b32 s10, s8
	;; [unrolled: 1-line block ×13, first 2 shown]
	v_mov_b64_e32 v[32:33], s[22:23]
	v_cmp_gt_i64_e32 vcc, s[24:25], v[2:3]
	v_mov_b64_e32 v[30:31], s[20:21]
	v_mov_b64_e32 v[28:29], s[18:19]
	;; [unrolled: 1-line block ×8, first 2 shown]
	s_and_b64 s[66:67], s[6:7], vcc
	v_mov_b64_e32 v[46:47], v[30:31]
	v_mov_b64_e32 v[44:45], v[28:29]
	;; [unrolled: 1-line block ×7, first 2 shown]
	s_and_saveexec_b64 s[10:11], s[66:67]
	s_cbranch_execz .LBB32_10
; %bb.9:                                ;   in Loop: Header=BB32_3 Depth=1
	v_lshl_add_u64 v[2:3], v[86:87], 0, v[56:57]
	global_load_dwordx2 v[2:3], v[2:3], off
	v_lshl_add_u64 v[6:7], v[88:89], 0, v[56:57]
	global_load_dwordx2 v[18:19], v[6:7], off
	v_mov_b32_e32 v16, v5
	v_mov_b32_e32 v17, v5
	;; [unrolled: 1-line block ×13, first 2 shown]
	s_waitcnt vmcnt(1)
	v_mov_b64_e32 v[48:49], v[16:17]
	v_mov_b32_e32 v20, v5
	v_mov_b32_e32 v21, v5
	;; [unrolled: 1-line block ×14, first 2 shown]
	v_mov_b64_e32 v[46:47], v[14:15]
	v_mov_b64_e32 v[44:45], v[12:13]
	;; [unrolled: 1-line block ×7, first 2 shown]
.LBB32_10:                              ;   in Loop: Header=BB32_3 Depth=1
	s_or_b64 exec, exec, s[10:11]
	v_lshl_add_u64 v[2:3], v[92:93], 0, s[50:51]
	v_cmp_gt_i64_e32 vcc, s[24:25], v[2:3]
	s_and_b64 s[12:13], s[6:7], vcc
	s_and_saveexec_b64 s[10:11], s[12:13]
	s_cbranch_execz .LBB32_12
; %bb.11:                               ;   in Loop: Header=BB32_3 Depth=1
	v_lshl_add_u64 v[2:3], v[82:83], 0, v[56:57]
	global_load_dwordx2 v[36:37], v[2:3], off
	v_lshl_add_u64 v[2:3], v[84:85], 0, v[56:57]
	global_load_dwordx2 v[20:21], v[2:3], off
.LBB32_12:                              ;   in Loop: Header=BB32_3 Depth=1
	s_or_b64 exec, exec, s[10:11]
	v_lshl_add_u64 v[2:3], v[92:93], 0, s[52:53]
	v_cmp_gt_i64_e32 vcc, s[24:25], v[2:3]
	s_and_b64 s[12:13], s[6:7], vcc
	s_and_saveexec_b64 s[10:11], s[12:13]
	s_cbranch_execz .LBB32_14
; %bb.13:                               ;   in Loop: Header=BB32_3 Depth=1
	v_lshl_add_u64 v[2:3], v[78:79], 0, v[56:57]
	global_load_dwordx2 v[38:39], v[2:3], off
	v_lshl_add_u64 v[2:3], v[80:81], 0, v[56:57]
	global_load_dwordx2 v[22:23], v[2:3], off
.LBB32_14:                              ;   in Loop: Header=BB32_3 Depth=1
	;; [unrolled: 12-line block ×7, first 2 shown]
	s_or_b64 exec, exec, s[10:11]
	s_waitcnt vmcnt(1)
	ds_bpermute_b32 v2, v99, v94
	ds_bpermute_b32 v3, v99, v95
	s_waitcnt vmcnt(0)
	ds_bpermute_b32 v6, v99, v96
	ds_bpermute_b32 v7, v99, v97
	ds_bpermute_b32 v8, v99, v94 offset:4
	ds_bpermute_b32 v9, v99, v95 offset:4
	s_waitcnt lgkmcnt(4)
	v_add_f64 v[2:3], v[18:19], -v[2:3]
	v_mul_f64 v[2:3], v[34:35], v[2:3]
	s_waitcnt lgkmcnt(2)
	v_fma_f64 v[52:53], v[2:3], v[6:7], v[90:91]
	ds_bpermute_b32 v6, v99, v96 offset:4
	ds_bpermute_b32 v7, v99, v97 offset:4
	;; [unrolled: 1-line block ×4, first 2 shown]
	s_waitcnt lgkmcnt(4)
	v_add_f64 v[8:9], v[20:21], -v[8:9]
	v_mul_f64 v[8:9], v[36:37], v[8:9]
	s_waitcnt lgkmcnt(2)
	v_fmac_f64_e32 v[52:53], v[8:9], v[6:7]
	ds_bpermute_b32 v6, v99, v96 offset:8
	ds_bpermute_b32 v7, v99, v97 offset:8
	s_waitcnt lgkmcnt(2)
	v_add_f64 v[8:9], v[22:23], -v[10:11]
	ds_bpermute_b32 v10, v99, v94 offset:12
	ds_bpermute_b32 v11, v99, v95 offset:12
	v_mul_f64 v[8:9], v[38:39], v[8:9]
	s_waitcnt lgkmcnt(2)
	v_fmac_f64_e32 v[52:53], v[8:9], v[6:7]
	ds_bpermute_b32 v6, v99, v96 offset:12
	ds_bpermute_b32 v7, v99, v97 offset:12
	s_waitcnt lgkmcnt(2)
	v_add_f64 v[8:9], v[24:25], -v[10:11]
	ds_bpermute_b32 v10, v99, v94 offset:16
	ds_bpermute_b32 v11, v99, v95 offset:16
	v_mul_f64 v[8:9], v[40:41], v[8:9]
	s_waitcnt lgkmcnt(2)
	v_fmac_f64_e32 v[52:53], v[8:9], v[6:7]
	ds_bpermute_b32 v6, v99, v96 offset:16
	ds_bpermute_b32 v7, v99, v97 offset:16
	s_waitcnt lgkmcnt(2)
	v_add_f64 v[8:9], v[26:27], -v[10:11]
	ds_bpermute_b32 v10, v99, v94 offset:20
	ds_bpermute_b32 v11, v99, v95 offset:20
	v_mul_f64 v[8:9], v[42:43], v[8:9]
	v_add_f64 v[2:3], v[50:51], v[34:35]
	s_waitcnt lgkmcnt(2)
	v_fmac_f64_e32 v[52:53], v[8:9], v[6:7]
	ds_bpermute_b32 v6, v99, v96 offset:20
	ds_bpermute_b32 v7, v99, v97 offset:20
	v_add_f64 v[2:3], v[36:37], v[2:3]
	v_add_f64 v[2:3], v[38:39], v[2:3]
	s_waitcnt lgkmcnt(2)
	v_add_f64 v[8:9], v[28:29], -v[10:11]
	ds_bpermute_b32 v10, v99, v94 offset:24
	ds_bpermute_b32 v11, v99, v95 offset:24
	v_add_f64 v[2:3], v[40:41], v[2:3]
	v_add_f64 v[2:3], v[42:43], v[2:3]
	v_mul_f64 v[8:9], v[44:45], v[8:9]
	ds_bpermute_b32 v12, v99, v96 offset:24
	ds_bpermute_b32 v13, v99, v97 offset:24
	s_waitcnt lgkmcnt(4)
	v_fmac_f64_e32 v[52:53], v[8:9], v[6:7]
	v_add_f64 v[8:9], v[44:45], v[2:3]
	ds_bpermute_b32 v2, v99, v96 offset:28
	ds_bpermute_b32 v3, v99, v97 offset:28
	;; [unrolled: 1-line block ×4, first 2 shown]
	s_waitcnt lgkmcnt(6)
	v_add_f64 v[10:11], v[30:31], -v[10:11]
	v_mul_f64 v[10:11], v[46:47], v[10:11]
	s_waitcnt lgkmcnt(4)
	v_fmac_f64_e32 v[52:53], v[10:11], v[12:13]
	v_add_f64 v[8:9], v[46:47], v[8:9]
	s_branch .LBB32_40
.LBB32_25:                              ;   in Loop: Header=BB32_3 Depth=1
                                        ; implicit-def: $vgpr2_vgpr3
                                        ; implicit-def: $vgpr18_vgpr19_vgpr20_vgpr21_vgpr22_vgpr23_vgpr24_vgpr25_vgpr26_vgpr27_vgpr28_vgpr29_vgpr30_vgpr31_vgpr32_vgpr33
                                        ; implicit-def: $vgpr34_vgpr35_vgpr36_vgpr37_vgpr38_vgpr39_vgpr40_vgpr41_vgpr42_vgpr43_vgpr44_vgpr45_vgpr46_vgpr47_vgpr48_vgpr49
                                        ; implicit-def: $vgpr6
                                        ; implicit-def: $vgpr8_vgpr9
                                        ; implicit-def: $vgpr52_vgpr53
	s_cbranch_execz .LBB32_40
; %bb.26:                               ;   in Loop: Header=BB32_3 Depth=1
	s_load_dword s9, s[42:43], 0x0
	v_mov_b64_e32 v[94:95], 0
	v_mov_b64_e32 v[52:53], v[94:95]
	s_waitcnt lgkmcnt(0)
	s_cmp_lt_u32 s2, s9
	s_cselect_b32 s9, 12, 18
	s_add_u32 s10, s42, s9
	s_addc_u32 s11, s43, 0
	global_load_ushort v2, v5, s[10:11]
	s_waitcnt vmcnt(0)
	v_mad_u32_u24 v2, v98, v2, v1
	v_and_b32_e32 v4, 63, v2
	v_cmp_gt_u32_e32 vcc, 8, v4
	s_and_saveexec_b64 s[10:11], vcc
	s_cbranch_execz .LBB32_30
; %bb.27:                               ;   in Loop: Header=BB32_3 Depth=1
	v_lshl_add_u64 v[2:3], v[92:93], 0, v[4:5]
	v_lshl_add_u64 v[2:3], v[2:3], 0, s[48:49]
	v_mov_b64_e32 v[52:53], 0
	v_cmp_gt_i64_e32 vcc, s[24:25], v[2:3]
	v_mov_b64_e32 v[94:95], v[52:53]
	s_and_saveexec_b64 s[12:13], vcc
	s_cbranch_execz .LBB32_29
; %bb.28:                               ;   in Loop: Header=BB32_3 Depth=1
	v_lshlrev_b64 v[2:3], 3, v[2:3]
	v_lshl_add_u64 v[6:7], s[38:39], 0, v[2:3]
	v_lshl_add_u64 v[2:3], s[36:37], 0, v[2:3]
	global_load_dwordx2 v[52:53], v[2:3], off
	global_load_dwordx2 v[94:95], v[6:7], off
.LBB32_29:                              ;   in Loop: Header=BB32_3 Depth=1
	s_or_b64 exec, exec, s[12:13]
.LBB32_30:                              ;   in Loop: Header=BB32_3 Depth=1
	s_or_b64 exec, exec, s[10:11]
	s_mov_b32 s22, s8
	s_mov_b32 s23, s8
	;; [unrolled: 1-line block ×15, first 2 shown]
	v_mov_b64_e32 v[32:33], s[22:23]
	v_mov_b64_e32 v[30:31], s[20:21]
	;; [unrolled: 1-line block ×16, first 2 shown]
	s_and_saveexec_b64 s[10:11], s[6:7]
	s_cbranch_execnz .LBB32_42
; %bb.31:                               ;   in Loop: Header=BB32_3 Depth=1
	s_or_b64 exec, exec, s[10:11]
	s_and_saveexec_b64 s[10:11], s[6:7]
	s_cbranch_execnz .LBB32_43
.LBB32_32:                              ;   in Loop: Header=BB32_3 Depth=1
	s_or_b64 exec, exec, s[10:11]
	s_and_saveexec_b64 s[10:11], s[6:7]
	s_cbranch_execnz .LBB32_44
.LBB32_33:                              ;   in Loop: Header=BB32_3 Depth=1
	s_or_b64 exec, exec, s[10:11]
	s_and_saveexec_b64 s[10:11], s[6:7]
	s_cbranch_execnz .LBB32_45
.LBB32_34:                              ;   in Loop: Header=BB32_3 Depth=1
	s_or_b64 exec, exec, s[10:11]
	s_and_saveexec_b64 s[10:11], s[6:7]
	s_cbranch_execnz .LBB32_46
.LBB32_35:                              ;   in Loop: Header=BB32_3 Depth=1
	s_or_b64 exec, exec, s[10:11]
	s_and_saveexec_b64 s[10:11], s[6:7]
	s_cbranch_execnz .LBB32_47
.LBB32_36:                              ;   in Loop: Header=BB32_3 Depth=1
	s_or_b64 exec, exec, s[10:11]
	s_and_saveexec_b64 s[10:11], s[6:7]
	s_cbranch_execnz .LBB32_48
.LBB32_37:                              ;   in Loop: Header=BB32_3 Depth=1
	s_or_b64 exec, exec, s[10:11]
	s_and_saveexec_b64 s[10:11], s[6:7]
	s_cbranch_execz .LBB32_39
.LBB32_38:                              ;   in Loop: Header=BB32_3 Depth=1
	v_lshl_add_u64 v[2:3], v[58:59], 0, v[56:57]
	global_load_dwordx2 v[48:49], v[2:3], off
	v_lshl_add_u64 v[2:3], v[60:61], 0, v[56:57]
	global_load_dwordx2 v[32:33], v[2:3], off
.LBB32_39:                              ;   in Loop: Header=BB32_3 Depth=1
	s_or_b64 exec, exec, s[10:11]
	s_waitcnt vmcnt(1)
	ds_bpermute_b32 v2, v99, v52
	ds_bpermute_b32 v3, v99, v53
	s_waitcnt vmcnt(0)
	ds_bpermute_b32 v6, v99, v94
	ds_bpermute_b32 v7, v99, v95
	ds_bpermute_b32 v8, v99, v52 offset:4
	ds_bpermute_b32 v9, v99, v53 offset:4
	s_waitcnt lgkmcnt(4)
	v_add_f64 v[2:3], v[18:19], -v[2:3]
	v_mul_f64 v[2:3], v[34:35], v[2:3]
	s_waitcnt lgkmcnt(2)
	v_fmac_f64_e32 v[90:91], v[2:3], v[6:7]
	ds_bpermute_b32 v6, v99, v94 offset:4
	ds_bpermute_b32 v7, v99, v95 offset:4
	ds_bpermute_b32 v10, v99, v52 offset:8
	ds_bpermute_b32 v11, v99, v53 offset:8
	s_waitcnt lgkmcnt(4)
	v_add_f64 v[8:9], v[20:21], -v[8:9]
	v_mul_f64 v[8:9], v[36:37], v[8:9]
	s_waitcnt lgkmcnt(2)
	v_fmac_f64_e32 v[90:91], v[8:9], v[6:7]
	ds_bpermute_b32 v6, v99, v94 offset:8
	ds_bpermute_b32 v7, v99, v95 offset:8
	s_waitcnt lgkmcnt(2)
	v_add_f64 v[8:9], v[22:23], -v[10:11]
	ds_bpermute_b32 v10, v99, v52 offset:12
	ds_bpermute_b32 v11, v99, v53 offset:12
	v_mul_f64 v[8:9], v[38:39], v[8:9]
	s_waitcnt lgkmcnt(2)
	v_fmac_f64_e32 v[90:91], v[8:9], v[6:7]
	ds_bpermute_b32 v6, v99, v94 offset:12
	ds_bpermute_b32 v7, v99, v95 offset:12
	s_waitcnt lgkmcnt(2)
	v_add_f64 v[8:9], v[24:25], -v[10:11]
	ds_bpermute_b32 v10, v99, v52 offset:16
	ds_bpermute_b32 v11, v99, v53 offset:16
	;; [unrolled: 9-line block ×4, first 2 shown]
	v_add_f64 v[2:3], v[50:51], v[34:35]
	ds_bpermute_b32 v12, v99, v94 offset:24
	ds_bpermute_b32 v13, v99, v95 offset:24
	v_add_f64 v[2:3], v[36:37], v[2:3]
	v_add_f64 v[2:3], v[38:39], v[2:3]
	;; [unrolled: 1-line block ×3, first 2 shown]
	v_mul_f64 v[8:9], v[44:45], v[8:9]
	s_waitcnt lgkmcnt(2)
	v_add_f64 v[10:11], v[30:31], -v[10:11]
	v_add_f64 v[2:3], v[42:43], v[2:3]
	v_fmac_f64_e32 v[90:91], v[8:9], v[6:7]
	v_mul_f64 v[10:11], v[46:47], v[10:11]
	v_add_f64 v[8:9], v[44:45], v[2:3]
	s_waitcnt lgkmcnt(0)
	v_fmac_f64_e32 v[90:91], v[10:11], v[12:13]
	ds_bpermute_b32 v2, v99, v94 offset:28
	ds_bpermute_b32 v3, v99, v95 offset:28
	;; [unrolled: 1-line block ×4, first 2 shown]
	v_add_f64 v[8:9], v[46:47], v[8:9]
	v_mov_b64_e32 v[52:53], v[90:91]
.LBB32_40:                              ;   in Loop: Header=BB32_3 Depth=1
	s_waitcnt lgkmcnt(0)
	v_add_f64 v[6:7], v[32:33], -v[6:7]
	v_mul_f64 v[6:7], v[48:49], v[6:7]
	s_add_u32 s64, s64, s3
	v_fmac_f64_e32 v[52:53], v[6:7], v[2:3]
	s_addc_u32 s65, s65, 0
	v_mov_b64_e32 v[2:3], s[24:25]
	s_add_u32 s46, s46, s3
	v_cmp_lt_i64_e32 vcc, s[64:65], v[2:3]
	v_add_f64 v[50:51], v[8:9], v[48:49]
	v_lshl_add_u64 v[58:59], v[58:59], 0, s[44:45]
	v_lshl_add_u64 v[60:61], v[60:61], 0, s[44:45]
	;; [unrolled: 1-line block ×14, first 2 shown]
	s_addc_u32 s47, s47, 0
	v_lshl_add_u64 v[86:87], v[86:87], 0, s[44:45]
	v_lshl_add_u64 v[88:89], v[88:89], 0, s[44:45]
	s_cbranch_vccz .LBB32_50
; %bb.41:                               ;   in Loop: Header=BB32_3 Depth=1
	v_mov_b64_e32 v[90:91], v[52:53]
	s_branch .LBB32_3
.LBB32_42:                              ;   in Loop: Header=BB32_3 Depth=1
	v_lshl_add_u64 v[2:3], v[86:87], 0, v[56:57]
	global_load_dwordx2 v[2:3], v[2:3], off
	v_lshl_add_u64 v[6:7], v[88:89], 0, v[56:57]
	global_load_dwordx2 v[18:19], v[6:7], off
	v_mov_b32_e32 v16, v5
	v_mov_b32_e32 v17, v5
	;; [unrolled: 1-line block ×13, first 2 shown]
	s_waitcnt vmcnt(1)
	v_mov_b64_e32 v[48:49], v[16:17]
	v_mov_b32_e32 v20, v5
	v_mov_b32_e32 v21, v5
	;; [unrolled: 1-line block ×14, first 2 shown]
	v_mov_b64_e32 v[46:47], v[14:15]
	v_mov_b64_e32 v[44:45], v[12:13]
	;; [unrolled: 1-line block ×7, first 2 shown]
	s_or_b64 exec, exec, s[10:11]
	s_and_saveexec_b64 s[10:11], s[6:7]
	s_cbranch_execz .LBB32_32
.LBB32_43:                              ;   in Loop: Header=BB32_3 Depth=1
	v_lshl_add_u64 v[2:3], v[82:83], 0, v[56:57]
	global_load_dwordx2 v[36:37], v[2:3], off
	v_lshl_add_u64 v[2:3], v[84:85], 0, v[56:57]
	global_load_dwordx2 v[20:21], v[2:3], off
	s_or_b64 exec, exec, s[10:11]
	s_and_saveexec_b64 s[10:11], s[6:7]
	s_cbranch_execz .LBB32_33
.LBB32_44:                              ;   in Loop: Header=BB32_3 Depth=1
	v_lshl_add_u64 v[2:3], v[78:79], 0, v[56:57]
	global_load_dwordx2 v[38:39], v[2:3], off
	v_lshl_add_u64 v[2:3], v[80:81], 0, v[56:57]
	global_load_dwordx2 v[22:23], v[2:3], off
	s_or_b64 exec, exec, s[10:11]
	s_and_saveexec_b64 s[10:11], s[6:7]
	s_cbranch_execz .LBB32_34
.LBB32_45:                              ;   in Loop: Header=BB32_3 Depth=1
	v_lshl_add_u64 v[2:3], v[74:75], 0, v[56:57]
	global_load_dwordx2 v[40:41], v[2:3], off
	v_lshl_add_u64 v[2:3], v[76:77], 0, v[56:57]
	global_load_dwordx2 v[24:25], v[2:3], off
	s_or_b64 exec, exec, s[10:11]
	s_and_saveexec_b64 s[10:11], s[6:7]
	s_cbranch_execz .LBB32_35
.LBB32_46:                              ;   in Loop: Header=BB32_3 Depth=1
	v_lshl_add_u64 v[2:3], v[70:71], 0, v[56:57]
	global_load_dwordx2 v[42:43], v[2:3], off
	v_lshl_add_u64 v[2:3], v[72:73], 0, v[56:57]
	global_load_dwordx2 v[26:27], v[2:3], off
	s_or_b64 exec, exec, s[10:11]
	s_and_saveexec_b64 s[10:11], s[6:7]
	s_cbranch_execz .LBB32_36
.LBB32_47:                              ;   in Loop: Header=BB32_3 Depth=1
	v_lshl_add_u64 v[2:3], v[66:67], 0, v[56:57]
	global_load_dwordx2 v[44:45], v[2:3], off
	v_lshl_add_u64 v[2:3], v[68:69], 0, v[56:57]
	global_load_dwordx2 v[28:29], v[2:3], off
	s_or_b64 exec, exec, s[10:11]
	s_and_saveexec_b64 s[10:11], s[6:7]
	s_cbranch_execz .LBB32_37
.LBB32_48:                              ;   in Loop: Header=BB32_3 Depth=1
	v_lshl_add_u64 v[2:3], v[62:63], 0, v[56:57]
	global_load_dwordx2 v[46:47], v[2:3], off
	v_lshl_add_u64 v[2:3], v[64:65], 0, v[56:57]
	global_load_dwordx2 v[30:31], v[2:3], off
	s_or_b64 exec, exec, s[10:11]
	s_and_saveexec_b64 s[10:11], s[6:7]
	s_cbranch_execnz .LBB32_38
	s_branch .LBB32_39
.LBB32_49:
	s_mov_b64 s[40:41], -1
                                        ; implicit-def: $vgpr50_vgpr51
                                        ; implicit-def: $vgpr52_vgpr53
.LBB32_50:
	s_andn2_b64 vcc, exec, s[40:41]
	s_cbranch_vccnz .LBB32_82
; %bb.51:
	v_mov_b64_e32 v[50:51], 0
	s_and_b64 vcc, exec, s[4:5]
	v_mov_b64_e32 v[52:53], v[50:51]
	s_cbranch_vccnz .LBB32_82
; %bb.52:
	v_and_b32_e32 v1, 0x3ff, v0
	v_add_u32_e32 v4, s33, v1
	v_mov_b32_e32 v5, 0
	v_bfe_u32 v112, v0, 10, 10
	v_lshlrev_b64 v[40:41], 3, v[4:5]
	v_lshlrev_b32_e32 v4, 6, v112
	v_lshl_add_u64 v[2:3], s[34:35], 3, v[4:5]
	v_lshl_add_u64 v[6:7], v[2:3], 0, 8
	v_mov_b64_e32 v[8:9], s[28:29]
	v_mov_b64_e32 v[18:19], s[30:31]
	v_mad_u64_u32 v[42:43], s[4:5], s26, v6, v[8:9]
	v_mul_lo_u32 v4, s26, v7
	v_mul_lo_u32 v7, s27, v6
	v_mad_u64_u32 v[56:57], s[4:5], s26, v6, v[18:19]
	v_lshlrev_b32_e32 v38, 3, v112
	v_mov_b32_e32 v39, v5
	v_add3_u32 v43, v7, v43, v4
	v_lshl_add_u64 v[10:11], v[2:3], 0, 16
	v_lshl_add_u64 v[12:13], v[2:3], 0, 24
	;; [unrolled: 1-line block ×4, first 2 shown]
	v_add3_u32 v57, v7, v57, v4
	v_lshl_add_u64 v[6:7], v[2:3], 0, 48
	v_lshl_add_u64 v[2:3], v[2:3], 0, 56
	v_mad_u64_u32 v[44:45], s[4:5], s26, v10, v[8:9]
	v_mul_lo_u32 v20, s27, v10
	v_mad_u64_u32 v[46:47], s[4:5], s26, v12, v[8:9]
	v_mad_u64_u32 v[48:49], s[4:5], s26, v14, v[8:9]
	;; [unrolled: 1-line block ×6, first 2 shown]
	v_mul_lo_u32 v3, s26, v3
	v_mul_lo_u32 v10, s27, v2
	v_lshl_add_u64 v[8:9], v[38:39], 0, s[34:35]
	v_mad_u64_u32 v[72:73], s[4:5], s26, v2, v[18:19]
	v_mul_lo_u32 v4, s26, v7
	v_mul_lo_u32 v7, s27, v6
	v_add3_u32 v65, v10, v65, v3
	v_mad_u64_u32 v[70:71], s[4:5], s26, v6, v[18:19]
	v_add3_u32 v73, v10, v73, v3
	v_lshl_add_u64 v[2:3], v[8:9], 0, 7
	v_add3_u32 v61, v7, v61, v4
	v_add3_u32 v71, v7, v71, v4
	v_mul_lo_u32 v4, s27, v2
	v_mul_lo_u32 v6, s26, v3
	v_mad_u64_u32 v[2:3], s[4:5], s26, v2, 0
	v_add3_u32 v3, v3, v6, v4
	v_lshl_add_u64 v[6:7], v[8:9], 0, 6
	v_mul_lo_u32 v11, s26, v11
	v_mul_lo_u32 v4, s27, v6
	;; [unrolled: 1-line block ×3, first 2 shown]
	v_mad_u64_u32 v[6:7], s[4:5], s26, v6, 0
	v_add3_u32 v45, v20, v45, v11
	v_add3_u32 v59, v20, v59, v11
	v_add3_u32 v7, v7, v10, v4
	v_lshl_add_u64 v[10:11], v[8:9], 0, 5
	v_mul_lo_u32 v13, s26, v13
	v_mul_lo_u32 v21, s27, v12
	v_mad_u64_u32 v[62:63], s[4:5], s26, v12, v[18:19]
	v_mul_lo_u32 v4, s27, v10
	v_mul_lo_u32 v12, s26, v11
	v_mad_u64_u32 v[10:11], s[4:5], s26, v10, 0
	v_add3_u32 v47, v21, v47, v13
	v_add3_u32 v63, v21, v63, v13
	v_add3_u32 v11, v11, v12, v4
	v_lshl_add_u64 v[12:13], v[8:9], 0, 4
	v_mul_lo_u32 v15, s26, v15
	v_mul_lo_u32 v22, s27, v14
	v_mad_u64_u32 v[66:67], s[4:5], s26, v14, v[18:19]
	v_mul_lo_u32 v4, s27, v12
	v_mul_lo_u32 v14, s26, v13
	;; [unrolled: 10-line block ×3, first 2 shown]
	v_mad_u64_u32 v[14:15], s[4:5], s26, v14, 0
	v_lshlrev_b64 v[2:3], 3, v[2:3]
	v_add3_u32 v55, v23, v55, v17
	v_add3_u32 v69, v23, v69, v17
	;; [unrolled: 1-line block ×3, first 2 shown]
	v_lshl_add_u64 v[16:17], v[8:9], 0, 2
	v_lshl_add_u64 v[78:79], s[28:29], 0, v[2:3]
	;; [unrolled: 1-line block ×3, first 2 shown]
	v_lshlrev_b64 v[2:3], 3, v[6:7]
	v_mul_lo_u32 v4, s27, v16
	v_mul_lo_u32 v18, s26, v17
	v_mad_u64_u32 v[16:17], s[4:5], s26, v16, 0
	s_load_dword s3, s[0:1], 0x44
	v_lshl_add_u64 v[82:83], s[28:29], 0, v[2:3]
	v_lshl_add_u64 v[84:85], s[30:31], 0, v[2:3]
	v_lshlrev_b64 v[2:3], 3, v[10:11]
	v_add3_u32 v17, v17, v18, v4
	v_mov_b64_e32 v[18:19], s[26:27]
	v_lshl_add_u64 v[86:87], s[28:29], 0, v[2:3]
	v_lshl_add_u64 v[88:89], s[30:31], 0, v[2:3]
	v_lshlrev_b64 v[2:3], 3, v[12:13]
	v_mad_u64_u32 v[18:19], s[4:5], s26, v8, v[18:19]
	v_mul_lo_u32 v4, s27, v8
	v_mul_lo_u32 v20, s26, v9
	v_lshl_add_u64 v[90:91], s[28:29], 0, v[2:3]
	v_lshl_add_u64 v[92:93], s[30:31], 0, v[2:3]
	v_lshlrev_b64 v[2:3], 3, v[14:15]
	v_add3_u32 v19, v4, v19, v20
	v_lshl_add_u64 v[94:95], s[28:29], 0, v[2:3]
	v_lshl_add_u64 v[96:97], s[30:31], 0, v[2:3]
	v_lshlrev_b64 v[2:3], 3, v[16:17]
	v_mad_u64_u32 v[8:9], s[4:5], s26, v8, 0
	s_add_u32 s20, s0, 64
	v_lshl_add_u64 v[98:99], s[28:29], 0, v[2:3]
	v_lshl_add_u64 v[100:101], s[30:31], 0, v[2:3]
	v_lshlrev_b64 v[2:3], 3, v[18:19]
	v_add3_u32 v9, v9, v20, v4
	s_addc_u32 s21, s1, 0
	s_waitcnt lgkmcnt(0)
	s_lshl_b32 s3, s3, 6
	v_lshl_add_u64 v[102:103], s[28:29], 0, v[2:3]
	v_lshl_add_u64 v[104:105], s[30:31], 0, v[2:3]
	v_mbcnt_lo_u32_b32 v2, -1, 0
	s_add_u32 s22, s34, 63
	s_mul_i32 s5, s27, s3
	s_mul_hi_u32 s6, s26, s3
	v_lshlrev_b64 v[8:9], 3, v[8:9]
	v_mbcnt_hi_u32_b32 v2, -1, v2
	s_addc_u32 s23, 0, 0
	s_add_i32 s7, s6, s5
	s_mul_i32 s6, s26, s3
	v_lshl_add_u64 v[74:75], s[28:29], 0, v[8:9]
	v_lshl_add_u64 v[76:77], s[30:31], 0, v[8:9]
	s_movk_i32 s28, 0xffc1
	s_movk_i32 s30, 0xffc2
	;; [unrolled: 1-line block ×8, first 2 shown]
	v_lshlrev_b32_e32 v2, 2, v2
	v_mov_b64_e32 v[52:53], 0
	s_mov_b32 s4, 0
	s_lshl_b64 s[40:41], s[6:7], 3
	s_mov_b32 s29, -1
	s_mov_b32 s31, -1
	;; [unrolled: 1-line block ×8, first 2 shown]
	v_and_b32_e32 v113, 0x100, v2
	v_mov_b64_e32 v[50:51], v[52:53]
	s_branch .LBB32_56
.LBB32_53:                              ;   in Loop: Header=BB32_56 Depth=1
	s_or_b64 exec, exec, s[8:9]
.LBB32_54:                              ;   in Loop: Header=BB32_56 Depth=1
	s_or_b64 exec, exec, s[6:7]
	v_lshl_add_u64 v[12:13], v[58:59], 0, v[40:41]
	global_load_dwordx2 v[12:13], v[12:13], off
	v_lshl_add_u64 v[14:15], v[62:63], 0, v[40:41]
	global_load_dwordx2 v[14:15], v[14:15], off
	;; [unrolled: 2-line block ×3, first 2 shown]
	v_lshl_add_u64 v[10:11], v[56:57], 0, v[40:41]
	v_lshl_add_u64 v[18:19], v[74:75], 0, v[40:41]
	global_load_dwordx2 v[10:11], v[10:11], off
	v_lshl_add_u64 v[16:17], v[66:67], 0, v[40:41]
	global_load_dwordx2 v[18:19], v[18:19], off
	;; [unrolled: 2-line block ×4, first 2 shown]
	global_load_dwordx2 v[26:27], v[22:23], off
	s_waitcnt vmcnt(9)
	ds_bpermute_b32 v106, v113, v6 offset:8
	ds_bpermute_b32 v107, v113, v7 offset:8
	;; [unrolled: 1-line block ×4, first 2 shown]
	ds_bpermute_b32 v34, v113, v6
	ds_bpermute_b32 v35, v113, v7
	ds_bpermute_b32 v36, v113, v6 offset:4
	ds_bpermute_b32 v37, v113, v7 offset:4
	v_lshl_add_u64 v[20:21], v[46:47], 0, v[40:41]
	ds_bpermute_b32 v110, v113, v6 offset:16
	ds_bpermute_b32 v111, v113, v7 offset:16
	global_load_dwordx2 v[120:121], v[20:21], off
	s_waitcnt vmcnt(9)
	ds_bpermute_b32 v20, v113, v2 offset:8
	ds_bpermute_b32 v21, v113, v3 offset:8
	v_lshl_add_u64 v[30:31], v[68:69], 0, v[40:41]
	ds_bpermute_b32 v114, v113, v6 offset:20
	ds_bpermute_b32 v115, v113, v7 offset:20
	;; [unrolled: 1-line block ×6, first 2 shown]
	v_lshl_add_u64 v[6:7], v[70:71], 0, v[40:41]
	global_load_dwordx2 v[30:31], v[30:31], off
	v_lshl_add_u64 v[22:23], v[48:49], 0, v[40:41]
	global_load_dwordx2 v[6:7], v[6:7], off
	v_lshl_add_u64 v[28:29], v[54:55], 0, v[40:41]
	v_lshl_add_u64 v[32:33], v[60:61], 0, v[40:41]
	s_waitcnt vmcnt(10) lgkmcnt(14)
	v_add_f64 v[12:13], v[12:13], -v[106:107]
	ds_bpermute_b32 v106, v113, v2
	ds_bpermute_b32 v107, v113, v3
	s_waitcnt vmcnt(9)
	v_add_f64 v[14:15], v[14:15], -v[108:109]
	ds_bpermute_b32 v108, v113, v2 offset:4
	ds_bpermute_b32 v109, v113, v3 offset:4
	s_waitcnt vmcnt(8) lgkmcnt(14)
	v_add_f64 v[8:9], v[8:9], -v[34:35]
	s_waitcnt vmcnt(7)
	v_add_f64 v[10:11], v[10:11], -v[36:37]
	v_lshl_add_u64 v[36:37], v[72:73], 0, v[40:41]
	s_waitcnt vmcnt(6)
	v_mul_f64 v[8:9], v[18:19], v[8:9]
	s_waitcnt lgkmcnt(2)
	v_fmac_f64_e32 v[52:53], v[8:9], v[106:107]
	v_lshl_add_u64 v[34:35], v[64:65], 0, v[40:41]
	s_waitcnt vmcnt(4)
	v_mul_f64 v[10:11], v[24:25], v[10:11]
	v_add_f64 v[16:17], v[16:17], -v[110:111]
	global_load_dwordx2 v[110:111], v[22:23], off
	global_load_dwordx2 v[122:123], v[28:29], off
	;; [unrolled: 1-line block ×3, first 2 shown]
	s_waitcnt vmcnt(6)
	v_mul_f64 v[12:13], v[26:27], v[12:13]
	global_load_dwordx2 v[22:23], v[36:37], off
	s_waitcnt lgkmcnt(0)
	v_fmac_f64_e32 v[52:53], v[10:11], v[108:109]
	v_fmac_f64_e32 v[52:53], v[12:13], v[20:21]
	global_load_dwordx2 v[20:21], v[34:35], off
	ds_bpermute_b32 v10, v113, v2 offset:12
	ds_bpermute_b32 v11, v113, v3 offset:12
	v_add_f64 v[28:29], v[50:51], v[18:19]
	ds_bpermute_b32 v12, v113, v2 offset:16
	ds_bpermute_b32 v13, v113, v3 offset:16
	v_add_f64 v[18:19], v[28:29], v[24:25]
	;; [unrolled: 3-line block ×3, first 2 shown]
	ds_bpermute_b32 v26, v113, v2 offset:24
	ds_bpermute_b32 v27, v113, v3 offset:24
	s_waitcnt vmcnt(7)
	v_mul_f64 v[14:15], v[120:121], v[14:15]
	ds_bpermute_b32 v2, v113, v2 offset:28
	ds_bpermute_b32 v3, v113, v3 offset:28
	s_waitcnt lgkmcnt(8)
	v_fmac_f64_e32 v[52:53], v[14:15], v[10:11]
	v_add_f64 v[18:19], v[18:19], v[120:121]
	s_waitcnt vmcnt(6)
	v_add_f64 v[8:9], v[30:31], -v[114:115]
	s_waitcnt vmcnt(5)
	v_add_f64 v[6:7], v[6:7], -v[116:117]
	s_waitcnt vmcnt(4)
	v_mul_f64 v[16:17], v[110:111], v[16:17]
	s_waitcnt vmcnt(3)
	v_mul_f64 v[8:9], v[122:123], v[8:9]
	s_waitcnt lgkmcnt(6)
	v_fmac_f64_e32 v[52:53], v[16:17], v[12:13]
	s_waitcnt vmcnt(2)
	v_mul_f64 v[6:7], v[124:125], v[6:7]
	v_add_f64 v[18:19], v[18:19], v[110:111]
	s_waitcnt lgkmcnt(4)
	v_fmac_f64_e32 v[52:53], v[8:9], v[24:25]
	s_waitcnt vmcnt(1)
	v_add_f64 v[8:9], v[22:23], -v[118:119]
	v_add_f64 v[10:11], v[18:19], v[122:123]
	s_waitcnt lgkmcnt(2)
	v_fmac_f64_e32 v[52:53], v[6:7], v[26:27]
	s_waitcnt vmcnt(0)
	v_mul_f64 v[8:9], v[20:21], v[8:9]
	v_add_f64 v[6:7], v[10:11], v[124:125]
	s_waitcnt lgkmcnt(0)
	v_mul_f64 v[8:9], v[8:9], v[2:3]
	v_mov_b64_e32 v[2:3], v[52:53]
.LBB32_55:                              ;   in Loop: Header=BB32_56 Depth=1
	s_add_u32 s34, s34, s3
	v_add_f64 v[52:53], v[2:3], v[8:9]
	s_addc_u32 s35, s35, 0
	v_mov_b64_e32 v[2:3], s[24:25]
	s_add_u32 s22, s22, s3
	v_cmp_ge_i64_e32 vcc, s[34:35], v[2:3]
	v_add_f64 v[50:51], v[6:7], v[20:21]
	s_addc_u32 s23, s23, 0
	v_lshl_add_u64 v[42:43], v[42:43], 0, s[40:41]
	v_lshl_add_u64 v[44:45], v[44:45], 0, s[40:41]
	;; [unrolled: 1-line block ×30, first 2 shown]
	s_cbranch_vccnz .LBB32_82
.LBB32_56:                              ; =>This Inner Loop Header: Depth=1
	v_mov_b64_e32 v[2:3], s[24:25]
	v_cmp_ge_i64_e32 vcc, s[22:23], v[2:3]
	v_lshl_add_u64 v[106:107], v[38:39], 0, s[22:23]
	s_cbranch_vccz .LBB32_78
; %bb.57:                               ;   in Loop: Header=BB32_56 Depth=1
	s_load_dword s5, s[20:21], 0xc
	v_mov_b64_e32 v[108:109], 0
	v_mov_b64_e32 v[110:111], v[108:109]
	s_waitcnt lgkmcnt(0)
	s_and_b32 s5, s5, 0xffff
	v_mad_u32_u24 v2, v112, s5, v1
	v_and_b32_e32 v4, 63, v2
	v_cmp_gt_u32_e32 vcc, 8, v4
	s_and_saveexec_b64 s[6:7], vcc
	s_cbranch_execz .LBB32_61
; %bb.58:                               ;   in Loop: Header=BB32_56 Depth=1
	v_lshl_add_u64 v[2:3], v[106:107], 0, v[4:5]
	v_lshl_add_u64 v[2:3], v[2:3], 0, s[28:29]
	v_mov_b64_e32 v[110:111], 0
	v_cmp_gt_i64_e32 vcc, s[24:25], v[2:3]
	v_mov_b64_e32 v[108:109], v[110:111]
	s_and_saveexec_b64 s[8:9], vcc
	s_cbranch_execz .LBB32_60
; %bb.59:                               ;   in Loop: Header=BB32_56 Depth=1
	v_lshlrev_b64 v[2:3], 3, v[2:3]
	v_lshl_add_u64 v[6:7], s[38:39], 0, v[2:3]
	v_lshl_add_u64 v[2:3], s[36:37], 0, v[2:3]
	global_load_dwordx2 v[110:111], v[2:3], off
	global_load_dwordx2 v[108:109], v[6:7], off
.LBB32_60:                              ;   in Loop: Header=BB32_56 Depth=1
	s_or_b64 exec, exec, s[8:9]
.LBB32_61:                              ;   in Loop: Header=BB32_56 Depth=1
	s_or_b64 exec, exec, s[6:7]
	s_mov_b32 s18, s4
	s_mov_b32 s19, s4
	;; [unrolled: 1-line block ×15, first 2 shown]
	v_mov_b64_e32 v[36:37], s[18:19]
	v_mov_b64_e32 v[22:23], s[4:5]
	v_lshl_add_u64 v[2:3], v[106:107], 0, s[28:29]
	v_mov_b64_e32 v[34:35], s[16:17]
	v_mov_b64_e32 v[32:33], s[14:15]
	;; [unrolled: 1-line block ×7, first 2 shown]
	v_cmp_gt_i64_e32 vcc, s[24:25], v[2:3]
	v_mov_b64_e32 v[8:9], v[24:25]
	v_mov_b64_e32 v[10:11], v[26:27]
	;; [unrolled: 1-line block ×7, first 2 shown]
	s_and_saveexec_b64 s[6:7], vcc
	s_cbranch_execz .LBB32_63
; %bb.62:                               ;   in Loop: Header=BB32_56 Depth=1
	v_lshl_add_u64 v[2:3], v[74:75], 0, v[40:41]
	global_load_dwordx2 v[2:3], v[2:3], off
	v_lshl_add_u64 v[6:7], v[76:77], 0, v[40:41]
	global_load_dwordx2 v[22:23], v[6:7], off
	v_mov_b32_e32 v6, v5
	v_mov_b32_e32 v7, v5
	;; [unrolled: 1-line block ×13, first 2 shown]
	s_waitcnt vmcnt(1)
	v_mov_b64_e32 v[20:21], v[16:17]
	v_mov_b32_e32 v24, v5
	v_mov_b32_e32 v25, v5
	;; [unrolled: 1-line block ×14, first 2 shown]
	v_mov_b64_e32 v[18:19], v[14:15]
	v_mov_b64_e32 v[16:17], v[12:13]
	;; [unrolled: 1-line block ×7, first 2 shown]
.LBB32_63:                              ;   in Loop: Header=BB32_56 Depth=1
	s_or_b64 exec, exec, s[6:7]
	v_lshl_add_u64 v[2:3], v[106:107], 0, s[30:31]
	v_cmp_gt_i64_e32 vcc, s[24:25], v[2:3]
	s_and_saveexec_b64 s[6:7], vcc
	s_cbranch_execz .LBB32_65
; %bb.64:                               ;   in Loop: Header=BB32_56 Depth=1
	v_lshl_add_u64 v[2:3], v[102:103], 0, v[40:41]
	global_load_dwordx2 v[8:9], v[2:3], off
	v_lshl_add_u64 v[2:3], v[104:105], 0, v[40:41]
	global_load_dwordx2 v[24:25], v[2:3], off
.LBB32_65:                              ;   in Loop: Header=BB32_56 Depth=1
	s_or_b64 exec, exec, s[6:7]
	v_lshl_add_u64 v[2:3], v[106:107], 0, s[42:43]
	v_cmp_gt_i64_e32 vcc, s[24:25], v[2:3]
	s_and_saveexec_b64 s[6:7], vcc
	s_cbranch_execz .LBB32_67
; %bb.66:                               ;   in Loop: Header=BB32_56 Depth=1
	v_lshl_add_u64 v[2:3], v[98:99], 0, v[40:41]
	global_load_dwordx2 v[10:11], v[2:3], off
	v_lshl_add_u64 v[2:3], v[100:101], 0, v[40:41]
	global_load_dwordx2 v[26:27], v[2:3], off
.LBB32_67:                              ;   in Loop: Header=BB32_56 Depth=1
	;; [unrolled: 11-line block ×7, first 2 shown]
	s_or_b64 exec, exec, s[6:7]
	s_waitcnt vmcnt(1)
	ds_bpermute_b32 v2, v113, v110
	ds_bpermute_b32 v3, v113, v111
	s_waitcnt vmcnt(0)
	ds_bpermute_b32 v114, v113, v108
	ds_bpermute_b32 v115, v113, v109
	ds_bpermute_b32 v116, v113, v110 offset:4
	ds_bpermute_b32 v117, v113, v111 offset:4
	s_waitcnt lgkmcnt(4)
	v_add_f64 v[2:3], v[22:23], -v[2:3]
	v_mul_f64 v[2:3], v[6:7], v[2:3]
	s_waitcnt lgkmcnt(2)
	v_fma_f64 v[2:3], v[2:3], v[114:115], v[52:53]
	ds_bpermute_b32 v22, v113, v108 offset:4
	ds_bpermute_b32 v23, v113, v109 offset:4
	;; [unrolled: 1-line block ×4, first 2 shown]
	v_add_f64 v[6:7], v[50:51], v[6:7]
	s_waitcnt lgkmcnt(4)
	v_add_f64 v[24:25], v[24:25], -v[116:117]
	v_mul_f64 v[24:25], v[8:9], v[24:25]
	v_add_f64 v[6:7], v[8:9], v[6:7]
	ds_bpermute_b32 v8, v113, v108 offset:8
	ds_bpermute_b32 v9, v113, v109 offset:8
	s_waitcnt lgkmcnt(4)
	v_fmac_f64_e32 v[2:3], v[24:25], v[22:23]
	s_waitcnt lgkmcnt(2)
	v_add_f64 v[22:23], v[26:27], -v[114:115]
	ds_bpermute_b32 v24, v113, v110 offset:12
	ds_bpermute_b32 v25, v113, v111 offset:12
	v_mul_f64 v[22:23], v[10:11], v[22:23]
	s_waitcnt lgkmcnt(2)
	v_fmac_f64_e32 v[2:3], v[22:23], v[8:9]
	ds_bpermute_b32 v8, v113, v108 offset:12
	ds_bpermute_b32 v9, v113, v109 offset:12
	v_add_f64 v[6:7], v[10:11], v[6:7]
	s_waitcnt lgkmcnt(2)
	v_add_f64 v[10:11], v[28:29], -v[24:25]
	ds_bpermute_b32 v22, v113, v110 offset:16
	ds_bpermute_b32 v23, v113, v111 offset:16
	v_mul_f64 v[10:11], v[12:13], v[10:11]
	s_waitcnt lgkmcnt(2)
	v_fmac_f64_e32 v[2:3], v[10:11], v[8:9]
	v_add_f64 v[6:7], v[12:13], v[6:7]
	ds_bpermute_b32 v8, v113, v108 offset:16
	ds_bpermute_b32 v9, v113, v109 offset:16
	;; [unrolled: 1-line block ×4, first 2 shown]
	s_waitcnt lgkmcnt(4)
	v_add_f64 v[10:11], v[30:31], -v[22:23]
	v_mul_f64 v[10:11], v[14:15], v[10:11]
	s_waitcnt lgkmcnt(2)
	v_fmac_f64_e32 v[2:3], v[10:11], v[8:9]
	ds_bpermute_b32 v8, v113, v108 offset:20
	ds_bpermute_b32 v9, v113, v109 offset:20
	s_waitcnt lgkmcnt(2)
	v_add_f64 v[10:11], v[32:33], -v[12:13]
	ds_bpermute_b32 v12, v113, v110 offset:24
	ds_bpermute_b32 v13, v113, v111 offset:24
	v_mul_f64 v[10:11], v[16:17], v[10:11]
	s_waitcnt lgkmcnt(2)
	v_fmac_f64_e32 v[2:3], v[10:11], v[8:9]
	ds_bpermute_b32 v8, v113, v108 offset:24
	ds_bpermute_b32 v9, v113, v109 offset:24
	s_waitcnt lgkmcnt(2)
	v_add_f64 v[10:11], v[34:35], -v[12:13]
	ds_bpermute_b32 v12, v113, v110 offset:28
	ds_bpermute_b32 v13, v113, v111 offset:28
	v_add_f64 v[6:7], v[14:15], v[6:7]
	ds_bpermute_b32 v14, v113, v108 offset:28
	ds_bpermute_b32 v15, v113, v109 offset:28
	v_mul_f64 v[10:11], v[18:19], v[10:11]
	s_waitcnt lgkmcnt(4)
	v_fmac_f64_e32 v[2:3], v[10:11], v[8:9]
	s_waitcnt lgkmcnt(2)
	v_add_f64 v[8:9], v[36:37], -v[12:13]
	v_add_f64 v[6:7], v[16:17], v[6:7]
	v_mul_f64 v[8:9], v[20:21], v[8:9]
	v_add_f64 v[6:7], v[18:19], v[6:7]
	s_waitcnt lgkmcnt(0)
	v_mul_f64 v[8:9], v[8:9], v[14:15]
	s_branch .LBB32_55
.LBB32_78:                              ;   in Loop: Header=BB32_56 Depth=1
                                        ; implicit-def: $vgpr20_vgpr21
                                        ; implicit-def: $vgpr8_vgpr9
                                        ; implicit-def: $vgpr6_vgpr7
                                        ; implicit-def: $vgpr2_vgpr3
	s_cbranch_execz .LBB32_55
; %bb.79:                               ;   in Loop: Header=BB32_56 Depth=1
	s_load_dword s5, s[20:21], 0x0
	v_mov_b64_e32 v[2:3], 0
	v_mov_b64_e32 v[6:7], v[2:3]
	s_waitcnt lgkmcnt(0)
	s_cmp_lt_u32 s2, s5
	s_cselect_b32 s5, 12, 18
	s_add_u32 s6, s20, s5
	s_addc_u32 s7, s21, 0
	global_load_ushort v4, v5, s[6:7]
	s_waitcnt vmcnt(0)
	v_mad_u32_u24 v4, v112, v4, v1
	v_and_b32_e32 v4, 63, v4
	v_cmp_gt_u32_e32 vcc, 8, v4
	s_and_saveexec_b64 s[6:7], vcc
	s_cbranch_execz .LBB32_54
; %bb.80:                               ;   in Loop: Header=BB32_56 Depth=1
	v_lshl_add_u64 v[2:3], v[106:107], 0, v[4:5]
	v_lshl_add_u64 v[8:9], v[2:3], 0, s[28:29]
	v_mov_b64_e32 v[6:7], 0
	v_cmp_gt_i64_e32 vcc, s[24:25], v[8:9]
	v_mov_b64_e32 v[2:3], v[6:7]
	s_and_saveexec_b64 s[8:9], vcc
	s_cbranch_execz .LBB32_53
; %bb.81:                               ;   in Loop: Header=BB32_56 Depth=1
	v_lshlrev_b64 v[2:3], 3, v[8:9]
	v_lshl_add_u64 v[10:11], s[36:37], 0, v[2:3]
	v_lshl_add_u64 v[8:9], s[38:39], 0, v[2:3]
	global_load_dwordx2 v[6:7], v[10:11], off
	global_load_dwordx2 v[2:3], v[8:9], off
	s_branch .LBB32_53
.LBB32_82:
	v_bfe_u32 v6, v0, 10, 10
	v_and_b32_e32 v0, 0x3ff, v0
	s_movk_i32 s3, 0x41
	v_mad_u32_u24 v1, v6, s3, v0
	v_lshl_add_u32 v1, v1, 3, 0
	v_lshrrev_b32_e32 v8, 6, v0
	ds_write_b64 v1, v[52:53]
	ds_write_b64 v1, v[50:51] offset:4160
	v_add_u32_e32 v1, v8, v6
	s_mov_b32 s3, 0
	v_cmp_gt_u32_e32 vcc, 64, v1
	s_waitcnt lgkmcnt(0)
	s_barrier
	s_and_saveexec_b64 s[4:5], vcc
	s_cbranch_execz .LBB32_92
; %bb.83:
	v_and_b32_e32 v1, 63, v0
	s_load_dwordx4 s[12:15], s[0:1], 0x30
	v_cmp_gt_u32_e64 s[0:1], 8, v1
	v_mul_u32_u24_e32 v13, 0x41, v1
	v_mbcnt_lo_u32_b32 v1, -1, 0
	v_mbcnt_hi_u32_b32 v1, -1, v1
	v_and_b32_e32 v2, 64, v1
	v_add_u32_e32 v2, 64, v2
	s_lshl_b64 s[4:5], s[2:3], 6
	v_cmp_eq_u32_e64 s[2:3], 0, v0
	v_xor_b32_e32 v0, 4, v1
	v_cmp_lt_i32_e32 vcc, v0, v2
	v_mov_b32_e32 v9, 0
	v_mov_b32_e32 v7, v9
	v_cndmask_b32_e32 v0, v1, v0, vcc
	v_lshlrev_b32_e32 v10, 2, v0
	v_xor_b32_e32 v0, 2, v1
	v_cmp_lt_i32_e32 vcc, v0, v2
	s_waitcnt lgkmcnt(0)
	s_cmp_lg_u64 s[12:13], 0
	s_cselect_b64 s[8:9], -1, 0
	v_cndmask_b32_e32 v0, v1, v0, vcc
	v_lshlrev_b32_e32 v11, 2, v0
	v_xor_b32_e32 v0, 1, v1
	v_cmp_lt_i32_e32 vcc, v0, v2
	s_cmp_lg_u64 s[14:15], 0
	s_mov_b64 s[6:7], 0
	v_cndmask_b32_e32 v0, v1, v0, vcc
	v_lshlrev_b32_e32 v12, 2, v0
	v_lshl_add_u64 v[0:1], v[8:9], 0, v[6:7]
	v_lshl_add_u64 v[2:3], v[0:1], 0, s[4:5]
	v_lshlrev_b64 v[4:5], 3, v[2:3]
	v_add3_u32 v6, v13, v6, v8
	s_cselect_b64 s[10:11], -1, 0
	v_lshl_add_u64 v[2:3], s[14:15], 0, v[4:5]
	v_lshl_add_u64 v[4:5], s[12:13], 0, v[4:5]
	v_lshl_add_u32 v13, v6, 3, 0
                                        ; implicit-def: $vgpr6_vgpr7
                                        ; implicit-def: $vgpr8_vgpr9
	s_branch .LBB32_85
.LBB32_84:                              ;   in Loop: Header=BB32_85 Depth=1
	s_or_b64 exec, exec, s[12:13]
	v_lshl_add_u64 v[0:1], v[0:1], 0, 8
	v_add_u32_e32 v14, -8, v0
	v_cmp_lt_u32_e32 vcc, 55, v14
	v_lshl_add_u64 v[2:3], v[2:3], 0, 64
	v_lshl_add_u64 v[4:5], v[4:5], 0, 64
	s_or_b64 s[6:7], vcc, s[6:7]
	v_add_u32_e32 v13, 64, v13
	s_andn2_b64 exec, exec, s[6:7]
	s_cbranch_execz .LBB32_92
.LBB32_85:                              ; =>This Inner Loop Header: Depth=1
	s_and_saveexec_b64 s[12:13], s[0:1]
	s_cbranch_execz .LBB32_87
; %bb.86:                               ;   in Loop: Header=BB32_85 Depth=1
	ds_read_b64 v[6:7], v13
	ds_read_b64 v[8:9], v13 offset:4160
.LBB32_87:                              ;   in Loop: Header=BB32_85 Depth=1
	s_or_b64 exec, exec, s[12:13]
	s_waitcnt lgkmcnt(1)
	ds_bpermute_b32 v14, v10, v6
	ds_bpermute_b32 v15, v10, v7
	s_waitcnt lgkmcnt(2)
	ds_bpermute_b32 v16, v10, v8
	ds_bpermute_b32 v17, v10, v9
	s_waitcnt lgkmcnt(2)
	v_add_f64 v[6:7], v[6:7], v[14:15]
	ds_bpermute_b32 v14, v11, v6
	ds_bpermute_b32 v15, v11, v7
	s_waitcnt lgkmcnt(2)
	v_add_f64 v[8:9], v[8:9], v[16:17]
	;; [unrolled: 4-line block ×5, first 2 shown]
	v_lshl_add_u64 v[14:15], s[4:5], 0, v[0:1]
	v_cmp_gt_i64_e32 vcc, s[26:27], v[14:15]
	s_waitcnt lgkmcnt(0)
	v_add_f64 v[8:9], v[8:9], v[16:17]
	s_and_b64 s[14:15], s[2:3], vcc
	s_and_saveexec_b64 s[12:13], s[14:15]
	s_cbranch_execz .LBB32_84
; %bb.88:                               ;   in Loop: Header=BB32_85 Depth=1
	s_andn2_b64 vcc, exec, s[8:9]
	s_cbranch_vccnz .LBB32_90
; %bb.89:                               ;   in Loop: Header=BB32_85 Depth=1
	global_store_dwordx2 v[4:5], v[6:7], off
.LBB32_90:                              ;   in Loop: Header=BB32_85 Depth=1
	s_andn2_b64 vcc, exec, s[10:11]
	s_cbranch_vccnz .LBB32_84
; %bb.91:                               ;   in Loop: Header=BB32_85 Depth=1
	global_store_dwordx2 v[2:3], v[8:9], off
	s_branch .LBB32_84
.LBB32_92:
	s_endpgm
	.section	.rodata,"a",@progbits
	.p2align	6, 0x0
	.amdhsa_kernel _ZN2at6native12_GLOBAL__N_135GammaBetaBackwardCUDAKernelTemplateIddLj64ELj8ELj64ELb0ELb0ELb0EEEvllPKT_S5_PKT0_S8_PS3_S9_
		.amdhsa_group_segment_fixed_size 0
		.amdhsa_private_segment_fixed_size 0
		.amdhsa_kernarg_size 320
		.amdhsa_user_sgpr_count 2
		.amdhsa_user_sgpr_dispatch_ptr 0
		.amdhsa_user_sgpr_queue_ptr 0
		.amdhsa_user_sgpr_kernarg_segment_ptr 1
		.amdhsa_user_sgpr_dispatch_id 0
		.amdhsa_user_sgpr_kernarg_preload_length 0
		.amdhsa_user_sgpr_kernarg_preload_offset 0
		.amdhsa_user_sgpr_private_segment_size 0
		.amdhsa_uses_dynamic_stack 0
		.amdhsa_enable_private_segment 0
		.amdhsa_system_sgpr_workgroup_id_x 1
		.amdhsa_system_sgpr_workgroup_id_y 1
		.amdhsa_system_sgpr_workgroup_id_z 0
		.amdhsa_system_sgpr_workgroup_info 0
		.amdhsa_system_vgpr_workitem_id 1
		.amdhsa_next_free_vgpr 126
		.amdhsa_next_free_sgpr 68
		.amdhsa_accum_offset 128
		.amdhsa_reserve_vcc 1
		.amdhsa_float_round_mode_32 0
		.amdhsa_float_round_mode_16_64 0
		.amdhsa_float_denorm_mode_32 3
		.amdhsa_float_denorm_mode_16_64 3
		.amdhsa_dx10_clamp 1
		.amdhsa_ieee_mode 1
		.amdhsa_fp16_overflow 0
		.amdhsa_tg_split 0
		.amdhsa_exception_fp_ieee_invalid_op 0
		.amdhsa_exception_fp_denorm_src 0
		.amdhsa_exception_fp_ieee_div_zero 0
		.amdhsa_exception_fp_ieee_overflow 0
		.amdhsa_exception_fp_ieee_underflow 0
		.amdhsa_exception_fp_ieee_inexact 0
		.amdhsa_exception_int_div_zero 0
	.end_amdhsa_kernel
	.section	.text._ZN2at6native12_GLOBAL__N_135GammaBetaBackwardCUDAKernelTemplateIddLj64ELj8ELj64ELb0ELb0ELb0EEEvllPKT_S5_PKT0_S8_PS3_S9_,"axG",@progbits,_ZN2at6native12_GLOBAL__N_135GammaBetaBackwardCUDAKernelTemplateIddLj64ELj8ELj64ELb0ELb0ELb0EEEvllPKT_S5_PKT0_S8_PS3_S9_,comdat
.Lfunc_end32:
	.size	_ZN2at6native12_GLOBAL__N_135GammaBetaBackwardCUDAKernelTemplateIddLj64ELj8ELj64ELb0ELb0ELb0EEEvllPKT_S5_PKT0_S8_PS3_S9_, .Lfunc_end32-_ZN2at6native12_GLOBAL__N_135GammaBetaBackwardCUDAKernelTemplateIddLj64ELj8ELj64ELb0ELb0ELb0EEEvllPKT_S5_PKT0_S8_PS3_S9_
                                        ; -- End function
	.section	.AMDGPU.csdata,"",@progbits
; Kernel info:
; codeLenInByte = 8256
; NumSgprs: 74
; NumVgprs: 126
; NumAgprs: 0
; TotalNumVgprs: 126
; ScratchSize: 0
; MemoryBound: 1
; FloatMode: 240
; IeeeMode: 1
; LDSByteSize: 0 bytes/workgroup (compile time only)
; SGPRBlocks: 9
; VGPRBlocks: 15
; NumSGPRsForWavesPerEU: 74
; NumVGPRsForWavesPerEU: 126
; AccumOffset: 128
; Occupancy: 4
; WaveLimiterHint : 0
; COMPUTE_PGM_RSRC2:SCRATCH_EN: 0
; COMPUTE_PGM_RSRC2:USER_SGPR: 2
; COMPUTE_PGM_RSRC2:TRAP_HANDLER: 0
; COMPUTE_PGM_RSRC2:TGID_X_EN: 1
; COMPUTE_PGM_RSRC2:TGID_Y_EN: 1
; COMPUTE_PGM_RSRC2:TGID_Z_EN: 0
; COMPUTE_PGM_RSRC2:TIDIG_COMP_CNT: 1
; COMPUTE_PGM_RSRC3_GFX90A:ACCUM_OFFSET: 31
; COMPUTE_PGM_RSRC3_GFX90A:TG_SPLIT: 0
	.section	.text._ZN2at6native12_GLOBAL__N_135GammaBetaBackwardCUDAKernelTemplateIddLj64ELj16ELj128ELb0ELb1ELb0EEEvllPKT_S5_PKT0_S8_PS3_S9_,"axG",@progbits,_ZN2at6native12_GLOBAL__N_135GammaBetaBackwardCUDAKernelTemplateIddLj64ELj16ELj128ELb0ELb1ELb0EEEvllPKT_S5_PKT0_S8_PS3_S9_,comdat
	.globl	_ZN2at6native12_GLOBAL__N_135GammaBetaBackwardCUDAKernelTemplateIddLj64ELj16ELj128ELb0ELb1ELb0EEEvllPKT_S5_PKT0_S8_PS3_S9_ ; -- Begin function _ZN2at6native12_GLOBAL__N_135GammaBetaBackwardCUDAKernelTemplateIddLj64ELj16ELj128ELb0ELb1ELb0EEEvllPKT_S5_PKT0_S8_PS3_S9_
	.p2align	8
	.type	_ZN2at6native12_GLOBAL__N_135GammaBetaBackwardCUDAKernelTemplateIddLj64ELj16ELj128ELb0ELb1ELb0EEEvllPKT_S5_PKT0_S8_PS3_S9_,@function
_ZN2at6native12_GLOBAL__N_135GammaBetaBackwardCUDAKernelTemplateIddLj64ELj16ELj128ELb0ELb1ELb0EEEvllPKT_S5_PKT0_S8_PS3_S9_: ; @_ZN2at6native12_GLOBAL__N_135GammaBetaBackwardCUDAKernelTemplateIddLj64ELj16ELj128ELb0ELb1ELb0EEEvllPKT_S5_PKT0_S8_PS3_S9_
; %bb.0:
	s_load_dwordx4 s[16:19], s[0:1], 0x0
	s_lshl_b32 s6, s3, 7
	s_mov_b32 s7, 0
	v_bfe_u32 v46, v0, 10, 10
	s_waitcnt lgkmcnt(0)
	v_mov_b64_e32 v[2:3], s[16:17]
	v_cmp_lt_i64_e32 vcc, s[6:7], v[2:3]
	s_cbranch_vccnz .LBB33_2
; %bb.1:
	s_mov_b64 s[4:5], 0
	s_mov_b64 s[8:9], 0
	v_bfe_u32 v6, v0, 10, 10
	s_branch .LBB33_3
.LBB33_2:
	s_mov_b64 s[4:5], -1
                                        ; implicit-def: $sgpr8_sgpr9
                                        ; implicit-def: $vgpr6
.LBB33_3:
	v_and_b32_e32 v44, 0x3ff, v0
	s_andn2_b64 vcc, exec, s[4:5]
	v_mov_b64_e32 v[14:15], s[8:9]
	v_mbcnt_lo_u32_b32 v45, -1, 0
	v_mov_b64_e32 v[4:5], s[8:9]
	s_cbranch_vccnz .LBB33_11
; %bb.4:
	s_load_dword s3, s[0:1], 0x4c
	s_load_dword s20, s[0:1], 0x44
	s_load_dwordx8 s[8:15], s[0:1], 0x10
	v_mbcnt_hi_u32_b32 v6, -1, v45
	v_lshlrev_b32_e32 v0, 3, v46
	s_waitcnt lgkmcnt(0)
	s_and_b32 s3, s3, 0xffff
	v_mad_u32_u24 v1, v46, s3, v44
	v_and_b32_e32 v2, 63, v1
	v_mov_b32_e32 v1, 0
	v_lshlrev_b32_e32 v6, 2, v6
	v_mov_b32_e32 v3, v1
	v_and_b32_e32 v47, 0x100, v6
	v_lshl_add_u64 v[6:7], v[0:1], 0, s[6:7]
	v_mov_b32_e32 v5, v1
	s_lshl_b32 s20, s20, 7
	v_lshl_add_u64 v[0:1], v[6:7], 0, v[2:3]
	v_mul_lo_u32 v8, s19, v6
	v_mul_lo_u32 v9, s18, v7
	v_mad_u64_u32 v[6:7], s[24:25], s18, v6, 0
	v_lshl_add_u32 v4, s2, 6, v44
	s_mul_i32 s3, s19, s20
	s_mul_hi_u32 s24, s18, s20
	s_mov_b32 s21, 0
	v_add3_u32 v7, v7, v9, v8
	v_lshlrev_b64 v[4:5], 3, v[4:5]
	s_add_i32 s25, s24, s3
	s_mul_i32 s24, s18, s20
	v_mov_b64_e32 v[8:9], 0
	v_cmp_gt_u32_e64 s[4:5], 8, v2
	v_or_b32_e32 v48, 4, v47
	v_or_b32_e32 v49, 8, v47
	;; [unrolled: 1-line block ×7, first 2 shown]
	v_lshlrev_b64 v[2:3], 3, v[0:1]
	s_lshl_b64 s[22:23], s[20:21], 3
	v_lshl_add_u64 v[6:7], v[6:7], 3, v[4:5]
	s_lshl_b64 s[24:25], s[24:25], 3
	s_lshl_b64 s[18:19], s[18:19], 3
	v_mov_b64_e32 v[10:11], s[16:17]
	v_mov_b64_e32 v[4:5], v[8:9]
	v_mov_b64_e32 v[14:15], v[8:9]
	s_branch .LBB33_7
.LBB33_5:                               ;   in Loop: Header=BB33_7 Depth=1
	s_or_b64 exec, exec, s[28:29]
.LBB33_6:                               ;   in Loop: Header=BB33_7 Depth=1
	s_or_b64 exec, exec, s[26:27]
	v_lshl_add_u64 v[16:17], s[10:11], 0, v[6:7]
	global_load_dwordx2 v[56:57], v[16:17], off
	v_lshl_add_u64 v[18:19], s[8:9], 0, v[6:7]
	global_load_dwordx2 v[38:39], v[18:19], off
	;; [unrolled: 2-line block ×6, first 2 shown]
	v_lshl_add_u64 v[16:17], v[16:17], 0, s[18:19]
	v_lshl_add_u64 v[18:19], v[18:19], 0, s[18:19]
	global_load_dwordx2 v[36:37], v[16:17], off
	global_load_dwordx2 v[32:33], v[18:19], off
	v_lshl_add_u64 v[16:17], v[16:17], 0, s[18:19]
	v_lshl_add_u64 v[18:19], v[18:19], 0, s[18:19]
	global_load_dwordx2 v[34:35], v[16:17], off
	global_load_dwordx2 v[22:23], v[18:19], off
	;; [unrolled: 4-line block ×3, first 2 shown]
	v_lshl_add_u64 v[16:17], v[16:17], 0, s[18:19]
	global_load_dwordx2 v[26:27], v[16:17], off
	v_lshl_add_u64 v[20:21], v[18:19], 0, s[18:19]
	global_load_dwordx2 v[18:19], v[20:21], off
	v_lshl_add_u64 v[16:17], v[16:17], 0, s[18:19]
	v_lshl_add_u64 v[62:63], v[20:21], 0, s[18:19]
	global_load_dwordx2 v[20:21], v[16:17], off
	s_nop 0
	global_load_dwordx2 v[16:17], v[62:63], off
	s_waitcnt vmcnt(17)
	ds_bpermute_b32 v62, v47, v30
	ds_bpermute_b32 v63, v47, v31
	s_waitcnt vmcnt(16)
	ds_bpermute_b32 v64, v47, v12
	ds_bpermute_b32 v65, v47, v13
	s_add_u32 s6, s6, s20
	s_addc_u32 s7, s7, 0
	v_cmp_lt_i64_e32 vcc, s[6:7], v[10:11]
	v_lshl_add_u64 v[2:3], v[2:3], 0, s[22:23]
	v_lshl_add_u64 v[0:1], v[0:1], 0, s[20:21]
	;; [unrolled: 1-line block ×3, first 2 shown]
	s_and_b64 vcc, exec, vcc
	s_waitcnt vmcnt(15) lgkmcnt(2)
	v_add_f64 v[56:57], v[56:57], -v[62:63]
	ds_bpermute_b32 v62, v48, v30
	ds_bpermute_b32 v63, v48, v31
	s_waitcnt vmcnt(14)
	v_mul_f64 v[56:57], v[38:39], v[56:57]
	s_waitcnt lgkmcnt(2)
	v_fmac_f64_e32 v[4:5], v[56:57], v[64:65]
	ds_bpermute_b32 v56, v48, v12
	ds_bpermute_b32 v57, v48, v13
	s_waitcnt vmcnt(13) lgkmcnt(2)
	v_add_f64 v[58:59], v[58:59], -v[62:63]
	ds_bpermute_b32 v62, v49, v30
	ds_bpermute_b32 v63, v49, v31
	ds_bpermute_b32 v64, v49, v12
	ds_bpermute_b32 v65, v49, v13
	s_waitcnt vmcnt(12)
	v_mul_f64 v[58:59], v[40:41], v[58:59]
	s_waitcnt lgkmcnt(4)
	v_fmac_f64_e32 v[4:5], v[58:59], v[56:57]
	ds_bpermute_b32 v56, v50, v30
	ds_bpermute_b32 v57, v50, v31
	s_waitcnt vmcnt(11) lgkmcnt(4)
	v_add_f64 v[60:61], v[60:61], -v[62:63]
	ds_bpermute_b32 v58, v51, v30
	ds_bpermute_b32 v59, v51, v31
	s_waitcnt vmcnt(10)
	v_mul_f64 v[60:61], v[42:43], v[60:61]
	ds_bpermute_b32 v62, v52, v30
	ds_bpermute_b32 v63, v52, v31
	s_waitcnt lgkmcnt(6)
	v_fmac_f64_e32 v[4:5], v[60:61], v[64:65]
	ds_bpermute_b32 v64, v50, v12
	ds_bpermute_b32 v65, v50, v13
	;; [unrolled: 1-line block ×4, first 2 shown]
	v_add_f64 v[14:15], v[14:15], v[38:39]
	ds_bpermute_b32 v38, v51, v12
	ds_bpermute_b32 v39, v51, v13
	ds_bpermute_b32 v30, v54, v30
	ds_bpermute_b32 v31, v54, v31
	v_add_f64 v[14:15], v[14:15], v[40:41]
	ds_bpermute_b32 v40, v52, v12
	ds_bpermute_b32 v41, v52, v13
	v_add_f64 v[14:15], v[14:15], v[42:43]
	ds_bpermute_b32 v42, v53, v12
	ds_bpermute_b32 v43, v53, v13
	s_waitcnt vmcnt(9) lgkmcnt(14)
	v_add_f64 v[36:37], v[36:37], -v[56:57]
	ds_bpermute_b32 v12, v54, v12
	s_waitcnt vmcnt(8)
	v_add_f64 v[14:15], v[14:15], v[32:33]
	v_mul_f64 v[32:33], v[32:33], v[36:37]
	s_waitcnt vmcnt(7)
	v_add_f64 v[34:35], v[34:35], -v[58:59]
	ds_bpermute_b32 v13, v54, v13
	s_waitcnt vmcnt(6)
	v_add_f64 v[14:15], v[14:15], v[22:23]
	s_waitcnt lgkmcnt(12)
	v_fmac_f64_e32 v[4:5], v[32:33], v[64:65]
	v_mul_f64 v[22:23], v[22:23], v[34:35]
	s_waitcnt vmcnt(5)
	v_add_f64 v[28:29], v[28:29], -v[62:63]
	s_waitcnt vmcnt(4)
	v_add_f64 v[14:15], v[14:15], v[24:25]
	s_waitcnt lgkmcnt(8)
	v_fmac_f64_e32 v[4:5], v[22:23], v[38:39]
	v_mul_f64 v[22:23], v[24:25], v[28:29]
	s_waitcnt vmcnt(3)
	v_add_f64 v[24:25], v[26:27], -v[60:61]
	s_waitcnt lgkmcnt(4)
	v_fmac_f64_e32 v[4:5], v[22:23], v[40:41]
	s_waitcnt vmcnt(2)
	v_mul_f64 v[22:23], v[18:19], v[24:25]
	v_add_f64 v[14:15], v[14:15], v[18:19]
	s_waitcnt vmcnt(1)
	v_add_f64 v[18:19], v[20:21], -v[30:31]
	s_waitcnt lgkmcnt(2)
	v_fmac_f64_e32 v[4:5], v[22:23], v[42:43]
	s_waitcnt vmcnt(0)
	v_mul_f64 v[18:19], v[16:17], v[18:19]
	s_waitcnt lgkmcnt(0)
	v_fmac_f64_e32 v[4:5], v[18:19], v[12:13]
	v_add_f64 v[14:15], v[14:15], v[16:17]
	s_cbranch_vccz .LBB33_10
.LBB33_7:                               ; =>This Inner Loop Header: Depth=1
	v_mov_b64_e32 v[12:13], v[8:9]
	v_mov_b64_e32 v[30:31], v[8:9]
	s_and_saveexec_b64 s[26:27], s[4:5]
	s_cbranch_execz .LBB33_6
; %bb.8:                                ;   in Loop: Header=BB33_7 Depth=1
	v_mov_b64_e32 v[30:31], 0
	v_cmp_gt_i64_e32 vcc, s[16:17], v[0:1]
	v_mov_b64_e32 v[12:13], v[30:31]
	s_and_saveexec_b64 s[28:29], vcc
	s_cbranch_execz .LBB33_5
; %bb.9:                                ;   in Loop: Header=BB33_7 Depth=1
	v_lshl_add_u64 v[18:19], s[12:13], 0, v[2:3]
	v_lshl_add_u64 v[16:17], s[14:15], 0, v[2:3]
	global_load_dwordx2 v[30:31], v[18:19], off
	global_load_dwordx2 v[12:13], v[16:17], off
	s_branch .LBB33_5
.LBB33_10:
	v_mov_b32_e32 v6, v46
.LBB33_11:
	s_load_dwordx4 s[4:7], s[0:1], 0x30
	s_movk_i32 s0, 0x41
	v_mad_u32_u24 v0, v6, s0, v44
	v_lshl_add_u32 v0, v0, 3, 0
	ds_write_b64 v0, v[4:5]
	ds_write_b64 v0, v[14:15] offset:8320
	v_lshrrev_b32_e32 v4, 6, v44
	v_add_u32_e32 v0, v4, v6
	s_mov_b32 s3, 0
	v_cmp_gt_u32_e32 vcc, 64, v0
	s_waitcnt lgkmcnt(0)
	s_barrier
	s_and_saveexec_b64 s[0:1], vcc
	s_cbranch_execz .LBB33_21
; %bb.12:
	v_and_b32_e32 v1, 63, v44
	v_cmp_gt_u32_e64 s[0:1], 16, v1
	v_mul_u32_u24_e32 v5, 0x41, v1
	v_mbcnt_hi_u32_b32 v1, -1, v45
	v_and_b32_e32 v2, 64, v1
	v_add_u32_e32 v2, 64, v2
	v_xor_b32_e32 v3, 8, v1
	v_cmp_lt_i32_e32 vcc, v3, v2
	s_lshl_b64 s[14:15], s[2:3], 6
	v_mov_b32_e32 v7, 0
	v_cndmask_b32_e32 v3, v1, v3, vcc
	v_lshlrev_b32_e32 v8, 2, v3
	v_xor_b32_e32 v3, 4, v1
	v_cmp_lt_i32_e32 vcc, v3, v2
	v_add_u32_e32 v12, -16, v0
	v_or_b32_e32 v0, s14, v4
	v_cndmask_b32_e32 v3, v1, v3, vcc
	v_lshlrev_b32_e32 v9, 2, v3
	v_xor_b32_e32 v3, 2, v1
	v_cmp_lt_i32_e32 vcc, v3, v2
	s_cmp_lg_u64 s[4:5], 0
	s_cselect_b64 s[10:11], -1, 0
	v_cndmask_b32_e32 v3, v1, v3, vcc
	v_lshlrev_b32_e32 v10, 2, v3
	v_xor_b32_e32 v3, 1, v1
	v_cmp_lt_i32_e32 vcc, v3, v2
	s_cmp_lg_u64 s[6:7], 0
	v_add3_u32 v4, v5, v6, v4
	v_cndmask_b32_e32 v1, v1, v3, vcc
	v_lshlrev_b32_e32 v11, 2, v1
	v_mov_b32_e32 v1, s15
	v_lshl_add_u64 v[0:1], v[0:1], 0, v[6:7]
	v_lshlrev_b64 v[2:3], 3, v[0:1]
	v_cmp_eq_u32_e64 s[2:3], 0, v44
	s_mov_b64 s[8:9], 0
	s_cselect_b64 s[12:13], -1, 0
	v_lshl_add_u64 v[0:1], s[6:7], 0, v[2:3]
	v_lshl_add_u64 v[2:3], s[4:5], 0, v[2:3]
	v_lshl_add_u32 v13, v4, 3, 0
	s_mov_b64 s[4:5], 0x80
                                        ; implicit-def: $vgpr4_vgpr5
                                        ; implicit-def: $vgpr6_vgpr7
	s_branch .LBB33_14
.LBB33_13:                              ;   in Loop: Header=BB33_14 Depth=1
	s_or_b64 exec, exec, s[6:7]
	v_add_u32_e32 v12, 16, v12
	v_cmp_lt_u32_e32 vcc, 47, v12
	v_lshl_add_u64 v[0:1], v[0:1], 0, s[4:5]
	v_lshl_add_u64 v[2:3], v[2:3], 0, s[4:5]
	s_or_b64 s[8:9], vcc, s[8:9]
	v_add_u32_e32 v13, 0x80, v13
	s_andn2_b64 exec, exec, s[8:9]
	s_cbranch_execz .LBB33_21
.LBB33_14:                              ; =>This Inner Loop Header: Depth=1
	s_and_saveexec_b64 s[6:7], s[0:1]
	s_cbranch_execz .LBB33_16
; %bb.15:                               ;   in Loop: Header=BB33_14 Depth=1
	ds_read_b64 v[4:5], v13
	ds_read_b64 v[6:7], v13 offset:8320
.LBB33_16:                              ;   in Loop: Header=BB33_14 Depth=1
	s_or_b64 exec, exec, s[6:7]
	s_waitcnt lgkmcnt(1)
	ds_bpermute_b32 v14, v8, v4
	ds_bpermute_b32 v15, v8, v5
	s_waitcnt lgkmcnt(2)
	ds_bpermute_b32 v16, v8, v6
	ds_bpermute_b32 v17, v8, v7
	s_waitcnt lgkmcnt(2)
	v_add_f64 v[4:5], v[4:5], v[14:15]
	ds_bpermute_b32 v14, v9, v4
	s_waitcnt lgkmcnt(1)
	v_add_f64 v[6:7], v[6:7], v[16:17]
	ds_bpermute_b32 v15, v9, v5
	ds_bpermute_b32 v16, v9, v6
	ds_bpermute_b32 v17, v9, v7
	s_waitcnt lgkmcnt(2)
	v_add_f64 v[4:5], v[4:5], v[14:15]
	ds_bpermute_b32 v14, v10, v4
	s_waitcnt lgkmcnt(1)
	v_add_f64 v[6:7], v[6:7], v[16:17]
	ds_bpermute_b32 v15, v10, v5
	;; [unrolled: 8-line block ×3, first 2 shown]
	ds_bpermute_b32 v16, v11, v6
	ds_bpermute_b32 v17, v11, v7
	s_waitcnt lgkmcnt(2)
	v_add_f64 v[4:5], v[4:5], v[14:15]
	s_waitcnt lgkmcnt(0)
	v_add_f64 v[6:7], v[6:7], v[16:17]
	s_and_saveexec_b64 s[6:7], s[2:3]
	s_cbranch_execz .LBB33_13
; %bb.17:                               ;   in Loop: Header=BB33_14 Depth=1
	s_andn2_b64 vcc, exec, s[10:11]
	s_cbranch_vccnz .LBB33_19
; %bb.18:                               ;   in Loop: Header=BB33_14 Depth=1
	global_store_dwordx2 v[2:3], v[4:5], off
.LBB33_19:                              ;   in Loop: Header=BB33_14 Depth=1
	s_andn2_b64 vcc, exec, s[12:13]
	s_cbranch_vccnz .LBB33_13
; %bb.20:                               ;   in Loop: Header=BB33_14 Depth=1
	global_store_dwordx2 v[0:1], v[6:7], off
	s_branch .LBB33_13
.LBB33_21:
	s_endpgm
	.section	.rodata,"a",@progbits
	.p2align	6, 0x0
	.amdhsa_kernel _ZN2at6native12_GLOBAL__N_135GammaBetaBackwardCUDAKernelTemplateIddLj64ELj16ELj128ELb0ELb1ELb0EEEvllPKT_S5_PKT0_S8_PS3_S9_
		.amdhsa_group_segment_fixed_size 0
		.amdhsa_private_segment_fixed_size 0
		.amdhsa_kernarg_size 320
		.amdhsa_user_sgpr_count 2
		.amdhsa_user_sgpr_dispatch_ptr 0
		.amdhsa_user_sgpr_queue_ptr 0
		.amdhsa_user_sgpr_kernarg_segment_ptr 1
		.amdhsa_user_sgpr_dispatch_id 0
		.amdhsa_user_sgpr_kernarg_preload_length 0
		.amdhsa_user_sgpr_kernarg_preload_offset 0
		.amdhsa_user_sgpr_private_segment_size 0
		.amdhsa_uses_dynamic_stack 0
		.amdhsa_enable_private_segment 0
		.amdhsa_system_sgpr_workgroup_id_x 1
		.amdhsa_system_sgpr_workgroup_id_y 1
		.amdhsa_system_sgpr_workgroup_id_z 0
		.amdhsa_system_sgpr_workgroup_info 0
		.amdhsa_system_vgpr_workitem_id 1
		.amdhsa_next_free_vgpr 66
		.amdhsa_next_free_sgpr 30
		.amdhsa_accum_offset 68
		.amdhsa_reserve_vcc 1
		.amdhsa_float_round_mode_32 0
		.amdhsa_float_round_mode_16_64 0
		.amdhsa_float_denorm_mode_32 3
		.amdhsa_float_denorm_mode_16_64 3
		.amdhsa_dx10_clamp 1
		.amdhsa_ieee_mode 1
		.amdhsa_fp16_overflow 0
		.amdhsa_tg_split 0
		.amdhsa_exception_fp_ieee_invalid_op 0
		.amdhsa_exception_fp_denorm_src 0
		.amdhsa_exception_fp_ieee_div_zero 0
		.amdhsa_exception_fp_ieee_overflow 0
		.amdhsa_exception_fp_ieee_underflow 0
		.amdhsa_exception_fp_ieee_inexact 0
		.amdhsa_exception_int_div_zero 0
	.end_amdhsa_kernel
	.section	.text._ZN2at6native12_GLOBAL__N_135GammaBetaBackwardCUDAKernelTemplateIddLj64ELj16ELj128ELb0ELb1ELb0EEEvllPKT_S5_PKT0_S8_PS3_S9_,"axG",@progbits,_ZN2at6native12_GLOBAL__N_135GammaBetaBackwardCUDAKernelTemplateIddLj64ELj16ELj128ELb0ELb1ELb0EEEvllPKT_S5_PKT0_S8_PS3_S9_,comdat
.Lfunc_end33:
	.size	_ZN2at6native12_GLOBAL__N_135GammaBetaBackwardCUDAKernelTemplateIddLj64ELj16ELj128ELb0ELb1ELb0EEEvllPKT_S5_PKT0_S8_PS3_S9_, .Lfunc_end33-_ZN2at6native12_GLOBAL__N_135GammaBetaBackwardCUDAKernelTemplateIddLj64ELj16ELj128ELb0ELb1ELb0EEEvllPKT_S5_PKT0_S8_PS3_S9_
                                        ; -- End function
	.section	.AMDGPU.csdata,"",@progbits
; Kernel info:
; codeLenInByte = 1964
; NumSgprs: 36
; NumVgprs: 66
; NumAgprs: 0
; TotalNumVgprs: 66
; ScratchSize: 0
; MemoryBound: 0
; FloatMode: 240
; IeeeMode: 1
; LDSByteSize: 0 bytes/workgroup (compile time only)
; SGPRBlocks: 4
; VGPRBlocks: 8
; NumSGPRsForWavesPerEU: 36
; NumVGPRsForWavesPerEU: 66
; AccumOffset: 68
; Occupancy: 7
; WaveLimiterHint : 0
; COMPUTE_PGM_RSRC2:SCRATCH_EN: 0
; COMPUTE_PGM_RSRC2:USER_SGPR: 2
; COMPUTE_PGM_RSRC2:TRAP_HANDLER: 0
; COMPUTE_PGM_RSRC2:TGID_X_EN: 1
; COMPUTE_PGM_RSRC2:TGID_Y_EN: 1
; COMPUTE_PGM_RSRC2:TGID_Z_EN: 0
; COMPUTE_PGM_RSRC2:TIDIG_COMP_CNT: 1
; COMPUTE_PGM_RSRC3_GFX90A:ACCUM_OFFSET: 16
; COMPUTE_PGM_RSRC3_GFX90A:TG_SPLIT: 0
	.section	.text._ZN2at6native12_GLOBAL__N_135GammaBetaBackwardCUDAKernelTemplateIddLj64ELj16ELj128ELb0ELb0ELb0EEEvllPKT_S5_PKT0_S8_PS3_S9_,"axG",@progbits,_ZN2at6native12_GLOBAL__N_135GammaBetaBackwardCUDAKernelTemplateIddLj64ELj16ELj128ELb0ELb0ELb0EEEvllPKT_S5_PKT0_S8_PS3_S9_,comdat
	.globl	_ZN2at6native12_GLOBAL__N_135GammaBetaBackwardCUDAKernelTemplateIddLj64ELj16ELj128ELb0ELb0ELb0EEEvllPKT_S5_PKT0_S8_PS3_S9_ ; -- Begin function _ZN2at6native12_GLOBAL__N_135GammaBetaBackwardCUDAKernelTemplateIddLj64ELj16ELj128ELb0ELb0ELb0EEEvllPKT_S5_PKT0_S8_PS3_S9_
	.p2align	8
	.type	_ZN2at6native12_GLOBAL__N_135GammaBetaBackwardCUDAKernelTemplateIddLj64ELj16ELj128ELb0ELb0ELb0EEEvllPKT_S5_PKT0_S8_PS3_S9_,@function
_ZN2at6native12_GLOBAL__N_135GammaBetaBackwardCUDAKernelTemplateIddLj64ELj16ELj128ELb0ELb0ELb0EEEvllPKT_S5_PKT0_S8_PS3_S9_: ; @_ZN2at6native12_GLOBAL__N_135GammaBetaBackwardCUDAKernelTemplateIddLj64ELj16ELj128ELb0ELb0ELb0EEEvllPKT_S5_PKT0_S8_PS3_S9_
; %bb.0:
	s_load_dwordx8 s[24:31], s[0:1], 0x0
	s_load_dwordx4 s[36:39], s[0:1], 0x20
	s_lshl_b32 s33, s2, 6
	s_or_b32 s34, s33, 63
	s_mov_b32 s35, 0
	s_waitcnt lgkmcnt(0)
	v_mov_b64_e32 v[2:3], s[26:27]
	v_cmp_ge_i64_e32 vcc, s[34:35], v[2:3]
	s_lshl_b32 s34, s3, 7
	v_mov_b64_e32 v[2:3], s[24:25]
	v_cmp_lt_i64_e64 s[4:5], s[34:35], v[2:3]
	s_nop 1
	v_cndmask_b32_e64 v1, 0, 1, s[4:5]
	v_cmp_ne_u32_e64 s[4:5], 1, v1
	s_cbranch_vccz .LBB34_49
; %bb.1:
	v_mov_b64_e32 v[50:51], 0
	s_mov_b64 s[40:41], 0
	s_and_b64 vcc, exec, s[4:5]
	v_mov_b64_e32 v[52:53], v[50:51]
	s_cbranch_vccnz .LBB34_50
; %bb.2:
	v_mov_b32_e32 v5, 0
	v_bfe_u32 v98, v0, 10, 10
	s_load_dword s3, s[0:1], 0x44
	v_lshlrev_b32_e32 v54, 3, v98
	v_mov_b32_e32 v55, v5
	v_and_b32_e32 v1, 0x3ff, v0
	v_lshl_add_u64 v[2:3], v[54:55], 0, s[34:35]
	v_add_u32_e32 v4, s33, v1
	v_lshl_add_u64 v[6:7], v[2:3], 0, 7
	s_add_u32 s42, s0, 64
	v_cmp_gt_i64_e64 s[6:7], s[26:27], v[4:5]
	v_lshlrev_b64 v[56:57], 3, v[4:5]
	v_mul_lo_u32 v4, s27, v6
	v_mul_lo_u32 v8, s26, v7
	v_mad_u64_u32 v[6:7], s[10:11], s26, v6, 0
	s_addc_u32 s43, s1, 0
	s_waitcnt lgkmcnt(0)
	s_lshl_b32 s3, s3, 7
	v_add3_u32 v7, v7, v8, v4
	v_lshlrev_b64 v[6:7], 3, v[6:7]
	s_mul_i32 s9, s27, s3
	s_mul_hi_u32 s10, s26, s3
	v_lshl_add_u64 v[58:59], s[28:29], 0, v[6:7]
	s_add_i32 s11, s10, s9
	s_mul_i32 s10, s26, s3
	v_lshl_add_u64 v[60:61], s[30:31], 0, v[6:7]
	v_lshl_add_u64 v[6:7], v[2:3], 0, 6
	s_lshl_b64 s[44:45], s[10:11], 3
	v_mul_lo_u32 v4, s27, v6
	v_mul_lo_u32 v8, s26, v7
	v_mad_u64_u32 v[6:7], s[10:11], s26, v6, 0
	v_add3_u32 v7, v7, v8, v4
	v_lshlrev_b64 v[6:7], 3, v[6:7]
	v_lshl_add_u64 v[62:63], s[28:29], 0, v[6:7]
	v_lshl_add_u64 v[64:65], s[30:31], 0, v[6:7]
	v_lshl_add_u64 v[6:7], v[2:3], 0, 5
	v_mul_lo_u32 v4, s27, v6
	v_mul_lo_u32 v8, s26, v7
	v_mad_u64_u32 v[6:7], s[10:11], s26, v6, 0
	v_add3_u32 v7, v7, v8, v4
	v_lshlrev_b64 v[6:7], 3, v[6:7]
	v_lshl_add_u64 v[66:67], s[28:29], 0, v[6:7]
	v_lshl_add_u64 v[68:69], s[30:31], 0, v[6:7]
	v_lshl_add_u64 v[6:7], v[2:3], 0, 4
	v_mul_lo_u32 v4, s27, v6
	v_mul_lo_u32 v8, s26, v7
	v_mad_u64_u32 v[6:7], s[10:11], s26, v6, 0
	v_add3_u32 v7, v7, v8, v4
	v_lshlrev_b64 v[6:7], 3, v[6:7]
	v_lshl_add_u64 v[70:71], s[28:29], 0, v[6:7]
	v_lshl_add_u64 v[72:73], s[30:31], 0, v[6:7]
	v_lshl_add_u64 v[6:7], v[2:3], 0, 3
	v_mul_lo_u32 v4, s27, v6
	v_mul_lo_u32 v8, s26, v7
	v_mad_u64_u32 v[6:7], s[10:11], s26, v6, 0
	v_add3_u32 v7, v7, v8, v4
	v_lshlrev_b64 v[6:7], 3, v[6:7]
	v_lshl_add_u64 v[74:75], s[28:29], 0, v[6:7]
	v_lshl_add_u64 v[76:77], s[30:31], 0, v[6:7]
	v_lshl_add_u64 v[6:7], v[2:3], 0, 2
	v_mul_lo_u32 v4, s27, v6
	v_mul_lo_u32 v8, s26, v7
	v_mad_u64_u32 v[6:7], s[10:11], s26, v6, 0
	v_add3_u32 v7, v7, v8, v4
	v_lshlrev_b64 v[6:7], 3, v[6:7]
	v_lshl_add_u64 v[78:79], s[28:29], 0, v[6:7]
	v_lshl_add_u64 v[80:81], s[30:31], 0, v[6:7]
	v_mov_b64_e32 v[6:7], s[26:27]
	v_mad_u64_u32 v[6:7], s[10:11], s26, v2, v[6:7]
	v_mul_lo_u32 v4, s26, v3
	v_mul_lo_u32 v8, s27, v2
	v_mad_u64_u32 v[2:3], s[10:11], s26, v2, 0
	v_add3_u32 v3, v3, v4, v8
	v_lshlrev_b64 v[2:3], 3, v[2:3]
	v_lshl_add_u64 v[86:87], s[28:29], 0, v[2:3]
	v_lshl_add_u64 v[88:89], s[30:31], 0, v[2:3]
	v_mbcnt_lo_u32_b32 v2, -1, 0
	v_add3_u32 v7, v8, v7, v4
	v_mbcnt_hi_u32_b32 v2, -1, v2
	v_lshlrev_b64 v[6:7], 3, v[6:7]
	s_add_u32 s46, s34, 0x7f
	v_mov_b64_e32 v[90:91], 0
	s_movk_i32 s48, 0xff81
	s_movk_i32 s50, 0xff82
	s_movk_i32 s52, 0xff83
	s_movk_i32 s54, 0xff84
	s_movk_i32 s56, 0xff85
	s_movk_i32 s58, 0xff86
	s_movk_i32 s60, 0xff87
	s_movk_i32 s62, 0xff88
	v_lshlrev_b32_e32 v2, 2, v2
	s_mov_b32 s8, 0
	v_lshl_add_u64 v[82:83], s[28:29], 0, v[6:7]
	v_lshl_add_u64 v[84:85], s[30:31], 0, v[6:7]
	s_addc_u32 s47, 0, 0
	s_mov_b32 s49, -1
	s_mov_b32 s51, -1
	;; [unrolled: 1-line block ×8, first 2 shown]
	v_and_b32_e32 v99, 0x100, v2
	v_mov_b64_e32 v[50:51], v[90:91]
	s_mov_b64 s[64:65], s[34:35]
.LBB34_3:                               ; =>This Inner Loop Header: Depth=1
	v_mov_b64_e32 v[2:3], s[24:25]
	v_cmp_ge_i64_e32 vcc, s[46:47], v[2:3]
	v_lshl_add_u64 v[92:93], v[54:55], 0, s[46:47]
	s_cbranch_vccz .LBB34_25
; %bb.4:                                ;   in Loop: Header=BB34_3 Depth=1
	s_load_dword s9, s[42:43], 0xc
	v_mov_b64_e32 v[96:97], 0
	v_mov_b64_e32 v[94:95], v[96:97]
	s_waitcnt lgkmcnt(0)
	s_and_b32 s9, s9, 0xffff
	v_mad_u32_u24 v2, v98, s9, v1
	v_and_b32_e32 v4, 63, v2
	v_cmp_gt_u32_e32 vcc, 8, v4
	s_and_saveexec_b64 s[10:11], vcc
	s_cbranch_execz .LBB34_8
; %bb.5:                                ;   in Loop: Header=BB34_3 Depth=1
	v_lshl_add_u64 v[2:3], v[92:93], 0, v[4:5]
	v_lshl_add_u64 v[2:3], v[2:3], 0, s[48:49]
	v_mov_b64_e32 v[94:95], 0
	v_cmp_gt_i64_e32 vcc, s[24:25], v[2:3]
	v_mov_b64_e32 v[96:97], v[94:95]
	s_and_saveexec_b64 s[12:13], vcc
	s_cbranch_execz .LBB34_7
; %bb.6:                                ;   in Loop: Header=BB34_3 Depth=1
	v_lshlrev_b64 v[2:3], 3, v[2:3]
	v_lshl_add_u64 v[6:7], s[38:39], 0, v[2:3]
	v_lshl_add_u64 v[2:3], s[36:37], 0, v[2:3]
	global_load_dwordx2 v[94:95], v[2:3], off
	global_load_dwordx2 v[96:97], v[6:7], off
.LBB34_7:                               ;   in Loop: Header=BB34_3 Depth=1
	s_or_b64 exec, exec, s[12:13]
.LBB34_8:                               ;   in Loop: Header=BB34_3 Depth=1
	s_or_b64 exec, exec, s[10:11]
	s_mov_b32 s22, s8
	s_mov_b32 s23, s8
	v_lshl_add_u64 v[2:3], v[92:93], 0, s[48:49]
	s_mov_b32 s9, s8
	s_mov_b32 s10, s8
	;; [unrolled: 1-line block ×13, first 2 shown]
	v_mov_b64_e32 v[32:33], s[22:23]
	v_cmp_gt_i64_e32 vcc, s[24:25], v[2:3]
	v_mov_b64_e32 v[30:31], s[20:21]
	v_mov_b64_e32 v[28:29], s[18:19]
	;; [unrolled: 1-line block ×8, first 2 shown]
	s_and_b64 s[66:67], s[6:7], vcc
	v_mov_b64_e32 v[46:47], v[30:31]
	v_mov_b64_e32 v[44:45], v[28:29]
	;; [unrolled: 1-line block ×7, first 2 shown]
	s_and_saveexec_b64 s[10:11], s[66:67]
	s_cbranch_execz .LBB34_10
; %bb.9:                                ;   in Loop: Header=BB34_3 Depth=1
	v_lshl_add_u64 v[2:3], v[86:87], 0, v[56:57]
	global_load_dwordx2 v[2:3], v[2:3], off
	v_lshl_add_u64 v[6:7], v[88:89], 0, v[56:57]
	global_load_dwordx2 v[18:19], v[6:7], off
	v_mov_b32_e32 v16, v5
	v_mov_b32_e32 v17, v5
	;; [unrolled: 1-line block ×13, first 2 shown]
	s_waitcnt vmcnt(1)
	v_mov_b64_e32 v[48:49], v[16:17]
	v_mov_b32_e32 v20, v5
	v_mov_b32_e32 v21, v5
	;; [unrolled: 1-line block ×14, first 2 shown]
	v_mov_b64_e32 v[46:47], v[14:15]
	v_mov_b64_e32 v[44:45], v[12:13]
	;; [unrolled: 1-line block ×7, first 2 shown]
.LBB34_10:                              ;   in Loop: Header=BB34_3 Depth=1
	s_or_b64 exec, exec, s[10:11]
	v_lshl_add_u64 v[2:3], v[92:93], 0, s[50:51]
	v_cmp_gt_i64_e32 vcc, s[24:25], v[2:3]
	s_and_b64 s[12:13], s[6:7], vcc
	s_and_saveexec_b64 s[10:11], s[12:13]
	s_cbranch_execz .LBB34_12
; %bb.11:                               ;   in Loop: Header=BB34_3 Depth=1
	v_lshl_add_u64 v[2:3], v[82:83], 0, v[56:57]
	global_load_dwordx2 v[36:37], v[2:3], off
	v_lshl_add_u64 v[2:3], v[84:85], 0, v[56:57]
	global_load_dwordx2 v[20:21], v[2:3], off
.LBB34_12:                              ;   in Loop: Header=BB34_3 Depth=1
	s_or_b64 exec, exec, s[10:11]
	v_lshl_add_u64 v[2:3], v[92:93], 0, s[52:53]
	v_cmp_gt_i64_e32 vcc, s[24:25], v[2:3]
	s_and_b64 s[12:13], s[6:7], vcc
	s_and_saveexec_b64 s[10:11], s[12:13]
	s_cbranch_execz .LBB34_14
; %bb.13:                               ;   in Loop: Header=BB34_3 Depth=1
	v_lshl_add_u64 v[2:3], v[78:79], 0, v[56:57]
	global_load_dwordx2 v[38:39], v[2:3], off
	v_lshl_add_u64 v[2:3], v[80:81], 0, v[56:57]
	global_load_dwordx2 v[22:23], v[2:3], off
.LBB34_14:                              ;   in Loop: Header=BB34_3 Depth=1
	;; [unrolled: 12-line block ×7, first 2 shown]
	s_or_b64 exec, exec, s[10:11]
	s_waitcnt vmcnt(1)
	ds_bpermute_b32 v2, v99, v94
	ds_bpermute_b32 v3, v99, v95
	s_waitcnt vmcnt(0)
	ds_bpermute_b32 v6, v99, v96
	ds_bpermute_b32 v7, v99, v97
	ds_bpermute_b32 v8, v99, v94 offset:4
	ds_bpermute_b32 v9, v99, v95 offset:4
	s_waitcnt lgkmcnt(4)
	v_add_f64 v[2:3], v[18:19], -v[2:3]
	v_mul_f64 v[2:3], v[34:35], v[2:3]
	s_waitcnt lgkmcnt(2)
	v_fma_f64 v[52:53], v[2:3], v[6:7], v[90:91]
	ds_bpermute_b32 v6, v99, v96 offset:4
	ds_bpermute_b32 v7, v99, v97 offset:4
	;; [unrolled: 1-line block ×4, first 2 shown]
	s_waitcnt lgkmcnt(4)
	v_add_f64 v[8:9], v[20:21], -v[8:9]
	v_mul_f64 v[8:9], v[36:37], v[8:9]
	s_waitcnt lgkmcnt(2)
	v_fmac_f64_e32 v[52:53], v[8:9], v[6:7]
	ds_bpermute_b32 v6, v99, v96 offset:8
	ds_bpermute_b32 v7, v99, v97 offset:8
	s_waitcnt lgkmcnt(2)
	v_add_f64 v[8:9], v[22:23], -v[10:11]
	ds_bpermute_b32 v10, v99, v94 offset:12
	ds_bpermute_b32 v11, v99, v95 offset:12
	v_mul_f64 v[8:9], v[38:39], v[8:9]
	s_waitcnt lgkmcnt(2)
	v_fmac_f64_e32 v[52:53], v[8:9], v[6:7]
	ds_bpermute_b32 v6, v99, v96 offset:12
	ds_bpermute_b32 v7, v99, v97 offset:12
	s_waitcnt lgkmcnt(2)
	v_add_f64 v[8:9], v[24:25], -v[10:11]
	ds_bpermute_b32 v10, v99, v94 offset:16
	ds_bpermute_b32 v11, v99, v95 offset:16
	;; [unrolled: 9-line block ×3, first 2 shown]
	v_mul_f64 v[8:9], v[42:43], v[8:9]
	v_add_f64 v[2:3], v[50:51], v[34:35]
	s_waitcnt lgkmcnt(2)
	v_fmac_f64_e32 v[52:53], v[8:9], v[6:7]
	ds_bpermute_b32 v6, v99, v96 offset:20
	ds_bpermute_b32 v7, v99, v97 offset:20
	v_add_f64 v[2:3], v[36:37], v[2:3]
	v_add_f64 v[2:3], v[38:39], v[2:3]
	s_waitcnt lgkmcnt(2)
	v_add_f64 v[8:9], v[28:29], -v[10:11]
	ds_bpermute_b32 v10, v99, v94 offset:24
	ds_bpermute_b32 v11, v99, v95 offset:24
	v_add_f64 v[2:3], v[40:41], v[2:3]
	v_add_f64 v[2:3], v[42:43], v[2:3]
	v_mul_f64 v[8:9], v[44:45], v[8:9]
	ds_bpermute_b32 v12, v99, v96 offset:24
	ds_bpermute_b32 v13, v99, v97 offset:24
	s_waitcnt lgkmcnt(4)
	v_fmac_f64_e32 v[52:53], v[8:9], v[6:7]
	v_add_f64 v[8:9], v[44:45], v[2:3]
	ds_bpermute_b32 v2, v99, v96 offset:28
	ds_bpermute_b32 v3, v99, v97 offset:28
	ds_bpermute_b32 v6, v99, v94 offset:28
	ds_bpermute_b32 v7, v99, v95 offset:28
	s_waitcnt lgkmcnt(6)
	v_add_f64 v[10:11], v[30:31], -v[10:11]
	v_mul_f64 v[10:11], v[46:47], v[10:11]
	s_waitcnt lgkmcnt(4)
	v_fmac_f64_e32 v[52:53], v[10:11], v[12:13]
	v_add_f64 v[8:9], v[46:47], v[8:9]
	s_branch .LBB34_40
.LBB34_25:                              ;   in Loop: Header=BB34_3 Depth=1
                                        ; implicit-def: $vgpr2_vgpr3
                                        ; implicit-def: $vgpr18_vgpr19_vgpr20_vgpr21_vgpr22_vgpr23_vgpr24_vgpr25_vgpr26_vgpr27_vgpr28_vgpr29_vgpr30_vgpr31_vgpr32_vgpr33
                                        ; implicit-def: $vgpr34_vgpr35_vgpr36_vgpr37_vgpr38_vgpr39_vgpr40_vgpr41_vgpr42_vgpr43_vgpr44_vgpr45_vgpr46_vgpr47_vgpr48_vgpr49
                                        ; implicit-def: $vgpr6
                                        ; implicit-def: $vgpr8_vgpr9
                                        ; implicit-def: $vgpr52_vgpr53
	s_cbranch_execz .LBB34_40
; %bb.26:                               ;   in Loop: Header=BB34_3 Depth=1
	s_load_dword s9, s[42:43], 0x0
	v_mov_b64_e32 v[94:95], 0
	v_mov_b64_e32 v[52:53], v[94:95]
	s_waitcnt lgkmcnt(0)
	s_cmp_lt_u32 s2, s9
	s_cselect_b32 s9, 12, 18
	s_add_u32 s10, s42, s9
	s_addc_u32 s11, s43, 0
	global_load_ushort v2, v5, s[10:11]
	s_waitcnt vmcnt(0)
	v_mad_u32_u24 v2, v98, v2, v1
	v_and_b32_e32 v4, 63, v2
	v_cmp_gt_u32_e32 vcc, 8, v4
	s_and_saveexec_b64 s[10:11], vcc
	s_cbranch_execz .LBB34_30
; %bb.27:                               ;   in Loop: Header=BB34_3 Depth=1
	v_lshl_add_u64 v[2:3], v[92:93], 0, v[4:5]
	v_lshl_add_u64 v[2:3], v[2:3], 0, s[48:49]
	v_mov_b64_e32 v[52:53], 0
	v_cmp_gt_i64_e32 vcc, s[24:25], v[2:3]
	v_mov_b64_e32 v[94:95], v[52:53]
	s_and_saveexec_b64 s[12:13], vcc
	s_cbranch_execz .LBB34_29
; %bb.28:                               ;   in Loop: Header=BB34_3 Depth=1
	v_lshlrev_b64 v[2:3], 3, v[2:3]
	v_lshl_add_u64 v[6:7], s[38:39], 0, v[2:3]
	v_lshl_add_u64 v[2:3], s[36:37], 0, v[2:3]
	global_load_dwordx2 v[52:53], v[2:3], off
	global_load_dwordx2 v[94:95], v[6:7], off
.LBB34_29:                              ;   in Loop: Header=BB34_3 Depth=1
	s_or_b64 exec, exec, s[12:13]
.LBB34_30:                              ;   in Loop: Header=BB34_3 Depth=1
	s_or_b64 exec, exec, s[10:11]
	s_mov_b32 s22, s8
	s_mov_b32 s23, s8
	;; [unrolled: 1-line block ×15, first 2 shown]
	v_mov_b64_e32 v[32:33], s[22:23]
	v_mov_b64_e32 v[30:31], s[20:21]
	;; [unrolled: 1-line block ×16, first 2 shown]
	s_and_saveexec_b64 s[10:11], s[6:7]
	s_cbranch_execnz .LBB34_42
; %bb.31:                               ;   in Loop: Header=BB34_3 Depth=1
	s_or_b64 exec, exec, s[10:11]
	s_and_saveexec_b64 s[10:11], s[6:7]
	s_cbranch_execnz .LBB34_43
.LBB34_32:                              ;   in Loop: Header=BB34_3 Depth=1
	s_or_b64 exec, exec, s[10:11]
	s_and_saveexec_b64 s[10:11], s[6:7]
	s_cbranch_execnz .LBB34_44
.LBB34_33:                              ;   in Loop: Header=BB34_3 Depth=1
	s_or_b64 exec, exec, s[10:11]
	s_and_saveexec_b64 s[10:11], s[6:7]
	s_cbranch_execnz .LBB34_45
.LBB34_34:                              ;   in Loop: Header=BB34_3 Depth=1
	s_or_b64 exec, exec, s[10:11]
	s_and_saveexec_b64 s[10:11], s[6:7]
	s_cbranch_execnz .LBB34_46
.LBB34_35:                              ;   in Loop: Header=BB34_3 Depth=1
	s_or_b64 exec, exec, s[10:11]
	s_and_saveexec_b64 s[10:11], s[6:7]
	s_cbranch_execnz .LBB34_47
.LBB34_36:                              ;   in Loop: Header=BB34_3 Depth=1
	s_or_b64 exec, exec, s[10:11]
	s_and_saveexec_b64 s[10:11], s[6:7]
	s_cbranch_execnz .LBB34_48
.LBB34_37:                              ;   in Loop: Header=BB34_3 Depth=1
	s_or_b64 exec, exec, s[10:11]
	s_and_saveexec_b64 s[10:11], s[6:7]
	s_cbranch_execz .LBB34_39
.LBB34_38:                              ;   in Loop: Header=BB34_3 Depth=1
	v_lshl_add_u64 v[2:3], v[58:59], 0, v[56:57]
	global_load_dwordx2 v[48:49], v[2:3], off
	v_lshl_add_u64 v[2:3], v[60:61], 0, v[56:57]
	global_load_dwordx2 v[32:33], v[2:3], off
.LBB34_39:                              ;   in Loop: Header=BB34_3 Depth=1
	s_or_b64 exec, exec, s[10:11]
	s_waitcnt vmcnt(1)
	ds_bpermute_b32 v2, v99, v52
	ds_bpermute_b32 v3, v99, v53
	s_waitcnt vmcnt(0)
	ds_bpermute_b32 v6, v99, v94
	ds_bpermute_b32 v7, v99, v95
	ds_bpermute_b32 v8, v99, v52 offset:4
	ds_bpermute_b32 v9, v99, v53 offset:4
	s_waitcnt lgkmcnt(4)
	v_add_f64 v[2:3], v[18:19], -v[2:3]
	v_mul_f64 v[2:3], v[34:35], v[2:3]
	s_waitcnt lgkmcnt(2)
	v_fmac_f64_e32 v[90:91], v[2:3], v[6:7]
	ds_bpermute_b32 v6, v99, v94 offset:4
	ds_bpermute_b32 v7, v99, v95 offset:4
	;; [unrolled: 1-line block ×4, first 2 shown]
	s_waitcnt lgkmcnt(4)
	v_add_f64 v[8:9], v[20:21], -v[8:9]
	v_mul_f64 v[8:9], v[36:37], v[8:9]
	s_waitcnt lgkmcnt(2)
	v_fmac_f64_e32 v[90:91], v[8:9], v[6:7]
	ds_bpermute_b32 v6, v99, v94 offset:8
	ds_bpermute_b32 v7, v99, v95 offset:8
	s_waitcnt lgkmcnt(2)
	v_add_f64 v[8:9], v[22:23], -v[10:11]
	ds_bpermute_b32 v10, v99, v52 offset:12
	ds_bpermute_b32 v11, v99, v53 offset:12
	v_mul_f64 v[8:9], v[38:39], v[8:9]
	s_waitcnt lgkmcnt(2)
	v_fmac_f64_e32 v[90:91], v[8:9], v[6:7]
	ds_bpermute_b32 v6, v99, v94 offset:12
	ds_bpermute_b32 v7, v99, v95 offset:12
	s_waitcnt lgkmcnt(2)
	v_add_f64 v[8:9], v[24:25], -v[10:11]
	ds_bpermute_b32 v10, v99, v52 offset:16
	ds_bpermute_b32 v11, v99, v53 offset:16
	;; [unrolled: 9-line block ×4, first 2 shown]
	v_add_f64 v[2:3], v[50:51], v[34:35]
	ds_bpermute_b32 v12, v99, v94 offset:24
	ds_bpermute_b32 v13, v99, v95 offset:24
	v_add_f64 v[2:3], v[36:37], v[2:3]
	v_add_f64 v[2:3], v[38:39], v[2:3]
	;; [unrolled: 1-line block ×3, first 2 shown]
	v_mul_f64 v[8:9], v[44:45], v[8:9]
	s_waitcnt lgkmcnt(2)
	v_add_f64 v[10:11], v[30:31], -v[10:11]
	v_add_f64 v[2:3], v[42:43], v[2:3]
	v_fmac_f64_e32 v[90:91], v[8:9], v[6:7]
	v_mul_f64 v[10:11], v[46:47], v[10:11]
	v_add_f64 v[8:9], v[44:45], v[2:3]
	s_waitcnt lgkmcnt(0)
	v_fmac_f64_e32 v[90:91], v[10:11], v[12:13]
	ds_bpermute_b32 v2, v99, v94 offset:28
	ds_bpermute_b32 v3, v99, v95 offset:28
	;; [unrolled: 1-line block ×4, first 2 shown]
	v_add_f64 v[8:9], v[46:47], v[8:9]
	v_mov_b64_e32 v[52:53], v[90:91]
.LBB34_40:                              ;   in Loop: Header=BB34_3 Depth=1
	s_waitcnt lgkmcnt(0)
	v_add_f64 v[6:7], v[32:33], -v[6:7]
	v_mul_f64 v[6:7], v[48:49], v[6:7]
	s_add_u32 s64, s64, s3
	v_fmac_f64_e32 v[52:53], v[6:7], v[2:3]
	s_addc_u32 s65, s65, 0
	v_mov_b64_e32 v[2:3], s[24:25]
	s_add_u32 s46, s46, s3
	v_cmp_lt_i64_e32 vcc, s[64:65], v[2:3]
	v_add_f64 v[50:51], v[8:9], v[48:49]
	v_lshl_add_u64 v[58:59], v[58:59], 0, s[44:45]
	v_lshl_add_u64 v[60:61], v[60:61], 0, s[44:45]
	;; [unrolled: 1-line block ×14, first 2 shown]
	s_addc_u32 s47, s47, 0
	v_lshl_add_u64 v[86:87], v[86:87], 0, s[44:45]
	v_lshl_add_u64 v[88:89], v[88:89], 0, s[44:45]
	s_cbranch_vccz .LBB34_50
; %bb.41:                               ;   in Loop: Header=BB34_3 Depth=1
	v_mov_b64_e32 v[90:91], v[52:53]
	s_branch .LBB34_3
.LBB34_42:                              ;   in Loop: Header=BB34_3 Depth=1
	v_lshl_add_u64 v[2:3], v[86:87], 0, v[56:57]
	global_load_dwordx2 v[2:3], v[2:3], off
	v_lshl_add_u64 v[6:7], v[88:89], 0, v[56:57]
	global_load_dwordx2 v[18:19], v[6:7], off
	v_mov_b32_e32 v16, v5
	v_mov_b32_e32 v17, v5
	;; [unrolled: 1-line block ×13, first 2 shown]
	s_waitcnt vmcnt(1)
	v_mov_b64_e32 v[48:49], v[16:17]
	v_mov_b32_e32 v20, v5
	v_mov_b32_e32 v21, v5
	;; [unrolled: 1-line block ×14, first 2 shown]
	v_mov_b64_e32 v[46:47], v[14:15]
	v_mov_b64_e32 v[44:45], v[12:13]
	;; [unrolled: 1-line block ×7, first 2 shown]
	s_or_b64 exec, exec, s[10:11]
	s_and_saveexec_b64 s[10:11], s[6:7]
	s_cbranch_execz .LBB34_32
.LBB34_43:                              ;   in Loop: Header=BB34_3 Depth=1
	v_lshl_add_u64 v[2:3], v[82:83], 0, v[56:57]
	global_load_dwordx2 v[36:37], v[2:3], off
	v_lshl_add_u64 v[2:3], v[84:85], 0, v[56:57]
	global_load_dwordx2 v[20:21], v[2:3], off
	s_or_b64 exec, exec, s[10:11]
	s_and_saveexec_b64 s[10:11], s[6:7]
	s_cbranch_execz .LBB34_33
.LBB34_44:                              ;   in Loop: Header=BB34_3 Depth=1
	v_lshl_add_u64 v[2:3], v[78:79], 0, v[56:57]
	global_load_dwordx2 v[38:39], v[2:3], off
	v_lshl_add_u64 v[2:3], v[80:81], 0, v[56:57]
	global_load_dwordx2 v[22:23], v[2:3], off
	s_or_b64 exec, exec, s[10:11]
	s_and_saveexec_b64 s[10:11], s[6:7]
	s_cbranch_execz .LBB34_34
.LBB34_45:                              ;   in Loop: Header=BB34_3 Depth=1
	v_lshl_add_u64 v[2:3], v[74:75], 0, v[56:57]
	global_load_dwordx2 v[40:41], v[2:3], off
	v_lshl_add_u64 v[2:3], v[76:77], 0, v[56:57]
	global_load_dwordx2 v[24:25], v[2:3], off
	s_or_b64 exec, exec, s[10:11]
	s_and_saveexec_b64 s[10:11], s[6:7]
	s_cbranch_execz .LBB34_35
.LBB34_46:                              ;   in Loop: Header=BB34_3 Depth=1
	v_lshl_add_u64 v[2:3], v[70:71], 0, v[56:57]
	global_load_dwordx2 v[42:43], v[2:3], off
	v_lshl_add_u64 v[2:3], v[72:73], 0, v[56:57]
	global_load_dwordx2 v[26:27], v[2:3], off
	s_or_b64 exec, exec, s[10:11]
	s_and_saveexec_b64 s[10:11], s[6:7]
	s_cbranch_execz .LBB34_36
.LBB34_47:                              ;   in Loop: Header=BB34_3 Depth=1
	v_lshl_add_u64 v[2:3], v[66:67], 0, v[56:57]
	global_load_dwordx2 v[44:45], v[2:3], off
	v_lshl_add_u64 v[2:3], v[68:69], 0, v[56:57]
	global_load_dwordx2 v[28:29], v[2:3], off
	s_or_b64 exec, exec, s[10:11]
	s_and_saveexec_b64 s[10:11], s[6:7]
	s_cbranch_execz .LBB34_37
.LBB34_48:                              ;   in Loop: Header=BB34_3 Depth=1
	v_lshl_add_u64 v[2:3], v[62:63], 0, v[56:57]
	global_load_dwordx2 v[46:47], v[2:3], off
	v_lshl_add_u64 v[2:3], v[64:65], 0, v[56:57]
	global_load_dwordx2 v[30:31], v[2:3], off
	s_or_b64 exec, exec, s[10:11]
	s_and_saveexec_b64 s[10:11], s[6:7]
	s_cbranch_execnz .LBB34_38
	s_branch .LBB34_39
.LBB34_49:
	s_mov_b64 s[40:41], -1
                                        ; implicit-def: $vgpr50_vgpr51
                                        ; implicit-def: $vgpr52_vgpr53
.LBB34_50:
	s_andn2_b64 vcc, exec, s[40:41]
	s_cbranch_vccnz .LBB34_82
; %bb.51:
	v_mov_b64_e32 v[50:51], 0
	s_and_b64 vcc, exec, s[4:5]
	v_mov_b64_e32 v[52:53], v[50:51]
	s_cbranch_vccnz .LBB34_82
; %bb.52:
	v_and_b32_e32 v1, 0x3ff, v0
	v_add_u32_e32 v4, s33, v1
	v_mov_b32_e32 v5, 0
	v_bfe_u32 v112, v0, 10, 10
	v_lshlrev_b64 v[40:41], 3, v[4:5]
	v_lshlrev_b32_e32 v4, 6, v112
	v_lshl_add_u64 v[2:3], s[34:35], 3, v[4:5]
	v_lshl_add_u64 v[6:7], v[2:3], 0, 8
	v_mov_b64_e32 v[8:9], s[28:29]
	v_mov_b64_e32 v[18:19], s[30:31]
	v_mad_u64_u32 v[42:43], s[4:5], s26, v6, v[8:9]
	v_mul_lo_u32 v4, s26, v7
	v_mul_lo_u32 v7, s27, v6
	v_mad_u64_u32 v[56:57], s[4:5], s26, v6, v[18:19]
	v_lshlrev_b32_e32 v38, 3, v112
	v_mov_b32_e32 v39, v5
	v_add3_u32 v43, v7, v43, v4
	v_lshl_add_u64 v[10:11], v[2:3], 0, 16
	v_lshl_add_u64 v[12:13], v[2:3], 0, 24
	;; [unrolled: 1-line block ×4, first 2 shown]
	v_add3_u32 v57, v7, v57, v4
	v_lshl_add_u64 v[6:7], v[2:3], 0, 48
	v_lshl_add_u64 v[2:3], v[2:3], 0, 56
	v_mad_u64_u32 v[44:45], s[4:5], s26, v10, v[8:9]
	v_mul_lo_u32 v20, s27, v10
	v_mad_u64_u32 v[46:47], s[4:5], s26, v12, v[8:9]
	v_mad_u64_u32 v[48:49], s[4:5], s26, v14, v[8:9]
	;; [unrolled: 1-line block ×6, first 2 shown]
	v_mul_lo_u32 v3, s26, v3
	v_mul_lo_u32 v10, s27, v2
	v_lshl_add_u64 v[8:9], v[38:39], 0, s[34:35]
	v_mad_u64_u32 v[72:73], s[4:5], s26, v2, v[18:19]
	v_mul_lo_u32 v4, s26, v7
	v_mul_lo_u32 v7, s27, v6
	v_add3_u32 v65, v10, v65, v3
	v_mad_u64_u32 v[70:71], s[4:5], s26, v6, v[18:19]
	v_add3_u32 v73, v10, v73, v3
	v_lshl_add_u64 v[2:3], v[8:9], 0, 7
	v_add3_u32 v61, v7, v61, v4
	v_add3_u32 v71, v7, v71, v4
	v_mul_lo_u32 v4, s27, v2
	v_mul_lo_u32 v6, s26, v3
	v_mad_u64_u32 v[2:3], s[4:5], s26, v2, 0
	v_add3_u32 v3, v3, v6, v4
	v_lshl_add_u64 v[6:7], v[8:9], 0, 6
	v_mul_lo_u32 v11, s26, v11
	v_mul_lo_u32 v4, s27, v6
	;; [unrolled: 1-line block ×3, first 2 shown]
	v_mad_u64_u32 v[6:7], s[4:5], s26, v6, 0
	v_add3_u32 v45, v20, v45, v11
	v_add3_u32 v59, v20, v59, v11
	v_add3_u32 v7, v7, v10, v4
	v_lshl_add_u64 v[10:11], v[8:9], 0, 5
	v_mul_lo_u32 v13, s26, v13
	v_mul_lo_u32 v21, s27, v12
	v_mad_u64_u32 v[62:63], s[4:5], s26, v12, v[18:19]
	v_mul_lo_u32 v4, s27, v10
	v_mul_lo_u32 v12, s26, v11
	v_mad_u64_u32 v[10:11], s[4:5], s26, v10, 0
	v_add3_u32 v47, v21, v47, v13
	v_add3_u32 v63, v21, v63, v13
	v_add3_u32 v11, v11, v12, v4
	v_lshl_add_u64 v[12:13], v[8:9], 0, 4
	v_mul_lo_u32 v15, s26, v15
	v_mul_lo_u32 v22, s27, v14
	v_mad_u64_u32 v[66:67], s[4:5], s26, v14, v[18:19]
	v_mul_lo_u32 v4, s27, v12
	v_mul_lo_u32 v14, s26, v13
	;; [unrolled: 10-line block ×3, first 2 shown]
	v_mad_u64_u32 v[14:15], s[4:5], s26, v14, 0
	v_lshlrev_b64 v[2:3], 3, v[2:3]
	v_add3_u32 v55, v23, v55, v17
	v_add3_u32 v69, v23, v69, v17
	v_add3_u32 v15, v15, v16, v4
	v_lshl_add_u64 v[16:17], v[8:9], 0, 2
	v_lshl_add_u64 v[78:79], s[28:29], 0, v[2:3]
	;; [unrolled: 1-line block ×3, first 2 shown]
	v_lshlrev_b64 v[2:3], 3, v[6:7]
	v_mul_lo_u32 v4, s27, v16
	v_mul_lo_u32 v18, s26, v17
	v_mad_u64_u32 v[16:17], s[4:5], s26, v16, 0
	s_load_dword s3, s[0:1], 0x44
	v_lshl_add_u64 v[82:83], s[28:29], 0, v[2:3]
	v_lshl_add_u64 v[84:85], s[30:31], 0, v[2:3]
	v_lshlrev_b64 v[2:3], 3, v[10:11]
	v_add3_u32 v17, v17, v18, v4
	v_mov_b64_e32 v[18:19], s[26:27]
	v_lshl_add_u64 v[86:87], s[28:29], 0, v[2:3]
	v_lshl_add_u64 v[88:89], s[30:31], 0, v[2:3]
	v_lshlrev_b64 v[2:3], 3, v[12:13]
	v_mad_u64_u32 v[18:19], s[4:5], s26, v8, v[18:19]
	v_mul_lo_u32 v4, s27, v8
	v_mul_lo_u32 v20, s26, v9
	v_lshl_add_u64 v[90:91], s[28:29], 0, v[2:3]
	v_lshl_add_u64 v[92:93], s[30:31], 0, v[2:3]
	v_lshlrev_b64 v[2:3], 3, v[14:15]
	v_add3_u32 v19, v4, v19, v20
	v_lshl_add_u64 v[94:95], s[28:29], 0, v[2:3]
	v_lshl_add_u64 v[96:97], s[30:31], 0, v[2:3]
	v_lshlrev_b64 v[2:3], 3, v[16:17]
	v_mad_u64_u32 v[8:9], s[4:5], s26, v8, 0
	s_add_u32 s20, s0, 64
	v_lshl_add_u64 v[98:99], s[28:29], 0, v[2:3]
	v_lshl_add_u64 v[100:101], s[30:31], 0, v[2:3]
	v_lshlrev_b64 v[2:3], 3, v[18:19]
	v_add3_u32 v9, v9, v20, v4
	s_addc_u32 s21, s1, 0
	s_waitcnt lgkmcnt(0)
	s_lshl_b32 s3, s3, 7
	v_lshl_add_u64 v[102:103], s[28:29], 0, v[2:3]
	v_lshl_add_u64 v[104:105], s[30:31], 0, v[2:3]
	v_mbcnt_lo_u32_b32 v2, -1, 0
	s_add_u32 s22, s34, 0x7f
	s_mul_i32 s5, s27, s3
	s_mul_hi_u32 s6, s26, s3
	v_lshlrev_b64 v[8:9], 3, v[8:9]
	v_mbcnt_hi_u32_b32 v2, -1, v2
	s_addc_u32 s23, 0, 0
	s_add_i32 s7, s6, s5
	s_mul_i32 s6, s26, s3
	v_lshl_add_u64 v[74:75], s[28:29], 0, v[8:9]
	v_lshl_add_u64 v[76:77], s[30:31], 0, v[8:9]
	s_movk_i32 s28, 0xff81
	s_movk_i32 s30, 0xff82
	s_movk_i32 s42, 0xff83
	s_movk_i32 s44, 0xff84
	s_movk_i32 s46, 0xff85
	s_movk_i32 s48, 0xff86
	s_movk_i32 s50, 0xff87
	s_movk_i32 s52, 0xff88
	v_lshlrev_b32_e32 v2, 2, v2
	v_mov_b64_e32 v[52:53], 0
	s_mov_b32 s4, 0
	s_lshl_b64 s[40:41], s[6:7], 3
	s_mov_b32 s29, -1
	s_mov_b32 s31, -1
	;; [unrolled: 1-line block ×8, first 2 shown]
	v_and_b32_e32 v113, 0x100, v2
	v_mov_b64_e32 v[50:51], v[52:53]
	s_branch .LBB34_56
.LBB34_53:                              ;   in Loop: Header=BB34_56 Depth=1
	s_or_b64 exec, exec, s[8:9]
.LBB34_54:                              ;   in Loop: Header=BB34_56 Depth=1
	s_or_b64 exec, exec, s[6:7]
	v_lshl_add_u64 v[6:7], v[76:77], 0, v[40:41]
	global_load_dwordx2 v[14:15], v[6:7], off
	v_lshl_add_u64 v[6:7], v[56:57], 0, v[40:41]
	global_load_dwordx2 v[10:11], v[6:7], off
	;; [unrolled: 2-line block ×6, first 2 shown]
	v_lshl_add_u64 v[16:17], v[42:43], 0, v[40:41]
	v_lshl_add_u64 v[22:23], v[44:45], 0, v[40:41]
	global_load_dwordx2 v[6:7], v[16:17], off
	s_nop 0
	global_load_dwordx2 v[16:17], v[22:23], off
	s_waitcnt vmcnt(9)
	ds_bpermute_b32 v108, v113, v8 offset:8
	ds_bpermute_b32 v109, v113, v9 offset:8
	;; [unrolled: 1-line block ×6, first 2 shown]
	ds_bpermute_b32 v36, v113, v8
	ds_bpermute_b32 v37, v113, v9
	ds_bpermute_b32 v106, v113, v8 offset:4
	ds_bpermute_b32 v107, v113, v9 offset:4
	v_lshl_add_u64 v[118:119], v[70:71], 0, v[40:41]
	global_load_dwordx2 v[118:119], v[118:119], off
	v_lshl_add_u64 v[26:27], v[46:47], 0, v[40:41]
	v_lshl_add_u64 v[32:33], v[68:69], 0, v[40:41]
	global_load_dwordx2 v[26:27], v[26:27], off
	v_lshl_add_u64 v[28:29], v[48:49], 0, v[40:41]
	global_load_dwordx2 v[32:33], v[32:33], off
	v_lshl_add_u64 v[30:31], v[54:55], 0, v[40:41]
	v_lshl_add_u64 v[34:35], v[60:61], 0, v[40:41]
	global_load_dwordx2 v[28:29], v[28:29], off
	s_nop 0
	global_load_dwordx2 v[30:31], v[30:31], off
	s_nop 0
	global_load_dwordx2 v[34:35], v[34:35], off
	ds_bpermute_b32 v22, v113, v8 offset:24
	ds_bpermute_b32 v23, v113, v9 offset:24
	ds_bpermute_b32 v116, v113, v8 offset:20
	ds_bpermute_b32 v117, v113, v9 offset:20
	ds_bpermute_b32 v8, v113, v8 offset:28
	ds_bpermute_b32 v9, v113, v9 offset:28
	s_waitcnt vmcnt(13) lgkmcnt(8)
	v_add_f64 v[14:15], v[14:15], -v[36:37]
	v_lshl_add_u64 v[36:37], v[64:65], 0, v[40:41]
	s_waitcnt vmcnt(12) lgkmcnt(6)
	v_add_f64 v[10:11], v[10:11], -v[106:107]
	v_lshl_add_u64 v[106:107], v[72:73], 0, v[40:41]
	s_waitcnt vmcnt(11)
	v_add_f64 v[12:13], v[12:13], -v[108:109]
	ds_bpermute_b32 v108, v113, v2
	ds_bpermute_b32 v109, v113, v3
	s_waitcnt vmcnt(10)
	v_add_f64 v[24:25], v[24:25], -v[110:111]
	ds_bpermute_b32 v110, v113, v2 offset:4
	ds_bpermute_b32 v111, v113, v3 offset:4
	s_waitcnt vmcnt(9)
	v_add_f64 v[114:115], v[20:21], -v[114:115]
	ds_bpermute_b32 v20, v113, v2 offset:8
	ds_bpermute_b32 v21, v113, v3 offset:8
	s_waitcnt vmcnt(8)
	v_mul_f64 v[14:15], v[18:19], v[14:15]
	s_waitcnt vmcnt(7)
	v_mul_f64 v[10:11], v[6:7], v[10:11]
	s_waitcnt lgkmcnt(4)
	v_fmac_f64_e32 v[52:53], v[14:15], v[108:109]
	global_load_dwordx2 v[106:107], v[106:107], off
	s_waitcnt vmcnt(7)
	v_mul_f64 v[12:13], v[16:17], v[12:13]
	s_waitcnt lgkmcnt(2)
	v_fmac_f64_e32 v[52:53], v[10:11], v[110:111]
	s_waitcnt lgkmcnt(0)
	v_fmac_f64_e32 v[52:53], v[12:13], v[20:21]
	global_load_dwordx2 v[20:21], v[36:37], off
	ds_bpermute_b32 v12, v113, v2 offset:12
	ds_bpermute_b32 v13, v113, v3 offset:12
	v_add_f64 v[50:51], v[50:51], v[18:19]
	ds_bpermute_b32 v18, v113, v2 offset:16
	ds_bpermute_b32 v19, v113, v3 offset:16
	s_waitcnt vmcnt(7)
	v_add_f64 v[14:15], v[118:119], -v[22:23]
	v_add_f64 v[6:7], v[50:51], v[6:7]
	ds_bpermute_b32 v22, v113, v2 offset:20
	ds_bpermute_b32 v23, v113, v3 offset:20
	v_add_f64 v[6:7], v[6:7], v[16:17]
	ds_bpermute_b32 v16, v113, v2 offset:24
	ds_bpermute_b32 v17, v113, v3 offset:24
	s_waitcnt vmcnt(6)
	v_mul_f64 v[24:25], v[26:27], v[24:25]
	ds_bpermute_b32 v2, v113, v2 offset:28
	ds_bpermute_b32 v3, v113, v3 offset:28
	s_waitcnt vmcnt(5)
	v_add_f64 v[10:11], v[32:33], -v[116:117]
	v_add_f64 v[6:7], v[6:7], v[26:27]
	s_waitcnt vmcnt(4)
	v_mul_f64 v[26:27], v[28:29], v[114:115]
	s_waitcnt lgkmcnt(8)
	v_fmac_f64_e32 v[52:53], v[24:25], v[12:13]
	s_waitcnt vmcnt(3)
	v_mul_f64 v[10:11], v[30:31], v[10:11]
	s_waitcnt lgkmcnt(6)
	v_fmac_f64_e32 v[52:53], v[26:27], v[18:19]
	s_waitcnt vmcnt(2)
	v_mul_f64 v[14:15], v[34:35], v[14:15]
	v_add_f64 v[6:7], v[6:7], v[28:29]
	s_waitcnt lgkmcnt(4)
	v_fmac_f64_e32 v[52:53], v[10:11], v[22:23]
	v_add_f64 v[6:7], v[6:7], v[30:31]
	s_waitcnt lgkmcnt(2)
	v_fmac_f64_e32 v[52:53], v[14:15], v[16:17]
	v_add_f64 v[6:7], v[6:7], v[34:35]
	s_waitcnt vmcnt(1)
	v_add_f64 v[8:9], v[106:107], -v[8:9]
	s_waitcnt vmcnt(0)
	v_mul_f64 v[8:9], v[20:21], v[8:9]
	s_waitcnt lgkmcnt(0)
	v_mul_f64 v[8:9], v[8:9], v[2:3]
	v_mov_b64_e32 v[2:3], v[52:53]
.LBB34_55:                              ;   in Loop: Header=BB34_56 Depth=1
	s_add_u32 s34, s34, s3
	v_add_f64 v[52:53], v[2:3], v[8:9]
	s_addc_u32 s35, s35, 0
	v_mov_b64_e32 v[2:3], s[24:25]
	s_add_u32 s22, s22, s3
	v_cmp_ge_i64_e32 vcc, s[34:35], v[2:3]
	v_add_f64 v[50:51], v[6:7], v[20:21]
	s_addc_u32 s23, s23, 0
	v_lshl_add_u64 v[42:43], v[42:43], 0, s[40:41]
	v_lshl_add_u64 v[44:45], v[44:45], 0, s[40:41]
	;; [unrolled: 1-line block ×30, first 2 shown]
	s_cbranch_vccnz .LBB34_82
.LBB34_56:                              ; =>This Inner Loop Header: Depth=1
	v_mov_b64_e32 v[2:3], s[24:25]
	v_cmp_ge_i64_e32 vcc, s[22:23], v[2:3]
	v_lshl_add_u64 v[106:107], v[38:39], 0, s[22:23]
	s_cbranch_vccz .LBB34_78
; %bb.57:                               ;   in Loop: Header=BB34_56 Depth=1
	s_load_dword s5, s[20:21], 0xc
	v_mov_b64_e32 v[108:109], 0
	v_mov_b64_e32 v[110:111], v[108:109]
	s_waitcnt lgkmcnt(0)
	s_and_b32 s5, s5, 0xffff
	v_mad_u32_u24 v2, v112, s5, v1
	v_and_b32_e32 v4, 63, v2
	v_cmp_gt_u32_e32 vcc, 8, v4
	s_and_saveexec_b64 s[6:7], vcc
	s_cbranch_execz .LBB34_61
; %bb.58:                               ;   in Loop: Header=BB34_56 Depth=1
	v_lshl_add_u64 v[2:3], v[106:107], 0, v[4:5]
	v_lshl_add_u64 v[2:3], v[2:3], 0, s[28:29]
	v_mov_b64_e32 v[110:111], 0
	v_cmp_gt_i64_e32 vcc, s[24:25], v[2:3]
	v_mov_b64_e32 v[108:109], v[110:111]
	s_and_saveexec_b64 s[8:9], vcc
	s_cbranch_execz .LBB34_60
; %bb.59:                               ;   in Loop: Header=BB34_56 Depth=1
	v_lshlrev_b64 v[2:3], 3, v[2:3]
	v_lshl_add_u64 v[6:7], s[38:39], 0, v[2:3]
	v_lshl_add_u64 v[2:3], s[36:37], 0, v[2:3]
	global_load_dwordx2 v[110:111], v[2:3], off
	global_load_dwordx2 v[108:109], v[6:7], off
.LBB34_60:                              ;   in Loop: Header=BB34_56 Depth=1
	s_or_b64 exec, exec, s[8:9]
.LBB34_61:                              ;   in Loop: Header=BB34_56 Depth=1
	s_or_b64 exec, exec, s[6:7]
	s_mov_b32 s18, s4
	s_mov_b32 s19, s4
	;; [unrolled: 1-line block ×15, first 2 shown]
	v_mov_b64_e32 v[36:37], s[18:19]
	v_mov_b64_e32 v[22:23], s[4:5]
	v_lshl_add_u64 v[2:3], v[106:107], 0, s[28:29]
	v_mov_b64_e32 v[34:35], s[16:17]
	v_mov_b64_e32 v[32:33], s[14:15]
	;; [unrolled: 1-line block ×7, first 2 shown]
	v_cmp_gt_i64_e32 vcc, s[24:25], v[2:3]
	v_mov_b64_e32 v[8:9], v[24:25]
	v_mov_b64_e32 v[10:11], v[26:27]
	;; [unrolled: 1-line block ×7, first 2 shown]
	s_and_saveexec_b64 s[6:7], vcc
	s_cbranch_execz .LBB34_63
; %bb.62:                               ;   in Loop: Header=BB34_56 Depth=1
	v_lshl_add_u64 v[2:3], v[74:75], 0, v[40:41]
	global_load_dwordx2 v[2:3], v[2:3], off
	v_lshl_add_u64 v[6:7], v[76:77], 0, v[40:41]
	global_load_dwordx2 v[22:23], v[6:7], off
	v_mov_b32_e32 v6, v5
	v_mov_b32_e32 v7, v5
	;; [unrolled: 1-line block ×13, first 2 shown]
	s_waitcnt vmcnt(1)
	v_mov_b64_e32 v[20:21], v[16:17]
	v_mov_b32_e32 v24, v5
	v_mov_b32_e32 v25, v5
	;; [unrolled: 1-line block ×14, first 2 shown]
	v_mov_b64_e32 v[18:19], v[14:15]
	v_mov_b64_e32 v[16:17], v[12:13]
	;; [unrolled: 1-line block ×7, first 2 shown]
.LBB34_63:                              ;   in Loop: Header=BB34_56 Depth=1
	s_or_b64 exec, exec, s[6:7]
	v_lshl_add_u64 v[2:3], v[106:107], 0, s[30:31]
	v_cmp_gt_i64_e32 vcc, s[24:25], v[2:3]
	s_and_saveexec_b64 s[6:7], vcc
	s_cbranch_execz .LBB34_65
; %bb.64:                               ;   in Loop: Header=BB34_56 Depth=1
	v_lshl_add_u64 v[2:3], v[102:103], 0, v[40:41]
	global_load_dwordx2 v[8:9], v[2:3], off
	v_lshl_add_u64 v[2:3], v[104:105], 0, v[40:41]
	global_load_dwordx2 v[24:25], v[2:3], off
.LBB34_65:                              ;   in Loop: Header=BB34_56 Depth=1
	s_or_b64 exec, exec, s[6:7]
	v_lshl_add_u64 v[2:3], v[106:107], 0, s[42:43]
	v_cmp_gt_i64_e32 vcc, s[24:25], v[2:3]
	s_and_saveexec_b64 s[6:7], vcc
	s_cbranch_execz .LBB34_67
; %bb.66:                               ;   in Loop: Header=BB34_56 Depth=1
	v_lshl_add_u64 v[2:3], v[98:99], 0, v[40:41]
	global_load_dwordx2 v[10:11], v[2:3], off
	v_lshl_add_u64 v[2:3], v[100:101], 0, v[40:41]
	global_load_dwordx2 v[26:27], v[2:3], off
.LBB34_67:                              ;   in Loop: Header=BB34_56 Depth=1
	;; [unrolled: 11-line block ×7, first 2 shown]
	s_or_b64 exec, exec, s[6:7]
	s_waitcnt vmcnt(1)
	ds_bpermute_b32 v2, v113, v110
	ds_bpermute_b32 v3, v113, v111
	s_waitcnt vmcnt(0)
	ds_bpermute_b32 v114, v113, v108
	ds_bpermute_b32 v115, v113, v109
	ds_bpermute_b32 v116, v113, v110 offset:4
	ds_bpermute_b32 v117, v113, v111 offset:4
	s_waitcnt lgkmcnt(4)
	v_add_f64 v[2:3], v[22:23], -v[2:3]
	v_mul_f64 v[2:3], v[6:7], v[2:3]
	s_waitcnt lgkmcnt(2)
	v_fma_f64 v[2:3], v[2:3], v[114:115], v[52:53]
	ds_bpermute_b32 v22, v113, v108 offset:4
	ds_bpermute_b32 v23, v113, v109 offset:4
	;; [unrolled: 1-line block ×4, first 2 shown]
	v_add_f64 v[6:7], v[50:51], v[6:7]
	s_waitcnt lgkmcnt(4)
	v_add_f64 v[24:25], v[24:25], -v[116:117]
	v_mul_f64 v[24:25], v[8:9], v[24:25]
	v_add_f64 v[6:7], v[8:9], v[6:7]
	ds_bpermute_b32 v8, v113, v108 offset:8
	ds_bpermute_b32 v9, v113, v109 offset:8
	s_waitcnt lgkmcnt(4)
	v_fmac_f64_e32 v[2:3], v[24:25], v[22:23]
	s_waitcnt lgkmcnt(2)
	v_add_f64 v[22:23], v[26:27], -v[114:115]
	ds_bpermute_b32 v24, v113, v110 offset:12
	ds_bpermute_b32 v25, v113, v111 offset:12
	v_mul_f64 v[22:23], v[10:11], v[22:23]
	s_waitcnt lgkmcnt(2)
	v_fmac_f64_e32 v[2:3], v[22:23], v[8:9]
	ds_bpermute_b32 v8, v113, v108 offset:12
	ds_bpermute_b32 v9, v113, v109 offset:12
	v_add_f64 v[6:7], v[10:11], v[6:7]
	s_waitcnt lgkmcnt(2)
	v_add_f64 v[10:11], v[28:29], -v[24:25]
	ds_bpermute_b32 v22, v113, v110 offset:16
	ds_bpermute_b32 v23, v113, v111 offset:16
	v_mul_f64 v[10:11], v[12:13], v[10:11]
	s_waitcnt lgkmcnt(2)
	v_fmac_f64_e32 v[2:3], v[10:11], v[8:9]
	v_add_f64 v[6:7], v[12:13], v[6:7]
	ds_bpermute_b32 v8, v113, v108 offset:16
	ds_bpermute_b32 v9, v113, v109 offset:16
	;; [unrolled: 1-line block ×4, first 2 shown]
	s_waitcnt lgkmcnt(4)
	v_add_f64 v[10:11], v[30:31], -v[22:23]
	v_mul_f64 v[10:11], v[14:15], v[10:11]
	s_waitcnt lgkmcnt(2)
	v_fmac_f64_e32 v[2:3], v[10:11], v[8:9]
	ds_bpermute_b32 v8, v113, v108 offset:20
	ds_bpermute_b32 v9, v113, v109 offset:20
	s_waitcnt lgkmcnt(2)
	v_add_f64 v[10:11], v[32:33], -v[12:13]
	ds_bpermute_b32 v12, v113, v110 offset:24
	ds_bpermute_b32 v13, v113, v111 offset:24
	v_mul_f64 v[10:11], v[16:17], v[10:11]
	s_waitcnt lgkmcnt(2)
	v_fmac_f64_e32 v[2:3], v[10:11], v[8:9]
	ds_bpermute_b32 v8, v113, v108 offset:24
	ds_bpermute_b32 v9, v113, v109 offset:24
	s_waitcnt lgkmcnt(2)
	v_add_f64 v[10:11], v[34:35], -v[12:13]
	ds_bpermute_b32 v12, v113, v110 offset:28
	ds_bpermute_b32 v13, v113, v111 offset:28
	v_add_f64 v[6:7], v[14:15], v[6:7]
	ds_bpermute_b32 v14, v113, v108 offset:28
	ds_bpermute_b32 v15, v113, v109 offset:28
	v_mul_f64 v[10:11], v[18:19], v[10:11]
	s_waitcnt lgkmcnt(4)
	v_fmac_f64_e32 v[2:3], v[10:11], v[8:9]
	s_waitcnt lgkmcnt(2)
	v_add_f64 v[8:9], v[36:37], -v[12:13]
	v_add_f64 v[6:7], v[16:17], v[6:7]
	v_mul_f64 v[8:9], v[20:21], v[8:9]
	v_add_f64 v[6:7], v[18:19], v[6:7]
	s_waitcnt lgkmcnt(0)
	v_mul_f64 v[8:9], v[8:9], v[14:15]
	s_branch .LBB34_55
.LBB34_78:                              ;   in Loop: Header=BB34_56 Depth=1
                                        ; implicit-def: $vgpr20_vgpr21
                                        ; implicit-def: $vgpr8_vgpr9
                                        ; implicit-def: $vgpr6_vgpr7
                                        ; implicit-def: $vgpr2_vgpr3
	s_cbranch_execz .LBB34_55
; %bb.79:                               ;   in Loop: Header=BB34_56 Depth=1
	s_load_dword s5, s[20:21], 0x0
	v_mov_b64_e32 v[2:3], 0
	v_mov_b64_e32 v[8:9], v[2:3]
	s_waitcnt lgkmcnt(0)
	s_cmp_lt_u32 s2, s5
	s_cselect_b32 s5, 12, 18
	s_add_u32 s6, s20, s5
	s_addc_u32 s7, s21, 0
	global_load_ushort v4, v5, s[6:7]
	s_waitcnt vmcnt(0)
	v_mad_u32_u24 v4, v112, v4, v1
	v_and_b32_e32 v4, 63, v4
	v_cmp_gt_u32_e32 vcc, 8, v4
	s_and_saveexec_b64 s[6:7], vcc
	s_cbranch_execz .LBB34_54
; %bb.80:                               ;   in Loop: Header=BB34_56 Depth=1
	v_lshl_add_u64 v[2:3], v[106:107], 0, v[4:5]
	v_lshl_add_u64 v[6:7], v[2:3], 0, s[28:29]
	v_mov_b64_e32 v[8:9], 0
	v_cmp_gt_i64_e32 vcc, s[24:25], v[6:7]
	v_mov_b64_e32 v[2:3], v[8:9]
	s_and_saveexec_b64 s[8:9], vcc
	s_cbranch_execz .LBB34_53
; %bb.81:                               ;   in Loop: Header=BB34_56 Depth=1
	v_lshlrev_b64 v[2:3], 3, v[6:7]
	v_lshl_add_u64 v[6:7], s[38:39], 0, v[2:3]
	v_lshl_add_u64 v[2:3], s[36:37], 0, v[2:3]
	global_load_dwordx2 v[8:9], v[2:3], off
	s_nop 0
	global_load_dwordx2 v[2:3], v[6:7], off
	s_branch .LBB34_53
.LBB34_82:
	v_bfe_u32 v6, v0, 10, 10
	v_and_b32_e32 v0, 0x3ff, v0
	s_movk_i32 s3, 0x41
	v_mad_u32_u24 v1, v6, s3, v0
	v_lshl_add_u32 v1, v1, 3, 0
	v_lshrrev_b32_e32 v8, 6, v0
	ds_write_b64 v1, v[52:53]
	ds_write_b64 v1, v[50:51] offset:8320
	v_add_u32_e32 v1, v8, v6
	s_mov_b32 s3, 0
	v_cmp_gt_u32_e32 vcc, 64, v1
	s_waitcnt lgkmcnt(0)
	s_barrier
	s_and_saveexec_b64 s[4:5], vcc
	s_cbranch_execz .LBB34_92
; %bb.83:
	v_and_b32_e32 v1, 63, v0
	s_load_dwordx4 s[12:15], s[0:1], 0x30
	v_cmp_gt_u32_e64 s[0:1], 16, v1
	v_mul_u32_u24_e32 v14, 0x41, v1
	v_mbcnt_lo_u32_b32 v1, -1, 0
	v_mbcnt_hi_u32_b32 v1, -1, v1
	v_and_b32_e32 v2, 64, v1
	v_add_u32_e32 v2, 64, v2
	s_lshl_b64 s[4:5], s[2:3], 6
	v_cmp_eq_u32_e64 s[2:3], 0, v0
	v_xor_b32_e32 v0, 8, v1
	v_cmp_lt_i32_e32 vcc, v0, v2
	v_mov_b32_e32 v9, 0
	v_mov_b32_e32 v7, v9
	v_cndmask_b32_e32 v0, v1, v0, vcc
	v_lshlrev_b32_e32 v10, 2, v0
	v_xor_b32_e32 v0, 4, v1
	v_cmp_lt_i32_e32 vcc, v0, v2
	s_waitcnt lgkmcnt(0)
	s_cmp_lg_u64 s[12:13], 0
	s_cselect_b64 s[8:9], -1, 0
	v_cndmask_b32_e32 v0, v1, v0, vcc
	v_lshlrev_b32_e32 v11, 2, v0
	v_xor_b32_e32 v0, 2, v1
	v_cmp_lt_i32_e32 vcc, v0, v2
	s_cmp_lg_u64 s[14:15], 0
	s_mov_b64 s[6:7], 0
	v_cndmask_b32_e32 v0, v1, v0, vcc
	v_lshlrev_b32_e32 v12, 2, v0
	v_xor_b32_e32 v0, 1, v1
	v_cmp_lt_i32_e32 vcc, v0, v2
	s_cselect_b64 s[10:11], -1, 0
	s_nop 0
	v_cndmask_b32_e32 v0, v1, v0, vcc
	v_lshlrev_b32_e32 v13, 2, v0
	v_lshl_add_u64 v[0:1], v[8:9], 0, v[6:7]
	v_lshl_add_u64 v[2:3], v[0:1], 0, s[4:5]
	v_lshlrev_b64 v[4:5], 3, v[2:3]
	v_add3_u32 v6, v14, v6, v8
	v_lshl_add_u64 v[2:3], s[14:15], 0, v[4:5]
	v_lshl_add_u64 v[4:5], s[12:13], 0, v[4:5]
	v_lshl_add_u32 v14, v6, 3, 0
	s_mov_b64 s[12:13], 0x80
                                        ; implicit-def: $vgpr6_vgpr7
                                        ; implicit-def: $vgpr8_vgpr9
	s_branch .LBB34_85
.LBB34_84:                              ;   in Loop: Header=BB34_85 Depth=1
	s_or_b64 exec, exec, s[14:15]
	v_lshl_add_u64 v[0:1], v[0:1], 0, 16
	v_add_u32_e32 v15, -16, v0
	v_cmp_lt_u32_e32 vcc, 47, v15
	v_lshl_add_u64 v[2:3], v[2:3], 0, s[12:13]
	v_lshl_add_u64 v[4:5], v[4:5], 0, s[12:13]
	s_or_b64 s[6:7], vcc, s[6:7]
	v_add_u32_e32 v14, 0x80, v14
	s_andn2_b64 exec, exec, s[6:7]
	s_cbranch_execz .LBB34_92
.LBB34_85:                              ; =>This Inner Loop Header: Depth=1
	s_and_saveexec_b64 s[14:15], s[0:1]
	s_cbranch_execz .LBB34_87
; %bb.86:                               ;   in Loop: Header=BB34_85 Depth=1
	ds_read_b64 v[6:7], v14
	ds_read_b64 v[8:9], v14 offset:8320
.LBB34_87:                              ;   in Loop: Header=BB34_85 Depth=1
	s_or_b64 exec, exec, s[14:15]
	s_waitcnt lgkmcnt(1)
	ds_bpermute_b32 v16, v10, v6
	ds_bpermute_b32 v17, v10, v7
	s_waitcnt lgkmcnt(2)
	ds_bpermute_b32 v18, v10, v8
	ds_bpermute_b32 v19, v10, v9
	s_waitcnt lgkmcnt(2)
	v_add_f64 v[6:7], v[6:7], v[16:17]
	ds_bpermute_b32 v16, v11, v6
	ds_bpermute_b32 v17, v11, v7
	s_waitcnt lgkmcnt(2)
	v_add_f64 v[8:9], v[8:9], v[18:19]
	;; [unrolled: 4-line block ×7, first 2 shown]
	v_lshl_add_u64 v[16:17], s[4:5], 0, v[0:1]
	v_cmp_gt_i64_e32 vcc, s[26:27], v[16:17]
	s_waitcnt lgkmcnt(0)
	v_add_f64 v[8:9], v[8:9], v[18:19]
	s_and_b64 s[16:17], s[2:3], vcc
	s_and_saveexec_b64 s[14:15], s[16:17]
	s_cbranch_execz .LBB34_84
; %bb.88:                               ;   in Loop: Header=BB34_85 Depth=1
	s_andn2_b64 vcc, exec, s[8:9]
	s_cbranch_vccnz .LBB34_90
; %bb.89:                               ;   in Loop: Header=BB34_85 Depth=1
	global_store_dwordx2 v[4:5], v[6:7], off
.LBB34_90:                              ;   in Loop: Header=BB34_85 Depth=1
	s_andn2_b64 vcc, exec, s[10:11]
	s_cbranch_vccnz .LBB34_84
; %bb.91:                               ;   in Loop: Header=BB34_85 Depth=1
	global_store_dwordx2 v[2:3], v[8:9], off
	s_branch .LBB34_84
.LBB34_92:
	s_endpgm
	.section	.rodata,"a",@progbits
	.p2align	6, 0x0
	.amdhsa_kernel _ZN2at6native12_GLOBAL__N_135GammaBetaBackwardCUDAKernelTemplateIddLj64ELj16ELj128ELb0ELb0ELb0EEEvllPKT_S5_PKT0_S8_PS3_S9_
		.amdhsa_group_segment_fixed_size 0
		.amdhsa_private_segment_fixed_size 0
		.amdhsa_kernarg_size 320
		.amdhsa_user_sgpr_count 2
		.amdhsa_user_sgpr_dispatch_ptr 0
		.amdhsa_user_sgpr_queue_ptr 0
		.amdhsa_user_sgpr_kernarg_segment_ptr 1
		.amdhsa_user_sgpr_dispatch_id 0
		.amdhsa_user_sgpr_kernarg_preload_length 0
		.amdhsa_user_sgpr_kernarg_preload_offset 0
		.amdhsa_user_sgpr_private_segment_size 0
		.amdhsa_uses_dynamic_stack 0
		.amdhsa_enable_private_segment 0
		.amdhsa_system_sgpr_workgroup_id_x 1
		.amdhsa_system_sgpr_workgroup_id_y 1
		.amdhsa_system_sgpr_workgroup_id_z 0
		.amdhsa_system_sgpr_workgroup_info 0
		.amdhsa_system_vgpr_workitem_id 1
		.amdhsa_next_free_vgpr 120
		.amdhsa_next_free_sgpr 68
		.amdhsa_accum_offset 120
		.amdhsa_reserve_vcc 1
		.amdhsa_float_round_mode_32 0
		.amdhsa_float_round_mode_16_64 0
		.amdhsa_float_denorm_mode_32 3
		.amdhsa_float_denorm_mode_16_64 3
		.amdhsa_dx10_clamp 1
		.amdhsa_ieee_mode 1
		.amdhsa_fp16_overflow 0
		.amdhsa_tg_split 0
		.amdhsa_exception_fp_ieee_invalid_op 0
		.amdhsa_exception_fp_denorm_src 0
		.amdhsa_exception_fp_ieee_div_zero 0
		.amdhsa_exception_fp_ieee_overflow 0
		.amdhsa_exception_fp_ieee_underflow 0
		.amdhsa_exception_fp_ieee_inexact 0
		.amdhsa_exception_int_div_zero 0
	.end_amdhsa_kernel
	.section	.text._ZN2at6native12_GLOBAL__N_135GammaBetaBackwardCUDAKernelTemplateIddLj64ELj16ELj128ELb0ELb0ELb0EEEvllPKT_S5_PKT0_S8_PS3_S9_,"axG",@progbits,_ZN2at6native12_GLOBAL__N_135GammaBetaBackwardCUDAKernelTemplateIddLj64ELj16ELj128ELb0ELb0ELb0EEEvllPKT_S5_PKT0_S8_PS3_S9_,comdat
.Lfunc_end34:
	.size	_ZN2at6native12_GLOBAL__N_135GammaBetaBackwardCUDAKernelTemplateIddLj64ELj16ELj128ELb0ELb0ELb0EEEvllPKT_S5_PKT0_S8_PS3_S9_, .Lfunc_end34-_ZN2at6native12_GLOBAL__N_135GammaBetaBackwardCUDAKernelTemplateIddLj64ELj16ELj128ELb0ELb0ELb0EEEvllPKT_S5_PKT0_S8_PS3_S9_
                                        ; -- End function
	.section	.AMDGPU.csdata,"",@progbits
; Kernel info:
; codeLenInByte = 8372
; NumSgprs: 74
; NumVgprs: 120
; NumAgprs: 0
; TotalNumVgprs: 120
; ScratchSize: 0
; MemoryBound: 1
; FloatMode: 240
; IeeeMode: 1
; LDSByteSize: 0 bytes/workgroup (compile time only)
; SGPRBlocks: 9
; VGPRBlocks: 14
; NumSGPRsForWavesPerEU: 74
; NumVGPRsForWavesPerEU: 120
; AccumOffset: 120
; Occupancy: 4
; WaveLimiterHint : 0
; COMPUTE_PGM_RSRC2:SCRATCH_EN: 0
; COMPUTE_PGM_RSRC2:USER_SGPR: 2
; COMPUTE_PGM_RSRC2:TRAP_HANDLER: 0
; COMPUTE_PGM_RSRC2:TGID_X_EN: 1
; COMPUTE_PGM_RSRC2:TGID_Y_EN: 1
; COMPUTE_PGM_RSRC2:TGID_Z_EN: 0
; COMPUTE_PGM_RSRC2:TIDIG_COMP_CNT: 1
; COMPUTE_PGM_RSRC3_GFX90A:ACCUM_OFFSET: 29
; COMPUTE_PGM_RSRC3_GFX90A:TG_SPLIT: 0
	.section	.text._ZN2at6native12_GLOBAL__N_135GammaBetaBackwardCUDAKernelTemplateIddLj64ELj16ELj256ELb0ELb1ELb0EEEvllPKT_S5_PKT0_S8_PS3_S9_,"axG",@progbits,_ZN2at6native12_GLOBAL__N_135GammaBetaBackwardCUDAKernelTemplateIddLj64ELj16ELj256ELb0ELb1ELb0EEEvllPKT_S5_PKT0_S8_PS3_S9_,comdat
	.globl	_ZN2at6native12_GLOBAL__N_135GammaBetaBackwardCUDAKernelTemplateIddLj64ELj16ELj256ELb0ELb1ELb0EEEvllPKT_S5_PKT0_S8_PS3_S9_ ; -- Begin function _ZN2at6native12_GLOBAL__N_135GammaBetaBackwardCUDAKernelTemplateIddLj64ELj16ELj256ELb0ELb1ELb0EEEvllPKT_S5_PKT0_S8_PS3_S9_
	.p2align	8
	.type	_ZN2at6native12_GLOBAL__N_135GammaBetaBackwardCUDAKernelTemplateIddLj64ELj16ELj256ELb0ELb1ELb0EEEvllPKT_S5_PKT0_S8_PS3_S9_,@function
_ZN2at6native12_GLOBAL__N_135GammaBetaBackwardCUDAKernelTemplateIddLj64ELj16ELj256ELb0ELb1ELb0EEEvllPKT_S5_PKT0_S8_PS3_S9_: ; @_ZN2at6native12_GLOBAL__N_135GammaBetaBackwardCUDAKernelTemplateIddLj64ELj16ELj256ELb0ELb1ELb0EEEvllPKT_S5_PKT0_S8_PS3_S9_
; %bb.0:
	s_load_dwordx4 s[16:19], s[0:1], 0x0
	s_lshl_b32 s6, s3, 8
	s_mov_b32 s7, 0
	v_bfe_u32 v46, v0, 10, 10
	s_waitcnt lgkmcnt(0)
	v_mov_b64_e32 v[2:3], s[16:17]
	v_cmp_lt_i64_e32 vcc, s[6:7], v[2:3]
	s_cbranch_vccnz .LBB35_2
; %bb.1:
	s_mov_b64 s[4:5], 0
	s_mov_b64 s[8:9], 0
	v_bfe_u32 v6, v0, 10, 10
	s_branch .LBB35_3
.LBB35_2:
	s_mov_b64 s[4:5], -1
                                        ; implicit-def: $sgpr8_sgpr9
                                        ; implicit-def: $vgpr6
.LBB35_3:
	v_and_b32_e32 v44, 0x3ff, v0
	s_andn2_b64 vcc, exec, s[4:5]
	v_mov_b64_e32 v[16:17], s[8:9]
	v_mbcnt_lo_u32_b32 v45, -1, 0
	v_mov_b64_e32 v[4:5], s[8:9]
	s_cbranch_vccnz .LBB35_11
; %bb.4:
	s_load_dword s3, s[0:1], 0x4c
	s_load_dword s20, s[0:1], 0x44
	s_load_dwordx8 s[8:15], s[0:1], 0x10
	v_mbcnt_hi_u32_b32 v6, -1, v45
	v_lshlrev_b32_e32 v0, 4, v46
	s_waitcnt lgkmcnt(0)
	s_and_b32 s3, s3, 0xffff
	v_mad_u32_u24 v1, v46, s3, v44
	v_and_b32_e32 v2, 63, v1
	v_mov_b32_e32 v1, 0
	v_lshlrev_b32_e32 v6, 2, v6
	v_mov_b32_e32 v3, v1
	v_and_b32_e32 v47, 0x100, v6
	v_lshl_add_u64 v[6:7], v[0:1], 0, s[6:7]
	v_mov_b32_e32 v5, v1
	s_lshl_b32 s20, s20, 8
	v_lshl_add_u64 v[0:1], v[6:7], 0, v[2:3]
	v_mul_lo_u32 v8, s19, v6
	v_mul_lo_u32 v9, s18, v7
	v_mad_u64_u32 v[6:7], s[24:25], s18, v6, 0
	v_lshl_add_u32 v4, s2, 6, v44
	s_mul_i32 s3, s19, s20
	s_mul_hi_u32 s24, s18, s20
	s_mov_b32 s21, 0
	v_add3_u32 v7, v7, v9, v8
	v_lshlrev_b64 v[4:5], 3, v[4:5]
	s_add_i32 s25, s24, s3
	s_mul_i32 s24, s18, s20
	v_mov_b64_e32 v[8:9], 0
	v_cmp_gt_u32_e64 s[4:5], 16, v2
	v_or_b32_e32 v48, 4, v47
	v_or_b32_e32 v49, 8, v47
	;; [unrolled: 1-line block ×15, first 2 shown]
	v_lshlrev_b64 v[2:3], 3, v[0:1]
	s_lshl_b64 s[22:23], s[20:21], 3
	v_lshl_add_u64 v[6:7], v[6:7], 3, v[4:5]
	s_lshl_b64 s[24:25], s[24:25], 3
	s_lshl_b64 s[18:19], s[18:19], 3
	v_mov_b64_e32 v[10:11], s[16:17]
	v_mov_b64_e32 v[4:5], v[8:9]
	;; [unrolled: 1-line block ×3, first 2 shown]
	s_branch .LBB35_7
.LBB35_5:                               ;   in Loop: Header=BB35_7 Depth=1
	s_or_b64 exec, exec, s[28:29]
.LBB35_6:                               ;   in Loop: Header=BB35_7 Depth=1
	s_or_b64 exec, exec, s[26:27]
	v_lshl_add_u64 v[20:21], s[10:11], 0, v[6:7]
	global_load_dwordx2 v[28:29], v[20:21], off
	v_lshl_add_u64 v[22:23], s[8:9], 0, v[6:7]
	global_load_dwordx2 v[18:19], v[22:23], off
	v_lshl_add_u64 v[20:21], v[20:21], 0, s[18:19]
	global_load_dwordx2 v[34:35], v[20:21], off
	v_lshl_add_u64 v[24:25], v[22:23], 0, s[18:19]
	global_load_dwordx2 v[22:23], v[24:25], off
	v_lshl_add_u64 v[26:27], v[20:21], 0, s[18:19]
	global_load_dwordx2 v[30:31], v[26:27], off
	v_lshl_add_u64 v[24:25], v[24:25], 0, s[18:19]
	global_load_dwordx2 v[20:21], v[24:25], off
	v_lshl_add_u64 v[26:27], v[26:27], 0, s[18:19]
	global_load_dwordx2 v[32:33], v[26:27], off
	v_lshl_add_u64 v[38:39], v[24:25], 0, s[18:19]
	global_load_dwordx2 v[24:25], v[38:39], off
	s_waitcnt vmcnt(9)
	ds_bpermute_b32 v40, v47, v14
	ds_bpermute_b32 v41, v47, v15
	s_waitcnt vmcnt(8)
	ds_bpermute_b32 v36, v47, v12
	ds_bpermute_b32 v37, v47, v13
	v_lshl_add_u64 v[64:65], v[26:27], 0, s[18:19]
	v_lshl_add_u64 v[38:39], v[38:39], 0, s[18:19]
	global_load_dwordx2 v[26:27], v[38:39], off
	ds_bpermute_b32 v42, v48, v12
	ds_bpermute_b32 v43, v48, v13
	v_lshl_add_u64 v[38:39], v[38:39], 0, s[18:19]
	s_add_u32 s6, s6, s20
	s_addc_u32 s7, s7, 0
	v_cmp_lt_i64_e32 vcc, s[6:7], v[10:11]
	v_lshl_add_u64 v[2:3], v[2:3], 0, s[22:23]
	v_lshl_add_u64 v[0:1], v[0:1], 0, s[20:21]
	;; [unrolled: 1-line block ×3, first 2 shown]
	s_and_b64 vcc, exec, vcc
	s_waitcnt vmcnt(8) lgkmcnt(4)
	v_add_f64 v[28:29], v[28:29], -v[40:41]
	global_load_dwordx2 v[40:41], v[64:65], off
	s_waitcnt vmcnt(8)
	v_mul_f64 v[28:29], v[18:19], v[28:29]
	s_waitcnt lgkmcnt(2)
	v_fmac_f64_e32 v[4:5], v[28:29], v[36:37]
	ds_bpermute_b32 v36, v48, v14
	ds_bpermute_b32 v37, v48, v15
	v_lshl_add_u64 v[64:65], v[64:65], 0, s[18:19]
	global_load_dwordx2 v[28:29], v[38:39], off
	v_lshl_add_u64 v[38:39], v[38:39], 0, s[18:19]
	v_add_f64 v[16:17], v[16:17], v[18:19]
	s_waitcnt vmcnt(8) lgkmcnt(0)
	v_add_f64 v[36:37], v[34:35], -v[36:37]
	global_load_dwordx2 v[34:35], v[64:65], off
	s_waitcnt vmcnt(8)
	v_mul_f64 v[36:37], v[22:23], v[36:37]
	v_fmac_f64_e32 v[4:5], v[36:37], v[42:43]
	ds_bpermute_b32 v36, v49, v14
	ds_bpermute_b32 v37, v49, v15
	;; [unrolled: 1-line block ×4, first 2 shown]
	v_lshl_add_u64 v[64:65], v[64:65], 0, s[18:19]
	v_add_f64 v[16:17], v[16:17], v[22:23]
	s_waitcnt vmcnt(7) lgkmcnt(2)
	v_add_f64 v[30:31], v[30:31], -v[36:37]
	s_waitcnt vmcnt(6)
	v_mul_f64 v[30:31], v[20:21], v[30:31]
	s_waitcnt lgkmcnt(0)
	v_fmac_f64_e32 v[4:5], v[30:31], v[42:43]
	ds_bpermute_b32 v42, v50, v14
	ds_bpermute_b32 v43, v50, v15
	global_load_dwordx2 v[36:37], v[64:65], off
	global_load_dwordx2 v[30:31], v[38:39], off
	v_lshl_add_u64 v[38:39], v[38:39], 0, s[18:19]
	v_add_f64 v[16:17], v[16:17], v[20:21]
	s_waitcnt vmcnt(7) lgkmcnt(0)
	v_add_f64 v[32:33], v[32:33], -v[42:43]
	ds_bpermute_b32 v42, v50, v12
	ds_bpermute_b32 v43, v50, v13
	s_waitcnt vmcnt(6)
	v_mul_f64 v[32:33], v[24:25], v[32:33]
	v_add_f64 v[16:17], v[16:17], v[24:25]
	s_waitcnt vmcnt(5)
	v_add_f64 v[16:17], v[16:17], v[26:27]
	s_waitcnt lgkmcnt(0)
	v_fmac_f64_e32 v[4:5], v[32:33], v[42:43]
	ds_bpermute_b32 v32, v51, v14
	ds_bpermute_b32 v33, v51, v15
	;; [unrolled: 1-line block ×4, first 2 shown]
	s_waitcnt vmcnt(4) lgkmcnt(2)
	v_add_f64 v[32:33], v[40:41], -v[32:33]
	v_mul_f64 v[32:33], v[26:27], v[32:33]
	s_waitcnt lgkmcnt(0)
	v_fmac_f64_e32 v[4:5], v[32:33], v[42:43]
	ds_bpermute_b32 v32, v52, v14
	ds_bpermute_b32 v33, v52, v15
	v_lshl_add_u64 v[42:43], v[64:65], 0, s[18:19]
	global_load_dwordx2 v[64:65], v[42:43], off
	ds_bpermute_b32 v40, v52, v12
	ds_bpermute_b32 v41, v52, v13
	v_lshl_add_u64 v[42:43], v[42:43], 0, s[18:19]
	s_waitcnt vmcnt(3) lgkmcnt(2)
	v_add_f64 v[34:35], v[34:35], -v[32:33]
	global_load_dwordx2 v[32:33], v[38:39], off
	v_mul_f64 v[34:35], v[28:29], v[34:35]
	s_waitcnt lgkmcnt(0)
	v_fmac_f64_e32 v[4:5], v[34:35], v[40:41]
	ds_bpermute_b32 v34, v53, v14
	ds_bpermute_b32 v35, v53, v15
	;; [unrolled: 1-line block ×4, first 2 shown]
	v_lshl_add_u64 v[38:39], v[38:39], 0, s[18:19]
	v_add_f64 v[16:17], v[16:17], v[28:29]
	s_waitcnt vmcnt(3) lgkmcnt(2)
	v_add_f64 v[34:35], v[36:37], -v[34:35]
	s_waitcnt vmcnt(2)
	v_mul_f64 v[34:35], v[30:31], v[34:35]
	s_waitcnt lgkmcnt(0)
	v_fmac_f64_e32 v[4:5], v[34:35], v[40:41]
	ds_bpermute_b32 v40, v54, v14
	ds_bpermute_b32 v41, v54, v15
	global_load_dwordx2 v[36:37], v[42:43], off
	global_load_dwordx2 v[34:35], v[38:39], off
	v_lshl_add_u64 v[38:39], v[38:39], 0, s[18:19]
	v_add_f64 v[16:17], v[16:17], v[30:31]
	s_waitcnt vmcnt(3) lgkmcnt(0)
	v_add_f64 v[40:41], v[64:65], -v[40:41]
	ds_bpermute_b32 v64, v54, v12
	ds_bpermute_b32 v65, v54, v13
	s_waitcnt vmcnt(2)
	v_mul_f64 v[40:41], v[32:33], v[40:41]
	v_add_f64 v[30:31], v[16:17], v[32:33]
	s_waitcnt lgkmcnt(0)
	v_fmac_f64_e32 v[4:5], v[40:41], v[64:65]
	v_lshl_add_u64 v[64:65], v[42:43], 0, s[18:19]
	global_load_dwordx2 v[66:67], v[64:65], off
	global_load_dwordx2 v[42:43], v[38:39], off
	ds_bpermute_b32 v40, v55, v14
	ds_bpermute_b32 v41, v55, v15
	v_lshl_add_u64 v[64:65], v[64:65], 0, s[18:19]
	v_lshl_add_u64 v[38:39], v[38:39], 0, s[18:19]
	ds_bpermute_b32 v32, v57, v12
	ds_bpermute_b32 v33, v57, v13
	s_waitcnt vmcnt(3) lgkmcnt(2)
	v_add_f64 v[36:37], v[36:37], -v[40:41]
	ds_bpermute_b32 v40, v55, v12
	ds_bpermute_b32 v41, v55, v13
	s_waitcnt vmcnt(2)
	v_mul_f64 v[36:37], v[34:35], v[36:37]
	s_waitcnt lgkmcnt(0)
	v_fmac_f64_e32 v[4:5], v[36:37], v[40:41]
	ds_bpermute_b32 v36, v56, v14
	ds_bpermute_b32 v37, v56, v15
	;; [unrolled: 1-line block ×4, first 2 shown]
	s_waitcnt vmcnt(1) lgkmcnt(2)
	v_add_f64 v[36:37], v[66:67], -v[36:37]
	global_load_dwordx2 v[66:67], v[64:65], off
	global_load_dwordx2 v[68:69], v[38:39], off
	s_waitcnt vmcnt(2)
	v_mul_f64 v[36:37], v[42:43], v[36:37]
	s_waitcnt lgkmcnt(0)
	v_fmac_f64_e32 v[4:5], v[36:37], v[40:41]
	v_lshl_add_u64 v[40:41], v[64:65], 0, s[18:19]
	v_lshl_add_u64 v[36:37], v[38:39], 0, s[18:19]
	global_load_dwordx2 v[64:65], v[40:41], off
	global_load_dwordx2 v[38:39], v[36:37], off
	v_lshl_add_u64 v[22:23], v[40:41], 0, s[18:19]
	v_lshl_add_u64 v[18:19], v[36:37], 0, s[18:19]
	global_load_dwordx2 v[40:41], v[22:23], off
	global_load_dwordx2 v[36:37], v[18:19], off
	;; [unrolled: 4-line block ×4, first 2 shown]
	v_lshl_add_u64 v[16:17], v[28:29], 0, s[18:19]
	v_lshl_add_u64 v[20:21], v[20:21], 0, s[18:19]
	global_load_dwordx2 v[20:21], v[20:21], off
	s_nop 0
	global_load_dwordx2 v[16:17], v[16:17], off
	v_add_f64 v[28:29], v[30:31], v[34:35]
	ds_bpermute_b32 v30, v57, v14
	ds_bpermute_b32 v31, v57, v15
	;; [unrolled: 1-line block ×4, first 2 shown]
	v_add_f64 v[28:29], v[28:29], v[42:43]
	s_waitcnt vmcnt(11) lgkmcnt(2)
	v_add_f64 v[30:31], v[66:67], -v[30:31]
	s_waitcnt vmcnt(10)
	v_mul_f64 v[30:31], v[68:69], v[30:31]
	v_fmac_f64_e32 v[4:5], v[30:31], v[32:33]
	ds_bpermute_b32 v30, v58, v12
	ds_bpermute_b32 v31, v58, v13
	v_add_f64 v[28:29], v[28:29], v[68:69]
	s_waitcnt vmcnt(9) lgkmcnt(2)
	v_add_f64 v[32:33], v[64:65], -v[34:35]
	ds_bpermute_b32 v34, v59, v14
	ds_bpermute_b32 v35, v59, v15
	s_waitcnt vmcnt(8)
	v_mul_f64 v[32:33], v[38:39], v[32:33]
	s_waitcnt lgkmcnt(2)
	v_fmac_f64_e32 v[4:5], v[32:33], v[30:31]
	ds_bpermute_b32 v30, v59, v12
	ds_bpermute_b32 v31, v59, v13
	s_waitcnt vmcnt(7) lgkmcnt(2)
	v_add_f64 v[32:33], v[40:41], -v[34:35]
	ds_bpermute_b32 v34, v60, v14
	ds_bpermute_b32 v35, v60, v15
	s_waitcnt vmcnt(6)
	v_mul_f64 v[32:33], v[36:37], v[32:33]
	s_waitcnt lgkmcnt(2)
	v_fmac_f64_e32 v[4:5], v[32:33], v[30:31]
	ds_bpermute_b32 v30, v60, v12
	ds_bpermute_b32 v31, v60, v13
	s_waitcnt vmcnt(5) lgkmcnt(2)
	v_add_f64 v[26:27], v[26:27], -v[34:35]
	ds_bpermute_b32 v32, v61, v14
	ds_bpermute_b32 v33, v61, v15
	s_waitcnt vmcnt(4)
	v_mul_f64 v[26:27], v[22:23], v[26:27]
	ds_bpermute_b32 v14, v62, v14
	ds_bpermute_b32 v15, v62, v15
	s_waitcnt lgkmcnt(4)
	v_fmac_f64_e32 v[4:5], v[26:27], v[30:31]
	ds_bpermute_b32 v26, v61, v12
	ds_bpermute_b32 v27, v61, v13
	;; [unrolled: 1-line block ×4, first 2 shown]
	v_add_f64 v[28:29], v[28:29], v[38:39]
	v_add_f64 v[28:29], v[28:29], v[36:37]
	s_waitcnt vmcnt(3) lgkmcnt(6)
	v_add_f64 v[24:25], v[24:25], -v[32:33]
	v_add_f64 v[22:23], v[28:29], v[22:23]
	s_waitcnt vmcnt(2)
	v_mul_f64 v[24:25], v[18:19], v[24:25]
	s_waitcnt vmcnt(1) lgkmcnt(4)
	v_add_f64 v[14:15], v[20:21], -v[14:15]
	s_waitcnt lgkmcnt(2)
	v_fmac_f64_e32 v[4:5], v[24:25], v[26:27]
	v_add_f64 v[18:19], v[22:23], v[18:19]
	s_waitcnt vmcnt(0)
	v_mul_f64 v[14:15], v[16:17], v[14:15]
	s_waitcnt lgkmcnt(0)
	v_fmac_f64_e32 v[4:5], v[14:15], v[12:13]
	v_add_f64 v[16:17], v[18:19], v[16:17]
	s_cbranch_vccz .LBB35_10
.LBB35_7:                               ; =>This Inner Loop Header: Depth=1
	v_mov_b64_e32 v[12:13], v[8:9]
	v_mov_b64_e32 v[14:15], v[8:9]
	s_and_saveexec_b64 s[26:27], s[4:5]
	s_cbranch_execz .LBB35_6
; %bb.8:                                ;   in Loop: Header=BB35_7 Depth=1
	v_mov_b64_e32 v[14:15], 0
	v_cmp_gt_i64_e32 vcc, s[16:17], v[0:1]
	v_mov_b64_e32 v[12:13], v[14:15]
	s_and_saveexec_b64 s[28:29], vcc
	s_cbranch_execz .LBB35_5
; %bb.9:                                ;   in Loop: Header=BB35_7 Depth=1
	v_lshl_add_u64 v[20:21], s[12:13], 0, v[2:3]
	v_lshl_add_u64 v[18:19], s[14:15], 0, v[2:3]
	global_load_dwordx2 v[14:15], v[20:21], off
	global_load_dwordx2 v[12:13], v[18:19], off
	s_branch .LBB35_5
.LBB35_10:
	v_mov_b32_e32 v6, v46
.LBB35_11:
	s_load_dwordx4 s[4:7], s[0:1], 0x30
	s_movk_i32 s0, 0x41
	v_mad_u32_u24 v0, v6, s0, v44
	v_lshl_add_u32 v0, v0, 3, 0
	ds_write_b64 v0, v[4:5]
	ds_write_b64 v0, v[16:17] offset:8320
	v_lshrrev_b32_e32 v4, 6, v44
	v_add_u32_e32 v0, v4, v6
	s_mov_b32 s3, 0
	v_cmp_gt_u32_e32 vcc, 64, v0
	s_waitcnt lgkmcnt(0)
	s_barrier
	s_and_saveexec_b64 s[0:1], vcc
	s_cbranch_execz .LBB35_21
; %bb.12:
	v_and_b32_e32 v1, 63, v44
	v_cmp_gt_u32_e64 s[0:1], 16, v1
	v_mul_u32_u24_e32 v5, 0x41, v1
	v_mbcnt_hi_u32_b32 v1, -1, v45
	v_and_b32_e32 v2, 64, v1
	v_add_u32_e32 v2, 64, v2
	v_xor_b32_e32 v3, 8, v1
	v_cmp_lt_i32_e32 vcc, v3, v2
	s_lshl_b64 s[14:15], s[2:3], 6
	v_mov_b32_e32 v7, 0
	v_cndmask_b32_e32 v3, v1, v3, vcc
	v_lshlrev_b32_e32 v8, 2, v3
	v_xor_b32_e32 v3, 4, v1
	v_cmp_lt_i32_e32 vcc, v3, v2
	v_add_u32_e32 v12, -16, v0
	v_or_b32_e32 v0, s14, v4
	v_cndmask_b32_e32 v3, v1, v3, vcc
	v_lshlrev_b32_e32 v9, 2, v3
	v_xor_b32_e32 v3, 2, v1
	v_cmp_lt_i32_e32 vcc, v3, v2
	s_cmp_lg_u64 s[4:5], 0
	s_cselect_b64 s[10:11], -1, 0
	v_cndmask_b32_e32 v3, v1, v3, vcc
	v_lshlrev_b32_e32 v10, 2, v3
	v_xor_b32_e32 v3, 1, v1
	v_cmp_lt_i32_e32 vcc, v3, v2
	s_cmp_lg_u64 s[6:7], 0
	v_add3_u32 v4, v5, v6, v4
	v_cndmask_b32_e32 v1, v1, v3, vcc
	v_lshlrev_b32_e32 v11, 2, v1
	v_mov_b32_e32 v1, s15
	v_lshl_add_u64 v[0:1], v[0:1], 0, v[6:7]
	v_lshlrev_b64 v[2:3], 3, v[0:1]
	v_cmp_eq_u32_e64 s[2:3], 0, v44
	s_mov_b64 s[8:9], 0
	s_cselect_b64 s[12:13], -1, 0
	v_lshl_add_u64 v[0:1], s[6:7], 0, v[2:3]
	v_lshl_add_u64 v[2:3], s[4:5], 0, v[2:3]
	v_lshl_add_u32 v13, v4, 3, 0
	s_mov_b64 s[4:5], 0x80
                                        ; implicit-def: $vgpr4_vgpr5
                                        ; implicit-def: $vgpr6_vgpr7
	s_branch .LBB35_14
.LBB35_13:                              ;   in Loop: Header=BB35_14 Depth=1
	s_or_b64 exec, exec, s[6:7]
	v_add_u32_e32 v12, 16, v12
	v_cmp_lt_u32_e32 vcc, 47, v12
	v_lshl_add_u64 v[0:1], v[0:1], 0, s[4:5]
	v_lshl_add_u64 v[2:3], v[2:3], 0, s[4:5]
	s_or_b64 s[8:9], vcc, s[8:9]
	v_add_u32_e32 v13, 0x80, v13
	s_andn2_b64 exec, exec, s[8:9]
	s_cbranch_execz .LBB35_21
.LBB35_14:                              ; =>This Inner Loop Header: Depth=1
	s_and_saveexec_b64 s[6:7], s[0:1]
	s_cbranch_execz .LBB35_16
; %bb.15:                               ;   in Loop: Header=BB35_14 Depth=1
	ds_read_b64 v[4:5], v13
	ds_read_b64 v[6:7], v13 offset:8320
.LBB35_16:                              ;   in Loop: Header=BB35_14 Depth=1
	s_or_b64 exec, exec, s[6:7]
	s_waitcnt lgkmcnt(1)
	ds_bpermute_b32 v14, v8, v4
	ds_bpermute_b32 v15, v8, v5
	s_waitcnt lgkmcnt(2)
	ds_bpermute_b32 v16, v8, v6
	ds_bpermute_b32 v17, v8, v7
	s_waitcnt lgkmcnt(2)
	v_add_f64 v[4:5], v[4:5], v[14:15]
	ds_bpermute_b32 v14, v9, v4
	s_waitcnt lgkmcnt(1)
	v_add_f64 v[6:7], v[6:7], v[16:17]
	ds_bpermute_b32 v15, v9, v5
	ds_bpermute_b32 v16, v9, v6
	ds_bpermute_b32 v17, v9, v7
	s_waitcnt lgkmcnt(2)
	v_add_f64 v[4:5], v[4:5], v[14:15]
	ds_bpermute_b32 v14, v10, v4
	s_waitcnt lgkmcnt(1)
	v_add_f64 v[6:7], v[6:7], v[16:17]
	ds_bpermute_b32 v15, v10, v5
	;; [unrolled: 8-line block ×3, first 2 shown]
	ds_bpermute_b32 v16, v11, v6
	ds_bpermute_b32 v17, v11, v7
	s_waitcnt lgkmcnt(2)
	v_add_f64 v[4:5], v[4:5], v[14:15]
	s_waitcnt lgkmcnt(0)
	v_add_f64 v[6:7], v[6:7], v[16:17]
	s_and_saveexec_b64 s[6:7], s[2:3]
	s_cbranch_execz .LBB35_13
; %bb.17:                               ;   in Loop: Header=BB35_14 Depth=1
	s_andn2_b64 vcc, exec, s[10:11]
	s_cbranch_vccnz .LBB35_19
; %bb.18:                               ;   in Loop: Header=BB35_14 Depth=1
	global_store_dwordx2 v[2:3], v[4:5], off
.LBB35_19:                              ;   in Loop: Header=BB35_14 Depth=1
	s_andn2_b64 vcc, exec, s[12:13]
	s_cbranch_vccnz .LBB35_13
; %bb.20:                               ;   in Loop: Header=BB35_14 Depth=1
	global_store_dwordx2 v[0:1], v[6:7], off
	s_branch .LBB35_13
.LBB35_21:
	s_endpgm
	.section	.rodata,"a",@progbits
	.p2align	6, 0x0
	.amdhsa_kernel _ZN2at6native12_GLOBAL__N_135GammaBetaBackwardCUDAKernelTemplateIddLj64ELj16ELj256ELb0ELb1ELb0EEEvllPKT_S5_PKT0_S8_PS3_S9_
		.amdhsa_group_segment_fixed_size 0
		.amdhsa_private_segment_fixed_size 0
		.amdhsa_kernarg_size 320
		.amdhsa_user_sgpr_count 2
		.amdhsa_user_sgpr_dispatch_ptr 0
		.amdhsa_user_sgpr_queue_ptr 0
		.amdhsa_user_sgpr_kernarg_segment_ptr 1
		.amdhsa_user_sgpr_dispatch_id 0
		.amdhsa_user_sgpr_kernarg_preload_length 0
		.amdhsa_user_sgpr_kernarg_preload_offset 0
		.amdhsa_user_sgpr_private_segment_size 0
		.amdhsa_uses_dynamic_stack 0
		.amdhsa_enable_private_segment 0
		.amdhsa_system_sgpr_workgroup_id_x 1
		.amdhsa_system_sgpr_workgroup_id_y 1
		.amdhsa_system_sgpr_workgroup_id_z 0
		.amdhsa_system_sgpr_workgroup_info 0
		.amdhsa_system_vgpr_workitem_id 1
		.amdhsa_next_free_vgpr 70
		.amdhsa_next_free_sgpr 30
		.amdhsa_accum_offset 72
		.amdhsa_reserve_vcc 1
		.amdhsa_float_round_mode_32 0
		.amdhsa_float_round_mode_16_64 0
		.amdhsa_float_denorm_mode_32 3
		.amdhsa_float_denorm_mode_16_64 3
		.amdhsa_dx10_clamp 1
		.amdhsa_ieee_mode 1
		.amdhsa_fp16_overflow 0
		.amdhsa_tg_split 0
		.amdhsa_exception_fp_ieee_invalid_op 0
		.amdhsa_exception_fp_denorm_src 0
		.amdhsa_exception_fp_ieee_div_zero 0
		.amdhsa_exception_fp_ieee_overflow 0
		.amdhsa_exception_fp_ieee_underflow 0
		.amdhsa_exception_fp_ieee_inexact 0
		.amdhsa_exception_int_div_zero 0
	.end_amdhsa_kernel
	.section	.text._ZN2at6native12_GLOBAL__N_135GammaBetaBackwardCUDAKernelTemplateIddLj64ELj16ELj256ELb0ELb1ELb0EEEvllPKT_S5_PKT0_S8_PS3_S9_,"axG",@progbits,_ZN2at6native12_GLOBAL__N_135GammaBetaBackwardCUDAKernelTemplateIddLj64ELj16ELj256ELb0ELb1ELb0EEEvllPKT_S5_PKT0_S8_PS3_S9_,comdat
.Lfunc_end35:
	.size	_ZN2at6native12_GLOBAL__N_135GammaBetaBackwardCUDAKernelTemplateIddLj64ELj16ELj256ELb0ELb1ELb0EEEvllPKT_S5_PKT0_S8_PS3_S9_, .Lfunc_end35-_ZN2at6native12_GLOBAL__N_135GammaBetaBackwardCUDAKernelTemplateIddLj64ELj16ELj256ELb0ELb1ELb0EEEvllPKT_S5_PKT0_S8_PS3_S9_
                                        ; -- End function
	.section	.AMDGPU.csdata,"",@progbits
; Kernel info:
; codeLenInByte = 2816
; NumSgprs: 36
; NumVgprs: 70
; NumAgprs: 0
; TotalNumVgprs: 70
; ScratchSize: 0
; MemoryBound: 0
; FloatMode: 240
; IeeeMode: 1
; LDSByteSize: 0 bytes/workgroup (compile time only)
; SGPRBlocks: 4
; VGPRBlocks: 8
; NumSGPRsForWavesPerEU: 36
; NumVGPRsForWavesPerEU: 70
; AccumOffset: 72
; Occupancy: 7
; WaveLimiterHint : 0
; COMPUTE_PGM_RSRC2:SCRATCH_EN: 0
; COMPUTE_PGM_RSRC2:USER_SGPR: 2
; COMPUTE_PGM_RSRC2:TRAP_HANDLER: 0
; COMPUTE_PGM_RSRC2:TGID_X_EN: 1
; COMPUTE_PGM_RSRC2:TGID_Y_EN: 1
; COMPUTE_PGM_RSRC2:TGID_Z_EN: 0
; COMPUTE_PGM_RSRC2:TIDIG_COMP_CNT: 1
; COMPUTE_PGM_RSRC3_GFX90A:ACCUM_OFFSET: 17
; COMPUTE_PGM_RSRC3_GFX90A:TG_SPLIT: 0
	.section	.text._ZN2at6native12_GLOBAL__N_135GammaBetaBackwardCUDAKernelTemplateIddLj64ELj16ELj256ELb0ELb0ELb0EEEvllPKT_S5_PKT0_S8_PS3_S9_,"axG",@progbits,_ZN2at6native12_GLOBAL__N_135GammaBetaBackwardCUDAKernelTemplateIddLj64ELj16ELj256ELb0ELb0ELb0EEEvllPKT_S5_PKT0_S8_PS3_S9_,comdat
	.globl	_ZN2at6native12_GLOBAL__N_135GammaBetaBackwardCUDAKernelTemplateIddLj64ELj16ELj256ELb0ELb0ELb0EEEvllPKT_S5_PKT0_S8_PS3_S9_ ; -- Begin function _ZN2at6native12_GLOBAL__N_135GammaBetaBackwardCUDAKernelTemplateIddLj64ELj16ELj256ELb0ELb0ELb0EEEvllPKT_S5_PKT0_S8_PS3_S9_
	.p2align	8
	.type	_ZN2at6native12_GLOBAL__N_135GammaBetaBackwardCUDAKernelTemplateIddLj64ELj16ELj256ELb0ELb0ELb0EEEvllPKT_S5_PKT0_S8_PS3_S9_,@function
_ZN2at6native12_GLOBAL__N_135GammaBetaBackwardCUDAKernelTemplateIddLj64ELj16ELj256ELb0ELb0ELb0EEEvllPKT_S5_PKT0_S8_PS3_S9_: ; @_ZN2at6native12_GLOBAL__N_135GammaBetaBackwardCUDAKernelTemplateIddLj64ELj16ELj256ELb0ELb0ELb0EEEvllPKT_S5_PKT0_S8_PS3_S9_
; %bb.0:
	s_load_dwordx8 s[8:15], s[0:1], 0x0
	s_load_dwordx4 s[16:19], s[0:1], 0x20
	s_lshl_b32 s33, s2, 6
	v_mov_b32_e32 v49, v0
	s_or_b32 s20, s33, 63
	s_mov_b32 s21, 0
	s_waitcnt lgkmcnt(0)
	v_mov_b64_e32 v[0:1], s[10:11]
	v_cmp_ge_i64_e32 vcc, s[20:21], v[0:1]
	s_lshl_b32 s20, s3, 8
	v_mov_b64_e32 v[0:1], s[8:9]
	v_cmp_lt_i64_e64 s[4:5], s[20:21], v[0:1]
	s_nop 1
	v_cndmask_b32_e64 v0, 0, 1, s[4:5]
	v_cmp_ne_u32_e64 s[4:5], 1, v0
	s_cbranch_vccz .LBB36_81
; %bb.1:
	v_mov_b64_e32 v[102:103], 0
	s_mov_b64 s[22:23], 0
	s_and_b64 vcc, exec, s[4:5]
	v_mov_b64_e32 v[110:111], v[102:103]
	s_cbranch_vccnz .LBB36_82
; %bb.2:
	v_and_b32_e32 v0, 0x3ff, v49
	v_add_u32_e32 v4, s33, v0
	v_mov_b32_e32 v5, 0
	v_bfe_u32 v0, v49, 10, 10
	v_lshlrev_b32_e32 v0, 4, v0
	v_mov_b32_e32 v1, v5
	scratch_store_dwordx2 off, v[0:1], off offset:64 ; 8-byte Folded Spill
	v_lshl_add_u64 v[0:1], v[0:1], 0, s[20:21]
	v_lshl_add_u64 v[2:3], v[0:1], 0, 15
	v_cmp_gt_i64_e64 s[6:7], s[10:11], v[4:5]
	v_lshlrev_b64 v[44:45], 3, v[4:5]
	v_mul_lo_u32 v4, s11, v2
	v_mul_lo_u32 v6, s10, v3
	v_mad_u64_u32 v[2:3], s[26:27], s10, v2, 0
	v_add3_u32 v3, v3, v6, v4
	v_lshlrev_b64 v[2:3], 3, v[2:3]
	v_lshl_add_u64 v[6:7], s[12:13], 0, v[2:3]
	v_lshl_add_u64 v[2:3], s[14:15], 0, v[2:3]
	scratch_store_dwordx2 off, v[2:3], off offset:16 ; 8-byte Folded Spill
	v_lshl_add_u64 v[2:3], v[0:1], 0, 14
	scratch_store_dwordx2 off, v[6:7], off offset:8 ; 8-byte Folded Spill
	v_mul_lo_u32 v4, s11, v2
	v_mul_lo_u32 v6, s10, v3
	v_mad_u64_u32 v[2:3], s[28:29], s10, v2, 0
	v_add3_u32 v3, v3, v6, v4
	v_lshlrev_b64 v[2:3], 3, v[2:3]
	v_lshl_add_u64 v[6:7], s[12:13], 0, v[2:3]
	v_lshl_add_u64 v[2:3], s[14:15], 0, v[2:3]
	scratch_store_dwordx2 off, v[2:3], off offset:32 ; 8-byte Folded Spill
	v_lshl_add_u64 v[2:3], v[0:1], 0, 13
	scratch_store_dwordx2 off, v[6:7], off offset:24 ; 8-byte Folded Spill
	v_mul_lo_u32 v4, s11, v2
	v_mul_lo_u32 v6, s10, v3
	v_mad_u64_u32 v[2:3], s[28:29], s10, v2, 0
	v_add3_u32 v3, v3, v6, v4
	v_lshlrev_b64 v[2:3], 3, v[2:3]
	v_lshl_add_u64 v[54:55], s[12:13], 0, v[2:3]
	v_lshl_add_u64 v[56:57], s[14:15], 0, v[2:3]
	v_lshl_add_u64 v[2:3], v[0:1], 0, 12
	v_mul_lo_u32 v4, s11, v2
	v_mul_lo_u32 v6, s10, v3
	v_mad_u64_u32 v[2:3], s[28:29], s10, v2, 0
	v_add3_u32 v3, v3, v6, v4
	v_lshlrev_b64 v[2:3], 3, v[2:3]
	v_lshl_add_u64 v[58:59], s[12:13], 0, v[2:3]
	v_lshl_add_u64 v[60:61], s[14:15], 0, v[2:3]
	v_lshl_add_u64 v[2:3], v[0:1], 0, 11
	;; [unrolled: 8-line block ×11, first 2 shown]
	s_load_dword s3, s[0:1], 0x44
	v_mul_lo_u32 v4, s11, v2
	v_mul_lo_u32 v6, s10, v3
	v_mad_u64_u32 v[2:3], s[28:29], s10, v2, 0
	v_add3_u32 v3, v3, v6, v4
	v_lshlrev_b64 v[2:3], 3, v[2:3]
	v_lshl_add_u64 v[98:99], s[12:13], 0, v[2:3]
	v_lshl_add_u64 v[100:101], s[14:15], 0, v[2:3]
	v_mov_b64_e32 v[2:3], s[10:11]
	s_add_u32 s24, s0, 64
	v_mad_u64_u32 v[2:3], s[28:29], s10, v0, v[2:3]
	v_mul_lo_u32 v4, s10, v1
	v_mul_lo_u32 v6, s11, v0
	v_mad_u64_u32 v[0:1], s[30:31], s10, v0, 0
	s_addc_u32 s25, s1, 0
	s_waitcnt lgkmcnt(0)
	s_lshl_b32 s3, s3, 8
	v_add3_u32 v1, v1, v4, v6
	s_mul_i32 s26, s11, s3
	s_mul_hi_u32 s27, s10, s3
	v_lshlrev_b64 v[0:1], 3, v[0:1]
	s_add_i32 s27, s27, s26
	s_mul_i32 s26, s10, s3
	v_lshl_add_u64 v[106:107], s[12:13], 0, v[0:1]
	v_lshl_add_u64 v[108:109], s[14:15], 0, v[0:1]
	v_mbcnt_lo_u32_b32 v0, -1, 0
	s_lshl_b64 s[26:27], s[26:27], 3
	v_add3_u32 v3, v6, v3, v4
	v_mbcnt_hi_u32_b32 v0, -1, v0
	v_lshlrev_b64 v[2:3], 3, v[2:3]
	s_add_u32 s28, s20, 0xff
	s_movk_i32 s30, 0xff01
	s_movk_i32 s34, 0xff02
	;; [unrolled: 1-line block ×16, first 2 shown]
	v_lshlrev_b32_e32 v0, 2, v0
	s_mov_b32 s36, 0
	v_lshl_add_u64 v[102:103], s[12:13], 0, v[2:3]
	v_lshl_add_u64 v[104:105], s[14:15], 0, v[2:3]
	s_addc_u32 s29, 0, 0
	v_mov_b64_e32 v[116:117], 0
	s_mov_b32 s31, -1
	s_mov_b32 s35, -1
	;; [unrolled: 1-line block ×16, first 2 shown]
	v_and_b32_e32 v48, 0x100, v0
	s_mov_b64 s[96:97], s[20:21]
	scratch_store_dwordx2 off, v[116:117], off ; 8-byte Folded Spill
.LBB36_3:                               ; =>This Inner Loop Header: Depth=1
	v_mov_b64_e32 v[0:1], s[8:9]
	v_cmp_ge_i64_e32 vcc, s[28:29], v[0:1]
	scratch_load_dwordx2 v[0:1], off, off offset:64 ; 8-byte Folded Reload
	s_waitcnt vmcnt(0)
	v_lshl_add_u64 v[38:39], v[0:1], 0, s[28:29]
	s_cbranch_vccz .LBB36_41
; %bb.4:                                ;   in Loop: Header=BB36_3 Depth=1
	s_load_dword s37, s[24:25], 0xc
	v_and_b32_e32 v0, 0x3ff, v49
	v_bfe_u32 v1, v49, 10, 10
	v_mov_b64_e32 v[118:119], 0
	v_mov_b64_e32 v[114:115], v[118:119]
	s_waitcnt lgkmcnt(0)
	s_and_b32 s37, s37, 0xffff
	v_mad_u32_u24 v0, v1, s37, v0
	v_and_b32_e32 v4, 63, v0
	v_cmp_gt_u32_e32 vcc, 16, v4
	v_mov_b64_e32 v[112:113], v[118:119]
	s_and_saveexec_b64 s[38:39], vcc
	s_cbranch_execz .LBB36_8
; %bb.5:                                ;   in Loop: Header=BB36_3 Depth=1
	v_lshl_add_u64 v[0:1], v[38:39], 0, v[4:5]
	v_lshl_add_u64 v[0:1], v[0:1], 0, s[30:31]
	v_mov_b64_e32 v[112:113], 0
	v_cmp_gt_i64_e32 vcc, s[8:9], v[0:1]
	v_mov_b64_e32 v[114:115], v[112:113]
	s_and_saveexec_b64 s[40:41], vcc
	s_cbranch_execz .LBB36_7
; %bb.6:                                ;   in Loop: Header=BB36_3 Depth=1
	v_lshlrev_b64 v[0:1], 3, v[0:1]
	v_lshl_add_u64 v[2:3], s[18:19], 0, v[0:1]
	v_lshl_add_u64 v[0:1], s[16:17], 0, v[0:1]
	global_load_dwordx2 v[112:113], v[0:1], off
	global_load_dwordx2 v[114:115], v[2:3], off
.LBB36_7:                               ;   in Loop: Header=BB36_3 Depth=1
	s_or_b64 exec, exec, s[40:41]
.LBB36_8:                               ;   in Loop: Header=BB36_3 Depth=1
	s_or_b64 exec, exec, s[38:39]
	v_lshl_add_u64 v[0:1], v[38:39], 0, s[30:31]
	s_mov_b32 s37, s36
	v_cmp_gt_i64_e32 vcc, s[8:9], v[0:1]
	s_mov_b32 s38, s36
	s_mov_b32 s39, s36
	;; [unrolled: 1-line block ×30, first 2 shown]
	v_mov_b64_e32 v[6:7], s[36:37]
	s_and_b64 s[98:99], s[6:7], vcc
	v_mov_b64_e32 v[8:9], s[38:39]
	v_mov_b64_e32 v[10:11], s[40:41]
	v_mov_b64_e32 v[12:13], s[42:43]
	v_mov_b64_e32 v[14:15], s[44:45]
	v_mov_b64_e32 v[16:17], s[46:47]
	v_mov_b64_e32 v[18:19], s[48:49]
	v_mov_b64_e32 v[20:21], s[50:51]
	v_mov_b64_e32 v[22:23], s[52:53]
	v_mov_b64_e32 v[24:25], s[54:55]
	v_mov_b64_e32 v[26:27], s[56:57]
	v_mov_b64_e32 v[28:29], s[58:59]
	v_mov_b64_e32 v[30:31], s[60:61]
	v_mov_b64_e32 v[32:33], s[62:63]
	v_mov_b64_e32 v[34:35], s[64:65]
	v_mov_b64_e32 v[36:37], s[66:67]
	v_mov_b64_e32 v[110:111], v[118:119]
	s_and_saveexec_b64 s[38:39], s[98:99]
	s_cbranch_execz .LBB36_10
; %bb.9:                                ;   in Loop: Header=BB36_3 Depth=1
	v_lshl_add_u64 v[0:1], v[106:107], 0, v[44:45]
	global_load_dwordx2 v[2:3], v[0:1], off
	v_lshl_add_u64 v[0:1], v[108:109], 0, v[44:45]
	global_load_dwordx2 v[110:111], v[0:1], off
	v_mov_b32_e32 v6, v5
	v_mov_b32_e32 v7, v5
	;; [unrolled: 1-line block ×29, first 2 shown]
	s_waitcnt vmcnt(1)
	v_mov_b64_e32 v[36:37], v[32:33]
	v_mov_b64_e32 v[34:35], v[30:31]
	;; [unrolled: 1-line block ×16, first 2 shown]
.LBB36_10:                              ;   in Loop: Header=BB36_3 Depth=1
	s_or_b64 exec, exec, s[38:39]
	v_lshl_add_u64 v[0:1], v[38:39], 0, s[34:35]
	v_cmp_gt_i64_e32 vcc, s[8:9], v[0:1]
	s_and_b64 s[40:41], s[6:7], vcc
	s_and_saveexec_b64 s[38:39], s[40:41]
	s_cbranch_execz .LBB36_12
; %bb.11:                               ;   in Loop: Header=BB36_3 Depth=1
	v_lshl_add_u64 v[0:1], v[102:103], 0, v[44:45]
	global_load_dwordx2 v[8:9], v[0:1], off
	v_lshl_add_u64 v[0:1], v[104:105], 0, v[44:45]
	global_load_dwordx2 v[118:119], v[0:1], off
.LBB36_12:                              ;   in Loop: Header=BB36_3 Depth=1
	s_or_b64 exec, exec, s[38:39]
	v_lshl_add_u64 v[0:1], v[38:39], 0, s[68:69]
	v_cmp_gt_i64_e32 vcc, s[8:9], v[0:1]
	v_mov_b64_e32 v[40:41], 0
	s_and_b64 s[40:41], s[6:7], vcc
	v_mov_b64_e32 v[46:47], v[40:41]
	s_and_saveexec_b64 s[38:39], s[40:41]
	s_cbranch_execz .LBB36_14
; %bb.13:                               ;   in Loop: Header=BB36_3 Depth=1
	v_lshl_add_u64 v[0:1], v[98:99], 0, v[44:45]
	global_load_dwordx2 v[10:11], v[0:1], off
	v_lshl_add_u64 v[0:1], v[100:101], 0, v[44:45]
	global_load_dwordx2 v[46:47], v[0:1], off
.LBB36_14:                              ;   in Loop: Header=BB36_3 Depth=1
	s_or_b64 exec, exec, s[38:39]
	v_lshl_add_u64 v[0:1], v[38:39], 0, s[70:71]
	v_cmp_gt_i64_e32 vcc, s[8:9], v[0:1]
	s_and_b64 s[40:41], s[6:7], vcc
	s_and_saveexec_b64 s[38:39], s[40:41]
	s_cbranch_execz .LBB36_16
; %bb.15:                               ;   in Loop: Header=BB36_3 Depth=1
	v_lshl_add_u64 v[0:1], v[94:95], 0, v[44:45]
	global_load_dwordx2 v[12:13], v[0:1], off
	v_lshl_add_u64 v[0:1], v[96:97], 0, v[44:45]
	global_load_dwordx2 v[40:41], v[0:1], off
.LBB36_16:                              ;   in Loop: Header=BB36_3 Depth=1
	s_or_b64 exec, exec, s[38:39]
	v_lshl_add_u64 v[0:1], v[38:39], 0, s[72:73]
	v_cmp_gt_i64_e32 vcc, s[8:9], v[0:1]
	v_mov_b64_e32 v[122:123], 0
	s_and_b64 s[40:41], s[6:7], vcc
	v_mov_b64_e32 v[126:127], v[122:123]
	s_and_saveexec_b64 s[38:39], s[40:41]
	s_cbranch_execz .LBB36_18
; %bb.17:                               ;   in Loop: Header=BB36_3 Depth=1
	v_lshl_add_u64 v[0:1], v[90:91], 0, v[44:45]
	global_load_dwordx2 v[14:15], v[0:1], off
	v_lshl_add_u64 v[0:1], v[92:93], 0, v[44:45]
	global_load_dwordx2 v[126:127], v[0:1], off
.LBB36_18:                              ;   in Loop: Header=BB36_3 Depth=1
	s_or_b64 exec, exec, s[38:39]
	v_lshl_add_u64 v[0:1], v[38:39], 0, s[74:75]
	v_cmp_gt_i64_e32 vcc, s[8:9], v[0:1]
	s_and_b64 s[40:41], s[6:7], vcc
	s_and_saveexec_b64 s[38:39], s[40:41]
	s_cbranch_execz .LBB36_20
; %bb.19:                               ;   in Loop: Header=BB36_3 Depth=1
	v_lshl_add_u64 v[0:1], v[86:87], 0, v[44:45]
	global_load_dwordx2 v[16:17], v[0:1], off
	v_lshl_add_u64 v[0:1], v[88:89], 0, v[44:45]
	global_load_dwordx2 v[122:123], v[0:1], off
.LBB36_20:                              ;   in Loop: Header=BB36_3 Depth=1
	s_or_b64 exec, exec, s[38:39]
	v_lshl_add_u64 v[0:1], v[38:39], 0, s[76:77]
	v_cmp_gt_i64_e32 vcc, s[8:9], v[0:1]
	s_and_b64 s[40:41], s[6:7], vcc
	v_mov_b64_e32 v[42:43], 0
	scratch_store_dwordx2 off, v[42:43], off offset:56 ; 8-byte Folded Spill
	s_and_saveexec_b64 s[38:39], s[40:41]
	s_cbranch_execz .LBB36_22
; %bb.21:                               ;   in Loop: Header=BB36_3 Depth=1
	v_lshl_add_u64 v[0:1], v[82:83], 0, v[44:45]
	global_load_dwordx2 v[18:19], v[0:1], off
	v_lshl_add_u64 v[0:1], v[84:85], 0, v[44:45]
	global_load_dwordx2 v[0:1], v[0:1], off
	s_waitcnt vmcnt(0)
	scratch_store_dwordx2 off, v[0:1], off offset:56 ; 8-byte Folded Spill
.LBB36_22:                              ;   in Loop: Header=BB36_3 Depth=1
	s_or_b64 exec, exec, s[38:39]
	v_lshl_add_u64 v[0:1], v[38:39], 0, s[78:79]
	v_cmp_gt_i64_e32 vcc, s[8:9], v[0:1]
	s_and_b64 s[40:41], s[6:7], vcc
	s_and_saveexec_b64 s[38:39], s[40:41]
	s_cbranch_execz .LBB36_24
; %bb.23:                               ;   in Loop: Header=BB36_3 Depth=1
	v_lshl_add_u64 v[0:1], v[78:79], 0, v[44:45]
	global_load_dwordx2 v[20:21], v[0:1], off
	v_lshl_add_u64 v[0:1], v[80:81], 0, v[44:45]
	global_load_dwordx2 v[42:43], v[0:1], off
.LBB36_24:                              ;   in Loop: Header=BB36_3 Depth=1
	s_or_b64 exec, exec, s[38:39]
	v_lshl_add_u64 v[0:1], v[38:39], 0, s[80:81]
	v_cmp_gt_i64_e32 vcc, s[8:9], v[0:1]
	s_and_b64 s[40:41], s[6:7], vcc
	v_mov_b64_e32 v[124:125], 0
	scratch_store_dwordx2 off, v[124:125], off offset:48 ; 8-byte Folded Spill
	s_and_saveexec_b64 s[38:39], s[40:41]
	s_cbranch_execz .LBB36_26
; %bb.25:                               ;   in Loop: Header=BB36_3 Depth=1
	v_lshl_add_u64 v[0:1], v[74:75], 0, v[44:45]
	global_load_dwordx2 v[22:23], v[0:1], off
	v_lshl_add_u64 v[0:1], v[76:77], 0, v[44:45]
	global_load_dwordx2 v[0:1], v[0:1], off
	s_waitcnt vmcnt(0)
	scratch_store_dwordx2 off, v[0:1], off offset:48 ; 8-byte Folded Spill
.LBB36_26:                              ;   in Loop: Header=BB36_3 Depth=1
	;; [unrolled: 28-line block ×3, first 2 shown]
	s_or_b64 exec, exec, s[38:39]
	v_lshl_add_u64 v[0:1], v[38:39], 0, s[86:87]
	v_cmp_gt_i64_e32 vcc, s[8:9], v[0:1]
	s_and_b64 s[40:41], s[6:7], vcc
	s_and_saveexec_b64 s[38:39], s[40:41]
	s_cbranch_execz .LBB36_32
; %bb.31:                               ;   in Loop: Header=BB36_3 Depth=1
	v_lshl_add_u64 v[0:1], v[62:63], 0, v[44:45]
	global_load_dwordx2 v[28:29], v[0:1], off
	v_lshl_add_u64 v[0:1], v[64:65], 0, v[44:45]
	global_load_dwordx2 v[120:121], v[0:1], off
.LBB36_32:                              ;   in Loop: Header=BB36_3 Depth=1
	s_or_b64 exec, exec, s[38:39]
	v_lshl_add_u64 v[0:1], v[38:39], 0, s[88:89]
	v_cmp_gt_i64_e32 vcc, s[8:9], v[0:1]
	v_mov_b64_e32 v[2:3], 0
	s_and_b64 s[40:41], s[6:7], vcc
	v_mov_b64_e32 v[52:53], v[2:3]
	s_and_saveexec_b64 s[38:39], s[40:41]
	s_cbranch_execz .LBB36_34
; %bb.33:                               ;   in Loop: Header=BB36_3 Depth=1
	v_lshl_add_u64 v[0:1], v[58:59], 0, v[44:45]
	global_load_dwordx2 v[30:31], v[0:1], off
	v_lshl_add_u64 v[0:1], v[60:61], 0, v[44:45]
	global_load_dwordx2 v[52:53], v[0:1], off
.LBB36_34:                              ;   in Loop: Header=BB36_3 Depth=1
	s_or_b64 exec, exec, s[38:39]
	v_lshl_add_u64 v[0:1], v[38:39], 0, s[90:91]
	v_cmp_gt_i64_e32 vcc, s[8:9], v[0:1]
	s_and_b64 s[40:41], s[6:7], vcc
	s_and_saveexec_b64 s[38:39], s[40:41]
	s_cbranch_execz .LBB36_36
; %bb.35:                               ;   in Loop: Header=BB36_3 Depth=1
	v_lshl_add_u64 v[0:1], v[54:55], 0, v[44:45]
	global_load_dwordx2 v[32:33], v[0:1], off
	v_lshl_add_u64 v[0:1], v[56:57], 0, v[44:45]
	global_load_dwordx2 v[2:3], v[0:1], off
.LBB36_36:                              ;   in Loop: Header=BB36_3 Depth=1
	s_or_b64 exec, exec, s[38:39]
	v_lshl_add_u64 v[0:1], v[38:39], 0, s[92:93]
	v_cmp_gt_i64_e32 vcc, s[8:9], v[0:1]
	v_mov_b64_e32 v[0:1], 0
	s_and_b64 s[40:41], s[6:7], vcc
	v_mov_b64_e32 v[50:51], v[0:1]
	s_and_saveexec_b64 s[38:39], s[40:41]
	s_cbranch_execz .LBB36_38
; %bb.37:                               ;   in Loop: Header=BB36_3 Depth=1
	scratch_load_dwordx2 v[34:35], off, off offset:24 ; 8-byte Folded Reload
	s_waitcnt vmcnt(0)
	v_lshl_add_u64 v[34:35], v[34:35], 0, v[44:45]
	global_load_dwordx2 v[34:35], v[34:35], off
	s_nop 0
	scratch_load_dwordx2 v[50:51], off, off offset:32 ; 8-byte Folded Reload
	s_waitcnt vmcnt(0)
	v_lshl_add_u64 v[50:51], v[50:51], 0, v[44:45]
	global_load_dwordx2 v[50:51], v[50:51], off
.LBB36_38:                              ;   in Loop: Header=BB36_3 Depth=1
	s_or_b64 exec, exec, s[38:39]
	s_waitcnt vmcnt(0)
	scratch_store_dwordx2 off, v[52:53], off offset:80 ; 8-byte Folded Spill
	scratch_store_dwordx2 off, v[50:51], off offset:72 ; 8-byte Folded Spill
	v_lshl_add_u64 v[50:51], v[38:39], 0, s[94:95]
	v_cmp_gt_i64_e32 vcc, s[8:9], v[50:51]
	s_and_b64 s[40:41], s[6:7], vcc
	s_and_saveexec_b64 s[38:39], s[40:41]
	s_cbranch_execz .LBB36_40
; %bb.39:                               ;   in Loop: Header=BB36_3 Depth=1
	scratch_load_dwordx2 v[0:1], off, off offset:8 ; 8-byte Folded Reload
	s_waitcnt vmcnt(0)
	v_lshl_add_u64 v[0:1], v[0:1], 0, v[44:45]
	global_load_dwordx2 v[36:37], v[0:1], off
	s_nop 0
	scratch_load_dwordx2 v[0:1], off, off offset:16 ; 8-byte Folded Reload
	s_waitcnt vmcnt(0)
	v_lshl_add_u64 v[0:1], v[0:1], 0, v[44:45]
	global_load_dwordx2 v[0:1], v[0:1], off
.LBB36_40:                              ;   in Loop: Header=BB36_3 Depth=1
	s_or_b64 exec, exec, s[38:39]
	ds_bpermute_b32 v52, v48, v112
	ds_bpermute_b32 v53, v48, v113
	ds_bpermute_b32 v50, v48, v114
	ds_bpermute_b32 v51, v48, v115
	s_waitcnt lgkmcnt(2)
	v_add_f64 v[52:53], v[110:111], -v[52:53]
	v_mul_f64 v[52:53], v[6:7], v[52:53]
	s_waitcnt lgkmcnt(0)
	v_fma_f64 v[110:111], v[52:53], v[50:51], v[116:117]
	scratch_load_dwordx2 v[50:51], off, off ; 8-byte Folded Reload
	ds_bpermute_b32 v52, v48, v112 offset:4
	ds_bpermute_b32 v53, v48, v113 offset:4
	s_waitcnt lgkmcnt(0)
	v_add_f64 v[52:53], v[118:119], -v[52:53]
	v_mul_f64 v[52:53], v[8:9], v[52:53]
	s_waitcnt vmcnt(0)
	v_add_f64 v[6:7], v[50:51], v[6:7]
	ds_bpermute_b32 v50, v48, v114 offset:4
	ds_bpermute_b32 v51, v48, v115 offset:4
	v_add_f64 v[6:7], v[8:9], v[6:7]
	v_add_f64 v[6:7], v[10:11], v[6:7]
	;; [unrolled: 1-line block ×3, first 2 shown]
	ds_bpermute_b32 v8, v48, v114 offset:8
	s_waitcnt lgkmcnt(1)
	v_fmac_f64_e32 v[110:111], v[52:53], v[50:51]
	ds_bpermute_b32 v50, v48, v112 offset:8
	ds_bpermute_b32 v51, v48, v113 offset:8
	;; [unrolled: 1-line block ×3, first 2 shown]
	v_add_f64 v[6:7], v[14:15], v[6:7]
	v_add_f64 v[6:7], v[16:17], v[6:7]
	;; [unrolled: 1-line block ×3, first 2 shown]
	s_waitcnt lgkmcnt(1)
	v_add_f64 v[46:47], v[46:47], -v[50:51]
	v_mul_f64 v[46:47], v[10:11], v[46:47]
	ds_bpermute_b32 v10, v48, v112 offset:12
	ds_bpermute_b32 v11, v48, v113 offset:12
	s_waitcnt lgkmcnt(2)
	v_fmac_f64_e32 v[110:111], v[46:47], v[8:9]
	ds_bpermute_b32 v8, v48, v114 offset:12
	ds_bpermute_b32 v9, v48, v115 offset:12
	v_add_f64 v[6:7], v[20:21], v[6:7]
	s_waitcnt lgkmcnt(2)
	v_add_f64 v[10:11], v[40:41], -v[10:11]
	v_mul_f64 v[10:11], v[12:13], v[10:11]
	scratch_load_dwordx2 v[12:13], off, off offset:56 ; 8-byte Folded Reload
	s_waitcnt lgkmcnt(0)
	v_fmac_f64_e32 v[110:111], v[10:11], v[8:9]
	ds_bpermute_b32 v10, v48, v112 offset:16
	ds_bpermute_b32 v11, v48, v113 offset:16
	;; [unrolled: 1-line block ×4, first 2 shown]
	v_add_f64 v[6:7], v[22:23], v[6:7]
	v_add_f64 v[6:7], v[24:25], v[6:7]
	s_waitcnt lgkmcnt(2)
	v_add_f64 v[10:11], v[126:127], -v[10:11]
	v_mul_f64 v[10:11], v[14:15], v[10:11]
	s_waitcnt lgkmcnt(0)
	v_fmac_f64_e32 v[110:111], v[10:11], v[8:9]
	ds_bpermute_b32 v10, v48, v112 offset:20
	ds_bpermute_b32 v11, v48, v113 offset:20
	;; [unrolled: 1-line block ×4, first 2 shown]
	v_add_f64 v[6:7], v[26:27], v[6:7]
	v_add_f64 v[6:7], v[28:29], v[6:7]
	s_waitcnt lgkmcnt(2)
	v_add_f64 v[10:11], v[122:123], -v[10:11]
	v_mul_f64 v[10:11], v[16:17], v[10:11]
	s_waitcnt lgkmcnt(0)
	v_fmac_f64_e32 v[110:111], v[10:11], v[8:9]
	ds_bpermute_b32 v10, v48, v112 offset:24
	ds_bpermute_b32 v11, v48, v113 offset:24
	;; [unrolled: 1-line block ×4, first 2 shown]
	v_add_f64 v[6:7], v[30:31], v[6:7]
	s_waitcnt vmcnt(0) lgkmcnt(2)
	v_add_f64 v[10:11], v[12:13], -v[10:11]
	scratch_load_dwordx2 v[12:13], off, off offset:48 ; 8-byte Folded Reload
	v_mul_f64 v[10:11], v[18:19], v[10:11]
	s_waitcnt lgkmcnt(0)
	v_fmac_f64_e32 v[110:111], v[10:11], v[8:9]
	ds_bpermute_b32 v10, v48, v112 offset:28
	ds_bpermute_b32 v11, v48, v113 offset:28
	;; [unrolled: 1-line block ×4, first 2 shown]
	s_waitcnt lgkmcnt(2)
	v_add_f64 v[10:11], v[42:43], -v[10:11]
	v_mul_f64 v[10:11], v[20:21], v[10:11]
	s_waitcnt lgkmcnt(0)
	v_fmac_f64_e32 v[110:111], v[10:11], v[8:9]
	ds_bpermute_b32 v10, v48, v112 offset:32
	ds_bpermute_b32 v11, v48, v113 offset:32
	;; [unrolled: 1-line block ×6, first 2 shown]
	s_waitcnt vmcnt(0) lgkmcnt(4)
	v_add_f64 v[10:11], v[12:13], -v[10:11]
	scratch_load_dwordx2 v[12:13], off, off offset:40 ; 8-byte Folded Reload
	v_mul_f64 v[10:11], v[22:23], v[10:11]
	s_waitcnt lgkmcnt(2)
	v_fmac_f64_e32 v[110:111], v[10:11], v[8:9]
	ds_bpermute_b32 v10, v48, v112 offset:36
	ds_bpermute_b32 v11, v48, v113 offset:36
	;; [unrolled: 1-line block ×4, first 2 shown]
	s_waitcnt lgkmcnt(2)
	v_add_f64 v[10:11], v[124:125], -v[10:11]
	v_mul_f64 v[10:11], v[24:25], v[10:11]
	s_waitcnt lgkmcnt(0)
	v_fmac_f64_e32 v[110:111], v[10:11], v[8:9]
	ds_bpermute_b32 v10, v48, v112 offset:40
	ds_bpermute_b32 v11, v48, v113 offset:40
	;; [unrolled: 1-line block ×4, first 2 shown]
	s_waitcnt vmcnt(0) lgkmcnt(2)
	v_add_f64 v[10:11], v[12:13], -v[10:11]
	scratch_load_dwordx2 v[12:13], off, off offset:80 ; 8-byte Folded Reload
	v_mul_f64 v[10:11], v[26:27], v[10:11]
	s_waitcnt lgkmcnt(0)
	v_fmac_f64_e32 v[110:111], v[10:11], v[8:9]
	ds_bpermute_b32 v10, v48, v112 offset:44
	ds_bpermute_b32 v11, v48, v113 offset:44
	;; [unrolled: 1-line block ×4, first 2 shown]
	s_waitcnt lgkmcnt(2)
	v_add_f64 v[10:11], v[120:121], -v[10:11]
	v_mul_f64 v[10:11], v[28:29], v[10:11]
	s_waitcnt lgkmcnt(0)
	v_fmac_f64_e32 v[110:111], v[10:11], v[8:9]
	ds_bpermute_b32 v10, v48, v112 offset:48
	ds_bpermute_b32 v11, v48, v113 offset:48
	;; [unrolled: 1-line block ×4, first 2 shown]
	s_waitcnt vmcnt(0) lgkmcnt(2)
	v_add_f64 v[10:11], v[12:13], -v[10:11]
	v_mul_f64 v[10:11], v[30:31], v[10:11]
	s_waitcnt lgkmcnt(0)
	v_fmac_f64_e32 v[110:111], v[10:11], v[8:9]
	ds_bpermute_b32 v10, v48, v112 offset:52
	ds_bpermute_b32 v11, v48, v113 offset:52
	;; [unrolled: 1-line block ×4, first 2 shown]
	s_waitcnt lgkmcnt(2)
	v_add_f64 v[2:3], v[2:3], -v[10:11]
	scratch_load_dwordx2 v[10:11], off, off offset:72 ; 8-byte Folded Reload
	v_mul_f64 v[2:3], v[32:33], v[2:3]
	s_waitcnt lgkmcnt(0)
	v_fmac_f64_e32 v[110:111], v[2:3], v[8:9]
	ds_bpermute_b32 v8, v48, v112 offset:56
	ds_bpermute_b32 v9, v48, v113 offset:56
	v_add_f64 v[2:3], v[32:33], v[6:7]
	ds_bpermute_b32 v6, v48, v114 offset:56
	ds_bpermute_b32 v7, v48, v115 offset:56
	v_add_f64 v[2:3], v[34:35], v[2:3]
	s_waitcnt vmcnt(0) lgkmcnt(2)
	v_add_f64 v[8:9], v[10:11], -v[8:9]
	v_mul_f64 v[8:9], v[34:35], v[8:9]
	s_waitcnt lgkmcnt(0)
	v_fmac_f64_e32 v[110:111], v[8:9], v[6:7]
	ds_bpermute_b32 v6, v48, v112 offset:60
	ds_bpermute_b32 v7, v48, v113 offset:60
	s_branch .LBB36_79
.LBB36_41:                              ;   in Loop: Header=BB36_3 Depth=1
                                        ; implicit-def: $vgpr6_vgpr7_vgpr8_vgpr9_vgpr10_vgpr11_vgpr12_vgpr13_vgpr14_vgpr15_vgpr16_vgpr17_vgpr18_vgpr19_vgpr20_vgpr21_vgpr22_vgpr23_vgpr24_vgpr25_vgpr26_vgpr27_vgpr28_vgpr29_vgpr30_vgpr31_vgpr32_vgpr33_vgpr34_vgpr35_vgpr36_vgpr37
                                        ; implicit-def: $vgpr42_vgpr43
                                        ; implicit-def: $vgpr0_vgpr1
                                        ; implicit-def: $vgpr6
                                        ; implicit-def: $vgpr2_vgpr3
                                        ; implicit-def: $vgpr110_vgpr111
	s_cbranch_execz .LBB36_79
; %bb.42:                               ;   in Loop: Header=BB36_3 Depth=1
	s_load_dword s37, s[24:25], 0x0
	v_and_b32_e32 v1, 0x3ff, v49
	v_bfe_u32 v2, v49, 10, 10
	v_mov_b64_e32 v[118:119], 0
	v_mov_b64_e32 v[112:113], v[118:119]
	s_waitcnt lgkmcnt(0)
	s_cmp_lt_u32 s2, s37
	s_cselect_b32 s37, 12, 18
	s_add_u32 s38, s24, s37
	s_addc_u32 s39, s25, 0
	global_load_ushort v0, v5, s[38:39]
	v_mov_b64_e32 v[40:41], v[118:119]
	s_waitcnt vmcnt(0)
	v_mad_u32_u24 v0, v2, v0, v1
	v_and_b32_e32 v4, 63, v0
	v_cmp_gt_u32_e32 vcc, 16, v4
	s_and_saveexec_b64 s[38:39], vcc
	s_cbranch_execz .LBB36_46
; %bb.43:                               ;   in Loop: Header=BB36_3 Depth=1
	v_lshl_add_u64 v[0:1], v[38:39], 0, v[4:5]
	v_lshl_add_u64 v[0:1], v[0:1], 0, s[30:31]
	v_mov_b64_e32 v[40:41], 0
	v_cmp_gt_i64_e32 vcc, s[8:9], v[0:1]
	v_mov_b64_e32 v[112:113], v[40:41]
	s_and_saveexec_b64 s[40:41], vcc
	s_cbranch_execz .LBB36_45
; %bb.44:                               ;   in Loop: Header=BB36_3 Depth=1
	v_lshlrev_b64 v[0:1], 3, v[0:1]
	v_lshl_add_u64 v[2:3], s[18:19], 0, v[0:1]
	v_lshl_add_u64 v[0:1], s[16:17], 0, v[0:1]
	global_load_dwordx2 v[40:41], v[0:1], off
	global_load_dwordx2 v[112:113], v[2:3], off
.LBB36_45:                              ;   in Loop: Header=BB36_3 Depth=1
	s_or_b64 exec, exec, s[40:41]
.LBB36_46:                              ;   in Loop: Header=BB36_3 Depth=1
	s_or_b64 exec, exec, s[38:39]
	s_mov_b32 s37, s36
	s_mov_b32 s38, s36
	;; [unrolled: 1-line block ×31, first 2 shown]
	v_mov_b64_e32 v[6:7], s[36:37]
	v_mov_b64_e32 v[8:9], s[38:39]
	;; [unrolled: 1-line block ×17, first 2 shown]
	s_and_saveexec_b64 s[38:39], s[6:7]
	s_cbranch_execz .LBB36_48
; %bb.47:                               ;   in Loop: Header=BB36_3 Depth=1
	v_lshl_add_u64 v[0:1], v[106:107], 0, v[44:45]
	global_load_dwordx2 v[2:3], v[0:1], off
	v_lshl_add_u64 v[0:1], v[108:109], 0, v[44:45]
	global_load_dwordx2 v[124:125], v[0:1], off
	v_mov_b32_e32 v6, v5
	v_mov_b32_e32 v7, v5
	;; [unrolled: 1-line block ×29, first 2 shown]
	s_waitcnt vmcnt(1)
	v_mov_b64_e32 v[36:37], v[32:33]
	v_mov_b64_e32 v[34:35], v[30:31]
	;; [unrolled: 1-line block ×16, first 2 shown]
.LBB36_48:                              ;   in Loop: Header=BB36_3 Depth=1
	s_or_b64 exec, exec, s[38:39]
	s_and_saveexec_b64 s[38:39], s[6:7]
	s_cbranch_execz .LBB36_50
; %bb.49:                               ;   in Loop: Header=BB36_3 Depth=1
	v_lshl_add_u64 v[0:1], v[102:103], 0, v[44:45]
	global_load_dwordx2 v[8:9], v[0:1], off
	v_lshl_add_u64 v[0:1], v[104:105], 0, v[44:45]
	global_load_dwordx2 v[118:119], v[0:1], off
.LBB36_50:                              ;   in Loop: Header=BB36_3 Depth=1
	s_or_b64 exec, exec, s[38:39]
	v_mov_b64_e32 v[114:115], 0
	v_mov_b64_e32 v[42:43], v[114:115]
	s_and_saveexec_b64 s[38:39], s[6:7]
	s_cbranch_execz .LBB36_52
; %bb.51:                               ;   in Loop: Header=BB36_3 Depth=1
	v_lshl_add_u64 v[0:1], v[98:99], 0, v[44:45]
	global_load_dwordx2 v[10:11], v[0:1], off
	v_lshl_add_u64 v[0:1], v[100:101], 0, v[44:45]
	global_load_dwordx2 v[42:43], v[0:1], off
.LBB36_52:                              ;   in Loop: Header=BB36_3 Depth=1
	s_or_b64 exec, exec, s[38:39]
	s_and_saveexec_b64 s[38:39], s[6:7]
	s_cbranch_execz .LBB36_54
; %bb.53:                               ;   in Loop: Header=BB36_3 Depth=1
	v_lshl_add_u64 v[0:1], v[94:95], 0, v[44:45]
	global_load_dwordx2 v[12:13], v[0:1], off
	v_lshl_add_u64 v[0:1], v[96:97], 0, v[44:45]
	global_load_dwordx2 v[114:115], v[0:1], off
.LBB36_54:                              ;   in Loop: Header=BB36_3 Depth=1
	s_or_b64 exec, exec, s[38:39]
	v_mov_b64_e32 v[126:127], 0
	v_mov_b64_e32 v[46:47], v[126:127]
	s_and_saveexec_b64 s[38:39], s[6:7]
	s_cbranch_execz .LBB36_56
; %bb.55:                               ;   in Loop: Header=BB36_3 Depth=1
	v_lshl_add_u64 v[0:1], v[90:91], 0, v[44:45]
	global_load_dwordx2 v[14:15], v[0:1], off
	v_lshl_add_u64 v[0:1], v[92:93], 0, v[44:45]
	global_load_dwordx2 v[46:47], v[0:1], off
.LBB36_56:                              ;   in Loop: Header=BB36_3 Depth=1
	;; [unrolled: 20-line block ×3, first 2 shown]
	s_or_b64 exec, exec, s[38:39]
	s_and_saveexec_b64 s[38:39], s[6:7]
	s_cbranch_execz .LBB36_62
; %bb.61:                               ;   in Loop: Header=BB36_3 Depth=1
	v_lshl_add_u64 v[0:1], v[78:79], 0, v[44:45]
	global_load_dwordx2 v[20:21], v[0:1], off
	v_lshl_add_u64 v[0:1], v[80:81], 0, v[44:45]
	global_load_dwordx2 v[122:123], v[0:1], off
.LBB36_62:                              ;   in Loop: Header=BB36_3 Depth=1
	s_or_b64 exec, exec, s[38:39]
	v_mov_b64_e32 v[120:121], 0
	scratch_store_dwordx2 off, v[120:121], off offset:48 ; 8-byte Folded Spill
	s_and_saveexec_b64 s[38:39], s[6:7]
	s_cbranch_execz .LBB36_64
; %bb.63:                               ;   in Loop: Header=BB36_3 Depth=1
	v_lshl_add_u64 v[0:1], v[74:75], 0, v[44:45]
	global_load_dwordx2 v[22:23], v[0:1], off
	v_lshl_add_u64 v[0:1], v[76:77], 0, v[44:45]
	global_load_dwordx2 v[0:1], v[0:1], off
	s_waitcnt vmcnt(0)
	scratch_store_dwordx2 off, v[0:1], off offset:48 ; 8-byte Folded Spill
.LBB36_64:                              ;   in Loop: Header=BB36_3 Depth=1
	s_or_b64 exec, exec, s[38:39]
	s_and_saveexec_b64 s[38:39], s[6:7]
	s_cbranch_execz .LBB36_66
; %bb.65:                               ;   in Loop: Header=BB36_3 Depth=1
	v_lshl_add_u64 v[0:1], v[70:71], 0, v[44:45]
	global_load_dwordx2 v[24:25], v[0:1], off
	v_lshl_add_u64 v[0:1], v[72:73], 0, v[44:45]
	global_load_dwordx2 v[120:121], v[0:1], off
.LBB36_66:                              ;   in Loop: Header=BB36_3 Depth=1
	s_or_b64 exec, exec, s[38:39]
	v_mov_b64_e32 v[110:111], 0
	scratch_store_dwordx2 off, v[110:111], off offset:40 ; 8-byte Folded Spill
	s_and_saveexec_b64 s[38:39], s[6:7]
	s_cbranch_execz .LBB36_68
; %bb.67:                               ;   in Loop: Header=BB36_3 Depth=1
	v_lshl_add_u64 v[0:1], v[66:67], 0, v[44:45]
	global_load_dwordx2 v[26:27], v[0:1], off
	v_lshl_add_u64 v[0:1], v[68:69], 0, v[44:45]
	global_load_dwordx2 v[0:1], v[0:1], off
	s_waitcnt vmcnt(0)
	scratch_store_dwordx2 off, v[0:1], off offset:40 ; 8-byte Folded Spill
.LBB36_68:                              ;   in Loop: Header=BB36_3 Depth=1
	s_or_b64 exec, exec, s[38:39]
	s_and_saveexec_b64 s[38:39], s[6:7]
	s_cbranch_execz .LBB36_70
; %bb.69:                               ;   in Loop: Header=BB36_3 Depth=1
	v_lshl_add_u64 v[0:1], v[62:63], 0, v[44:45]
	global_load_dwordx2 v[28:29], v[0:1], off
	v_lshl_add_u64 v[0:1], v[64:65], 0, v[44:45]
	global_load_dwordx2 v[110:111], v[0:1], off
.LBB36_70:                              ;   in Loop: Header=BB36_3 Depth=1
	s_or_b64 exec, exec, s[38:39]
	v_mov_b64_e32 v[2:3], 0
	v_mov_b64_e32 v[52:53], v[2:3]
	s_and_saveexec_b64 s[38:39], s[6:7]
	s_cbranch_execz .LBB36_72
; %bb.71:                               ;   in Loop: Header=BB36_3 Depth=1
	v_lshl_add_u64 v[0:1], v[58:59], 0, v[44:45]
	global_load_dwordx2 v[30:31], v[0:1], off
	v_lshl_add_u64 v[0:1], v[60:61], 0, v[44:45]
	global_load_dwordx2 v[52:53], v[0:1], off
.LBB36_72:                              ;   in Loop: Header=BB36_3 Depth=1
	s_or_b64 exec, exec, s[38:39]
	s_and_saveexec_b64 s[38:39], s[6:7]
	s_cbranch_execz .LBB36_74
; %bb.73:                               ;   in Loop: Header=BB36_3 Depth=1
	v_lshl_add_u64 v[0:1], v[54:55], 0, v[44:45]
	global_load_dwordx2 v[32:33], v[0:1], off
	v_lshl_add_u64 v[0:1], v[56:57], 0, v[44:45]
	global_load_dwordx2 v[2:3], v[0:1], off
.LBB36_74:                              ;   in Loop: Header=BB36_3 Depth=1
	s_or_b64 exec, exec, s[38:39]
	v_mov_b64_e32 v[0:1], 0
	v_mov_b64_e32 v[50:51], v[0:1]
	s_and_saveexec_b64 s[38:39], s[6:7]
	s_cbranch_execz .LBB36_76
; %bb.75:                               ;   in Loop: Header=BB36_3 Depth=1
	scratch_load_dwordx2 v[34:35], off, off offset:24 ; 8-byte Folded Reload
	s_waitcnt vmcnt(0)
	v_lshl_add_u64 v[34:35], v[34:35], 0, v[44:45]
	global_load_dwordx2 v[34:35], v[34:35], off
	s_nop 0
	scratch_load_dwordx2 v[50:51], off, off offset:32 ; 8-byte Folded Reload
	s_waitcnt vmcnt(0)
	v_lshl_add_u64 v[50:51], v[50:51], 0, v[44:45]
	global_load_dwordx2 v[50:51], v[50:51], off
.LBB36_76:                              ;   in Loop: Header=BB36_3 Depth=1
	s_or_b64 exec, exec, s[38:39]
	s_waitcnt vmcnt(0)
	scratch_store_dwordx2 off, v[52:53], off offset:72 ; 8-byte Folded Spill
	scratch_store_dwordx2 off, v[50:51], off offset:56 ; 8-byte Folded Spill
	s_and_saveexec_b64 s[38:39], s[6:7]
	s_cbranch_execz .LBB36_78
; %bb.77:                               ;   in Loop: Header=BB36_3 Depth=1
	scratch_load_dwordx2 v[0:1], off, off offset:8 ; 8-byte Folded Reload
	s_waitcnt vmcnt(0)
	v_lshl_add_u64 v[0:1], v[0:1], 0, v[44:45]
	global_load_dwordx2 v[36:37], v[0:1], off
	s_nop 0
	scratch_load_dwordx2 v[0:1], off, off offset:16 ; 8-byte Folded Reload
	s_waitcnt vmcnt(0)
	v_lshl_add_u64 v[0:1], v[0:1], 0, v[44:45]
	global_load_dwordx2 v[0:1], v[0:1], off
.LBB36_78:                              ;   in Loop: Header=BB36_3 Depth=1
	s_or_b64 exec, exec, s[38:39]
	ds_bpermute_b32 v52, v48, v40
	ds_bpermute_b32 v53, v48, v41
	;; [unrolled: 1-line block ×4, first 2 shown]
	s_waitcnt lgkmcnt(2)
	v_add_f64 v[52:53], v[124:125], -v[52:53]
	v_mul_f64 v[52:53], v[6:7], v[52:53]
	s_waitcnt lgkmcnt(0)
	v_fmac_f64_e32 v[116:117], v[52:53], v[50:51]
	scratch_load_dwordx2 v[50:51], off, off ; 8-byte Folded Reload
	ds_bpermute_b32 v52, v48, v40 offset:4
	ds_bpermute_b32 v53, v48, v41 offset:4
	s_waitcnt lgkmcnt(0)
	v_add_f64 v[52:53], v[118:119], -v[52:53]
	v_mul_f64 v[52:53], v[8:9], v[52:53]
	s_waitcnt vmcnt(0)
	v_add_f64 v[6:7], v[50:51], v[6:7]
	ds_bpermute_b32 v50, v48, v112 offset:4
	ds_bpermute_b32 v51, v48, v113 offset:4
	v_add_f64 v[6:7], v[8:9], v[6:7]
	v_add_f64 v[6:7], v[10:11], v[6:7]
	;; [unrolled: 1-line block ×3, first 2 shown]
	ds_bpermute_b32 v8, v48, v112 offset:8
	s_waitcnt lgkmcnt(1)
	v_fmac_f64_e32 v[116:117], v[52:53], v[50:51]
	ds_bpermute_b32 v50, v48, v40 offset:8
	ds_bpermute_b32 v51, v48, v41 offset:8
	;; [unrolled: 1-line block ×3, first 2 shown]
	v_add_f64 v[6:7], v[14:15], v[6:7]
	v_add_f64 v[6:7], v[16:17], v[6:7]
	;; [unrolled: 1-line block ×3, first 2 shown]
	s_waitcnt lgkmcnt(1)
	v_add_f64 v[42:43], v[42:43], -v[50:51]
	v_mul_f64 v[42:43], v[10:11], v[42:43]
	ds_bpermute_b32 v10, v48, v40 offset:12
	ds_bpermute_b32 v11, v48, v41 offset:12
	s_waitcnt lgkmcnt(2)
	v_fmac_f64_e32 v[116:117], v[42:43], v[8:9]
	ds_bpermute_b32 v8, v48, v112 offset:12
	ds_bpermute_b32 v9, v48, v113 offset:12
	v_add_f64 v[6:7], v[20:21], v[6:7]
	s_waitcnt lgkmcnt(2)
	v_add_f64 v[10:11], v[114:115], -v[10:11]
	v_mul_f64 v[10:11], v[12:13], v[10:11]
	scratch_load_dwordx2 v[12:13], off, off offset:48 ; 8-byte Folded Reload
	s_waitcnt lgkmcnt(0)
	v_fmac_f64_e32 v[116:117], v[10:11], v[8:9]
	ds_bpermute_b32 v10, v48, v40 offset:16
	ds_bpermute_b32 v11, v48, v41 offset:16
	;; [unrolled: 1-line block ×4, first 2 shown]
	v_add_f64 v[6:7], v[22:23], v[6:7]
	v_add_f64 v[6:7], v[24:25], v[6:7]
	s_waitcnt lgkmcnt(2)
	v_add_f64 v[10:11], v[46:47], -v[10:11]
	v_mul_f64 v[10:11], v[14:15], v[10:11]
	s_waitcnt lgkmcnt(0)
	v_fmac_f64_e32 v[116:117], v[10:11], v[8:9]
	ds_bpermute_b32 v10, v48, v40 offset:20
	ds_bpermute_b32 v11, v48, v41 offset:20
	;; [unrolled: 1-line block ×4, first 2 shown]
	v_add_f64 v[6:7], v[26:27], v[6:7]
	v_add_f64 v[6:7], v[28:29], v[6:7]
	s_waitcnt lgkmcnt(2)
	v_add_f64 v[10:11], v[126:127], -v[10:11]
	v_mul_f64 v[10:11], v[16:17], v[10:11]
	s_waitcnt lgkmcnt(0)
	v_fmac_f64_e32 v[116:117], v[10:11], v[8:9]
	ds_bpermute_b32 v10, v48, v40 offset:24
	ds_bpermute_b32 v11, v48, v41 offset:24
	;; [unrolled: 1-line block ×4, first 2 shown]
	v_add_f64 v[6:7], v[30:31], v[6:7]
	ds_bpermute_b32 v42, v48, v112 offset:60
	s_waitcnt lgkmcnt(3)
	v_add_f64 v[10:11], v[38:39], -v[10:11]
	v_mul_f64 v[10:11], v[18:19], v[10:11]
	s_waitcnt lgkmcnt(1)
	v_fmac_f64_e32 v[116:117], v[10:11], v[8:9]
	ds_bpermute_b32 v10, v48, v40 offset:28
	ds_bpermute_b32 v11, v48, v41 offset:28
	;; [unrolled: 1-line block ×5, first 2 shown]
	s_waitcnt lgkmcnt(3)
	v_add_f64 v[10:11], v[122:123], -v[10:11]
	v_mul_f64 v[10:11], v[20:21], v[10:11]
	s_waitcnt lgkmcnt(1)
	v_fmac_f64_e32 v[116:117], v[10:11], v[8:9]
	ds_bpermute_b32 v10, v48, v40 offset:32
	ds_bpermute_b32 v11, v48, v41 offset:32
	;; [unrolled: 1-line block ×4, first 2 shown]
	s_waitcnt vmcnt(0) lgkmcnt(2)
	v_add_f64 v[10:11], v[12:13], -v[10:11]
	scratch_load_dwordx2 v[12:13], off, off offset:40 ; 8-byte Folded Reload
	v_mul_f64 v[10:11], v[22:23], v[10:11]
	s_waitcnt lgkmcnt(0)
	v_fmac_f64_e32 v[116:117], v[10:11], v[8:9]
	ds_bpermute_b32 v10, v48, v40 offset:36
	ds_bpermute_b32 v11, v48, v41 offset:36
	;; [unrolled: 1-line block ×4, first 2 shown]
	s_waitcnt lgkmcnt(2)
	v_add_f64 v[10:11], v[120:121], -v[10:11]
	v_mul_f64 v[10:11], v[24:25], v[10:11]
	s_waitcnt lgkmcnt(0)
	v_fmac_f64_e32 v[116:117], v[10:11], v[8:9]
	ds_bpermute_b32 v10, v48, v40 offset:40
	ds_bpermute_b32 v11, v48, v41 offset:40
	;; [unrolled: 1-line block ×4, first 2 shown]
	s_waitcnt vmcnt(0) lgkmcnt(2)
	v_add_f64 v[10:11], v[12:13], -v[10:11]
	scratch_load_dwordx2 v[12:13], off, off offset:72 ; 8-byte Folded Reload
	v_mul_f64 v[10:11], v[26:27], v[10:11]
	s_waitcnt lgkmcnt(0)
	v_fmac_f64_e32 v[116:117], v[10:11], v[8:9]
	ds_bpermute_b32 v10, v48, v40 offset:44
	ds_bpermute_b32 v11, v48, v41 offset:44
	;; [unrolled: 1-line block ×4, first 2 shown]
	s_waitcnt lgkmcnt(2)
	v_add_f64 v[10:11], v[110:111], -v[10:11]
	v_mul_f64 v[10:11], v[28:29], v[10:11]
	s_waitcnt lgkmcnt(0)
	v_fmac_f64_e32 v[116:117], v[10:11], v[8:9]
	ds_bpermute_b32 v10, v48, v40 offset:48
	ds_bpermute_b32 v11, v48, v41 offset:48
	ds_bpermute_b32 v8, v48, v112 offset:48
	ds_bpermute_b32 v9, v48, v113 offset:48
	s_waitcnt vmcnt(0) lgkmcnt(2)
	v_add_f64 v[10:11], v[12:13], -v[10:11]
	v_mul_f64 v[10:11], v[30:31], v[10:11]
	s_waitcnt lgkmcnt(0)
	v_fmac_f64_e32 v[116:117], v[10:11], v[8:9]
	ds_bpermute_b32 v10, v48, v40 offset:52
	ds_bpermute_b32 v11, v48, v41 offset:52
	;; [unrolled: 1-line block ×4, first 2 shown]
	s_waitcnt lgkmcnt(2)
	v_add_f64 v[2:3], v[2:3], -v[10:11]
	scratch_load_dwordx2 v[10:11], off, off offset:56 ; 8-byte Folded Reload
	v_mul_f64 v[2:3], v[32:33], v[2:3]
	s_waitcnt lgkmcnt(0)
	v_fmac_f64_e32 v[116:117], v[2:3], v[8:9]
	ds_bpermute_b32 v8, v48, v40 offset:56
	ds_bpermute_b32 v9, v48, v41 offset:56
	v_add_f64 v[2:3], v[32:33], v[6:7]
	ds_bpermute_b32 v6, v48, v112 offset:56
	ds_bpermute_b32 v7, v48, v113 offset:56
	v_add_f64 v[2:3], v[34:35], v[2:3]
	s_waitcnt vmcnt(0) lgkmcnt(2)
	v_add_f64 v[8:9], v[10:11], -v[8:9]
	v_mul_f64 v[8:9], v[34:35], v[8:9]
	s_waitcnt lgkmcnt(0)
	v_fmac_f64_e32 v[116:117], v[8:9], v[6:7]
	ds_bpermute_b32 v6, v48, v40 offset:60
	ds_bpermute_b32 v7, v48, v41 offset:60
	v_mov_b64_e32 v[110:111], v[116:117]
.LBB36_79:                              ;   in Loop: Header=BB36_3 Depth=1
	s_waitcnt lgkmcnt(0)
	v_add_f64 v[0:1], v[0:1], -v[6:7]
	v_mul_f64 v[0:1], v[36:37], v[0:1]
	v_fmac_f64_e32 v[110:111], v[0:1], v[42:43]
	v_add_f64 v[0:1], v[2:3], v[36:37]
	scratch_store_dwordx2 off, v[0:1], off  ; 8-byte Folded Spill
	scratch_load_dwordx2 v[0:1], off, off offset:8 ; 8-byte Folded Reload
	s_add_u32 s96, s96, s3
	s_addc_u32 s97, s97, 0
	s_add_u32 s28, s28, s3
	v_lshl_add_u64 v[54:55], v[54:55], 0, s[26:27]
	v_lshl_add_u64 v[56:57], v[56:57], 0, s[26:27]
	;; [unrolled: 1-line block ×26, first 2 shown]
	s_addc_u32 s29, s29, 0
	v_lshl_add_u64 v[106:107], v[106:107], 0, s[26:27]
	v_lshl_add_u64 v[108:109], v[108:109], 0, s[26:27]
	s_waitcnt vmcnt(0)
	v_lshl_add_u64 v[0:1], v[0:1], 0, s[26:27]
	scratch_store_dwordx2 off, v[0:1], off offset:8 ; 8-byte Folded Spill
	scratch_load_dwordx2 v[0:1], off, off offset:16 ; 8-byte Folded Reload
	s_waitcnt vmcnt(0)
	v_lshl_add_u64 v[0:1], v[0:1], 0, s[26:27]
	scratch_store_dwordx2 off, v[0:1], off offset:16 ; 8-byte Folded Spill
	scratch_load_dwordx2 v[0:1], off, off offset:24 ; 8-byte Folded Reload
	;; [unrolled: 4-line block ×3, first 2 shown]
	s_waitcnt vmcnt(0)
	v_lshl_add_u64 v[0:1], v[0:1], 0, s[26:27]
	scratch_store_dwordx2 off, v[0:1], off offset:32 ; 8-byte Folded Spill
	v_mov_b64_e32 v[0:1], s[8:9]
	v_cmp_lt_i64_e32 vcc, s[96:97], v[0:1]
	s_cbranch_vccz .LBB36_130
; %bb.80:                               ;   in Loop: Header=BB36_3 Depth=1
	v_mov_b64_e32 v[116:117], v[110:111]
	s_branch .LBB36_3
.LBB36_81:
	s_mov_b64 s[22:23], -1
                                        ; implicit-def: $vgpr102_vgpr103
                                        ; implicit-def: $vgpr110_vgpr111
.LBB36_82:
	s_andn2_b64 vcc, exec, s[22:23]
	s_cbranch_vccnz .LBB36_132
.LBB36_83:
	s_waitcnt vmcnt(0)
	v_mov_b64_e32 v[102:103], 0
	s_and_b64 vcc, exec, s[4:5]
	v_mov_b64_e32 v[110:111], v[102:103]
	s_cbranch_vccnz .LBB36_132
; %bb.84:
	v_and_b32_e32 v0, 0x3ff, v49
	v_add_u32_e32 v4, s33, v0
	v_mov_b32_e32 v5, 0
	v_bfe_u32 v15, v49, 10, 10
	v_lshlrev_b64 v[42:43], 3, v[4:5]
	v_lshlrev_b32_e32 v4, 7, v15
	scratch_store_dword off, v0, off offset:320 ; 4-byte Folded Spill
	v_lshl_add_u64 v[0:1], s[20:21], 3, v[4:5]
	v_lshl_add_u64 v[6:7], v[0:1], 0, 8
	v_mov_b64_e32 v[2:3], s[12:13]
	v_mad_u64_u32 v[8:9], s[4:5], s10, v6, v[2:3]
	v_mul_lo_u32 v4, s10, v7
	v_mul_lo_u32 v7, s11, v6
	v_add3_u32 v9, v7, v9, v4
	v_lshl_add_u64 v[10:11], v[0:1], 0, 16
	scratch_store_dwordx2 off, v[8:9], off offset:8 ; 8-byte Folded Spill
	v_mad_u64_u32 v[8:9], s[4:5], s10, v10, v[2:3]
	v_mul_lo_u32 v11, s10, v11
	v_mul_lo_u32 v14, s11, v10
	v_add3_u32 v9, v14, v9, v11
	scratch_store_dwordx2 off, v[8:9], off offset:16 ; 8-byte Folded Spill
	v_mov_b64_e32 v[8:9], s[14:15]
	v_mad_u64_u32 v[18:19], s[4:5], s10, v6, v[8:9]
	v_lshl_add_u64 v[12:13], v[0:1], 0, 24
	v_add3_u32 v19, v7, v19, v4
	v_mad_u64_u32 v[6:7], s[4:5], s10, v10, v[8:9]
	v_mul_lo_u32 v13, s10, v13
	v_mul_lo_u32 v4, s11, v12
	v_add3_u32 v7, v14, v7, v11
	v_mad_u64_u32 v[10:11], s[4:5], s10, v12, v[8:9]
	v_mad_u64_u32 v[16:17], s[4:5], s10, v12, v[2:3]
	scratch_store_dwordx2 off, v[6:7], off offset:40 ; 8-byte Folded Spill
	v_lshl_add_u64 v[6:7], v[0:1], 0, 32
	v_add3_u32 v11, v4, v11, v13
	v_add3_u32 v17, v4, v17, v13
	scratch_store_dwordx2 off, v[10:11], off offset:48 ; 8-byte Folded Spill
	v_mad_u64_u32 v[10:11], s[4:5], s10, v6, v[2:3]
	v_mul_lo_u32 v4, s10, v7
	v_mul_lo_u32 v7, s11, v6
	v_add3_u32 v11, v7, v11, v4
	scratch_store_dwordx2 off, v[10:11], off offset:56 ; 8-byte Folded Spill
	v_mad_u64_u32 v[10:11], s[4:5], s10, v6, v[8:9]
	v_add3_u32 v11, v7, v11, v4
	v_lshl_add_u64 v[6:7], v[0:1], 0, 40
	scratch_store_dwordx2 off, v[10:11], off offset:64 ; 8-byte Folded Spill
	v_mul_lo_u32 v4, s10, v7
	v_mul_lo_u32 v7, s11, v6
	v_mad_u64_u32 v[10:11], s[4:5], s10, v6, v[2:3]
	v_add3_u32 v11, v7, v11, v4
	scratch_store_dwordx2 off, v[10:11], off offset:72 ; 8-byte Folded Spill
	v_mad_u64_u32 v[10:11], s[4:5], s10, v6, v[8:9]
	v_add3_u32 v11, v7, v11, v4
	v_lshl_add_u64 v[6:7], v[0:1], 0, 48
	scratch_store_dwordx2 off, v[10:11], off offset:80 ; 8-byte Folded Spill
	v_mul_lo_u32 v4, s10, v7
	v_mul_lo_u32 v7, s11, v6
	v_mad_u64_u32 v[10:11], s[4:5], s10, v6, v[2:3]
	;; [unrolled: 9-line block ×4, first 2 shown]
	v_add3_u32 v11, v7, v11, v4
	scratch_store_dwordx2 off, v[10:11], off offset:120 ; 8-byte Folded Spill
	v_mad_u64_u32 v[10:11], s[4:5], s10, v6, v[8:9]
	s_mov_b64 s[4:5], 0x48
	v_add3_u32 v11, v7, v11, v4
	v_lshl_add_u64 v[6:7], v[0:1], 0, s[4:5]
	scratch_store_dwordx2 off, v[10:11], off offset:128 ; 8-byte Folded Spill
	v_mul_lo_u32 v4, s10, v7
	v_mul_lo_u32 v7, s11, v6
	v_mad_u64_u32 v[10:11], s[4:5], s10, v6, v[2:3]
	v_add3_u32 v11, v7, v11, v4
	scratch_store_dwordx2 off, v[10:11], off offset:136 ; 8-byte Folded Spill
	v_mad_u64_u32 v[10:11], s[4:5], s10, v6, v[8:9]
	s_mov_b64 s[4:5], 0x50
	v_add3_u32 v11, v7, v11, v4
	v_lshl_add_u64 v[6:7], v[0:1], 0, s[4:5]
	scratch_store_dwordx2 off, v[10:11], off offset:144 ; 8-byte Folded Spill
	v_mul_lo_u32 v4, s10, v7
	v_mul_lo_u32 v7, s11, v6
	v_mad_u64_u32 v[10:11], s[4:5], s10, v6, v[2:3]
	;; [unrolled: 10-line block ×6, first 2 shown]
	v_add3_u32 v11, v7, v11, v4
	scratch_store_dwordx2 off, v[10:11], off offset:216 ; 8-byte Folded Spill
	v_mad_u64_u32 v[10:11], s[4:5], s10, v6, v[8:9]
	s_mov_b64 s[4:5], 0x78
	s_nop 0
	v_lshl_add_u64 v[0:1], v[0:1], 0, s[4:5]
	v_add3_u32 v11, v7, v11, v4
	v_mad_u64_u32 v[2:3], s[4:5], s10, v0, v[2:3]
	v_mad_u64_u32 v[6:7], s[4:5], s10, v0, v[8:9]
	v_mul_lo_u32 v1, s10, v1
	v_mul_lo_u32 v0, s11, v0
	v_add3_u32 v3, v0, v3, v1
	v_add3_u32 v7, v0, v7, v1
	v_lshlrev_b32_e32 v0, 4, v15
	v_mov_b32_e32 v1, v5
	scratch_store_dwordx2 off, v[6:7], off offset:240 ; 8-byte Folded Spill
	v_lshl_add_u64 v[6:7], v[0:1], 0, s[20:21]
	scratch_store_dwordx2 off, v[0:1], off offset:324 ; 8-byte Folded Spill
	v_lshl_add_u64 v[0:1], v[6:7], 0, 15
	scratch_store_dwordx2 off, v[2:3], off offset:232 ; 8-byte Folded Spill
	v_mul_lo_u32 v2, s11, v0
	v_mul_lo_u32 v3, s10, v1
	v_mad_u64_u32 v[0:1], s[4:5], s10, v0, 0
	v_add3_u32 v1, v1, v3, v2
	v_lshl_add_u64 v[2:3], v[6:7], 0, 14
	v_mul_lo_u32 v4, s11, v2
	v_mul_lo_u32 v8, s10, v3
	v_mad_u64_u32 v[2:3], s[4:5], s10, v2, 0
	v_add3_u32 v3, v3, v8, v4
	v_lshl_add_u64 v[8:9], v[6:7], 0, 13
	scratch_store_dwordx2 off, v[10:11], off offset:224 ; 8-byte Folded Spill
	v_mul_lo_u32 v4, s11, v8
	v_mul_lo_u32 v10, s10, v9
	v_mad_u64_u32 v[8:9], s[4:5], s10, v8, 0
	v_add3_u32 v9, v9, v10, v4
	v_lshl_add_u64 v[10:11], v[6:7], 0, 12
	v_mul_lo_u32 v4, s11, v10
	v_mul_lo_u32 v12, s10, v11
	v_mad_u64_u32 v[10:11], s[4:5], s10, v10, 0
	v_add3_u32 v11, v11, v12, v4
	v_lshl_add_u64 v[12:13], v[6:7], 0, 11
	v_mul_lo_u32 v4, s11, v12
	v_mul_lo_u32 v14, s10, v13
	v_mad_u64_u32 v[12:13], s[4:5], s10, v12, 0
	v_mov_b32_e32 v99, v15
	v_add3_u32 v13, v13, v14, v4
	v_lshl_add_u64 v[14:15], v[6:7], 0, 10
	scratch_store_dwordx2 off, v[16:17], off offset:24 ; 8-byte Folded Spill
	v_mul_lo_u32 v4, s11, v14
	v_mul_lo_u32 v16, s10, v15
	v_mad_u64_u32 v[14:15], s[4:5], s10, v14, 0
	v_add3_u32 v15, v15, v16, v4
	v_lshl_add_u64 v[16:17], v[6:7], 0, 9
	scratch_store_dwordx2 off, v[18:19], off offset:32 ; 8-byte Folded Spill
	v_mul_lo_u32 v4, s11, v16
	v_mul_lo_u32 v18, s10, v17
	v_mad_u64_u32 v[16:17], s[4:5], s10, v16, 0
	v_add3_u32 v17, v17, v18, v4
	v_lshl_add_u64 v[18:19], v[6:7], 0, 8
	v_mul_lo_u32 v4, s11, v18
	v_mul_lo_u32 v20, s10, v19
	v_mad_u64_u32 v[18:19], s[4:5], s10, v18, 0
	v_add3_u32 v19, v19, v20, v4
	v_lshl_add_u64 v[20:21], v[6:7], 0, 7
	;; [unrolled: 5-line block ×3, first 2 shown]
	v_lshlrev_b64 v[0:1], 3, v[0:1]
	v_mul_lo_u32 v4, s11, v22
	v_mul_lo_u32 v24, s10, v23
	v_mad_u64_u32 v[22:23], s[4:5], s10, v22, 0
	v_lshl_add_u64 v[86:87], s[12:13], 0, v[0:1]
	v_lshl_add_u64 v[112:113], s[14:15], 0, v[0:1]
	v_lshlrev_b64 v[0:1], 3, v[2:3]
	v_add3_u32 v23, v23, v24, v4
	v_lshl_add_u64 v[24:25], v[6:7], 0, 5
	v_lshl_add_u64 v[114:115], s[12:13], 0, v[0:1]
	v_lshl_add_u64 v[116:117], s[14:15], 0, v[0:1]
	v_lshlrev_b64 v[0:1], 3, v[8:9]
	v_mul_lo_u32 v4, s11, v24
	v_mul_lo_u32 v26, s10, v25
	v_mad_u64_u32 v[24:25], s[4:5], s10, v24, 0
	v_lshl_add_u64 v[118:119], s[12:13], 0, v[0:1]
	v_lshl_add_u64 v[120:121], s[14:15], 0, v[0:1]
	v_lshlrev_b64 v[0:1], 3, v[10:11]
	v_add3_u32 v25, v25, v26, v4
	v_lshl_add_u64 v[26:27], v[6:7], 0, 4
	v_lshl_add_u64 v[122:123], s[12:13], 0, v[0:1]
	;; [unrolled: 1-line block ×3, first 2 shown]
	v_lshlrev_b64 v[0:1], 3, v[12:13]
	v_lshlrev_b64 v[2:3], 3, v[14:15]
	v_mul_lo_u32 v4, s11, v26
	v_mul_lo_u32 v28, s10, v27
	v_mad_u64_u32 v[26:27], s[4:5], s10, v26, 0
	v_lshl_add_u64 v[126:127], s[12:13], 0, v[0:1]
	v_lshl_add_u64 v[104:105], s[14:15], 0, v[0:1]
	v_lshl_add_u64 v[0:1], s[12:13], 0, v[2:3]
	v_lshl_add_u64 v[38:39], s[14:15], 0, v[2:3]
	v_lshlrev_b64 v[2:3], 3, v[16:17]
	v_add3_u32 v27, v27, v28, v4
	v_lshl_add_u64 v[28:29], v[6:7], 0, 3
	v_lshl_add_u64 v[44:45], s[12:13], 0, v[2:3]
	;; [unrolled: 1-line block ×3, first 2 shown]
	v_lshlrev_b64 v[2:3], 3, v[18:19]
	scratch_store_dword off, v49, off offset:348 ; 4-byte Folded Spill
	v_mul_lo_u32 v4, s11, v28
	v_mul_lo_u32 v30, s10, v29
	v_mad_u64_u32 v[28:29], s[4:5], s10, v28, 0
	v_lshl_add_u64 v[48:49], s[12:13], 0, v[2:3]
	v_lshl_add_u64 v[50:51], s[14:15], 0, v[2:3]
	v_lshlrev_b64 v[2:3], 3, v[20:21]
	v_add3_u32 v29, v29, v30, v4
	v_lshl_add_u64 v[30:31], v[6:7], 0, 2
	v_lshl_add_u64 v[52:53], s[12:13], 0, v[2:3]
	v_lshl_add_u64 v[54:55], s[14:15], 0, v[2:3]
	v_lshlrev_b64 v[2:3], 3, v[22:23]
	v_mul_lo_u32 v4, s11, v30
	v_mul_lo_u32 v32, s10, v31
	v_mad_u64_u32 v[30:31], s[4:5], s10, v30, 0
	s_load_dword s3, s[0:1], 0x44
	v_lshl_add_u64 v[56:57], s[12:13], 0, v[2:3]
	v_lshl_add_u64 v[58:59], s[14:15], 0, v[2:3]
	v_lshlrev_b64 v[2:3], 3, v[24:25]
	v_add3_u32 v31, v31, v32, v4
	v_mov_b64_e32 v[32:33], s[10:11]
	v_lshl_add_u64 v[60:61], s[12:13], 0, v[2:3]
	v_lshl_add_u64 v[62:63], s[14:15], 0, v[2:3]
	v_lshlrev_b64 v[2:3], 3, v[26:27]
	v_mad_u64_u32 v[32:33], s[4:5], s10, v6, v[32:33]
	v_mul_lo_u32 v4, s11, v6
	v_mul_lo_u32 v34, s10, v7
	v_lshl_add_u64 v[64:65], s[12:13], 0, v[2:3]
	v_lshl_add_u64 v[66:67], s[14:15], 0, v[2:3]
	v_lshlrev_b64 v[2:3], 3, v[28:29]
	v_mad_u64_u32 v[6:7], s[4:5], s10, v6, 0
	v_add3_u32 v33, v4, v33, v34
	v_lshl_add_u64 v[68:69], s[12:13], 0, v[2:3]
	v_lshl_add_u64 v[70:71], s[14:15], 0, v[2:3]
	v_lshlrev_b64 v[2:3], 3, v[30:31]
	s_add_u32 s4, s0, 64
	v_lshl_add_u64 v[72:73], s[12:13], 0, v[2:3]
	v_lshl_add_u64 v[74:75], s[14:15], 0, v[2:3]
	v_lshlrev_b64 v[2:3], 3, v[32:33]
	v_add3_u32 v7, v7, v34, v4
	s_addc_u32 s5, s1, 0
	s_waitcnt lgkmcnt(0)
	s_lshl_b32 s3, s3, 8
	v_lshl_add_u64 v[76:77], s[12:13], 0, v[2:3]
	v_lshl_add_u64 v[78:79], s[14:15], 0, v[2:3]
	v_mbcnt_lo_u32_b32 v2, -1, 0
	s_add_u32 s6, s20, 0xff
	s_mul_i32 s22, s11, s3
	s_mul_hi_u32 s23, s10, s3
	v_lshlrev_b64 v[6:7], 3, v[6:7]
	v_mbcnt_hi_u32_b32 v2, -1, v2
	s_addc_u32 s7, 0, 0
	s_add_i32 s23, s23, s22
	s_mul_i32 s22, s10, s3
	v_lshl_add_u64 v[106:107], s[12:13], 0, v[6:7]
	v_lshl_add_u64 v[108:109], s[14:15], 0, v[6:7]
	s_movk_i32 s12, 0xff01
	s_movk_i32 s14, 0xff02
	;; [unrolled: 1-line block ×16, first 2 shown]
	v_lshlrev_b32_e32 v2, 2, v2
	v_mov_b64_e32 v[110:111], 0
	s_mov_b32 s36, 0
	s_lshl_b64 s[22:23], s[22:23], 3
	s_mov_b32 s13, -1
	s_mov_b32 s15, -1
	;; [unrolled: 1-line block ×16, first 2 shown]
	v_and_b32_e32 v98, 0x100, v2
	v_mov_b64_e32 v[102:103], v[110:111]
	s_branch .LBB36_88
.LBB36_85:                              ;   in Loop: Header=BB36_88 Depth=1
	s_or_b64 exec, exec, s[40:41]
.LBB36_86:                              ;   in Loop: Header=BB36_88 Depth=1
	s_or_b64 exec, exec, s[38:39]
	v_lshl_add_u64 v[8:9], v[108:109], 0, v[42:43]
	global_load_dwordx2 v[28:29], v[8:9], off
	v_lshl_add_u64 v[8:9], v[106:107], 0, v[42:43]
	global_load_dwordx2 v[8:9], v[8:9], off
	s_nop 0
	scratch_load_dwordx2 v[10:11], off, off offset:32 ; 8-byte Folded Reload
	s_waitcnt vmcnt(4)
	ds_bpermute_b32 v40, v98, v6
	ds_bpermute_b32 v41, v98, v7
	s_waitcnt vmcnt(3)
	ds_bpermute_b32 v80, v98, v2
	ds_bpermute_b32 v81, v98, v3
	ds_bpermute_b32 v94, v98, v6 offset:16
	ds_bpermute_b32 v95, v98, v7 offset:16
	s_waitcnt vmcnt(2) lgkmcnt(4)
	v_add_f64 v[28:29], v[28:29], -v[40:41]
	s_waitcnt vmcnt(1)
	v_mul_f64 v[28:29], v[8:9], v[28:29]
	s_waitcnt vmcnt(0)
	v_lshl_add_u64 v[10:11], v[10:11], 0, v[42:43]
	global_load_dwordx2 v[30:31], v[10:11], off
	s_nop 0
	scratch_load_dwordx2 v[10:11], off, off offset:8 ; 8-byte Folded Reload
	s_waitcnt lgkmcnt(2)
	v_fmac_f64_e32 v[110:111], v[28:29], v[80:81]
	ds_bpermute_b32 v40, v98, v6 offset:4
	ds_bpermute_b32 v41, v98, v7 offset:4
	;; [unrolled: 1-line block ×4, first 2 shown]
	s_waitcnt vmcnt(1) lgkmcnt(2)
	v_add_f64 v[30:31], v[30:31], -v[40:41]
	s_waitcnt vmcnt(0)
	v_lshl_add_u64 v[10:11], v[10:11], 0, v[42:43]
	global_load_dwordx2 v[10:11], v[10:11], off
	s_nop 0
	scratch_load_dwordx2 v[12:13], off, off offset:40 ; 8-byte Folded Reload
	s_waitcnt vmcnt(1)
	v_mul_f64 v[30:31], v[10:11], v[30:31]
	s_waitcnt vmcnt(0)
	v_lshl_add_u64 v[12:13], v[12:13], 0, v[42:43]
	global_load_dwordx2 v[34:35], v[12:13], off
	s_nop 0
	scratch_load_dwordx2 v[12:13], off, off offset:16 ; 8-byte Folded Reload
	s_waitcnt vmcnt(0)
	v_lshl_add_u64 v[12:13], v[12:13], 0, v[42:43]
	global_load_dwordx2 v[12:13], v[12:13], off
	s_nop 0
	scratch_load_dwordx2 v[14:15], off, off offset:48 ; 8-byte Folded Reload
	;; [unrolled: 5-line block ×5, first 2 shown]
	s_waitcnt vmcnt(1)
	v_add_f64 v[32:33], v[32:33], -v[94:95]
	s_waitcnt vmcnt(0)
	v_lshl_add_u64 v[16:17], v[16:17], 0, v[42:43]
	global_load_dwordx2 v[16:17], v[16:17], off
	s_nop 0
	scratch_load_dwordx2 v[18:19], off, off offset:80 ; 8-byte Folded Reload
	ds_bpermute_b32 v94, v98, v2 offset:20
	ds_bpermute_b32 v95, v98, v3 offset:20
	s_waitcnt vmcnt(1)
	v_mul_f64 v[32:33], v[16:17], v[32:33]
	s_waitcnt vmcnt(0)
	v_lshl_add_u64 v[18:19], v[18:19], 0, v[42:43]
	global_load_dwordx2 v[24:25], v[18:19], off
	s_nop 0
	scratch_load_dwordx2 v[18:19], off, off offset:72 ; 8-byte Folded Reload
	s_waitcnt vmcnt(0)
	v_lshl_add_u64 v[18:19], v[18:19], 0, v[42:43]
	global_load_dwordx2 v[18:19], v[18:19], off
	s_nop 0
	scratch_load_dwordx2 v[20:21], off, off offset:96 ; 8-byte Folded Reload
	;; [unrolled: 5-line block ×4, first 2 shown]
	scratch_load_dwordx2 v[28:29], off, off offset:144 ; 8-byte Folded Reload
	s_waitcnt vmcnt(1)
	v_lshl_add_u64 v[84:85], v[36:37], 0, v[42:43]
	scratch_load_dwordx2 v[36:37], off, off offset:112 ; 8-byte Folded Reload
	s_waitcnt vmcnt(1)
	v_lshl_add_u64 v[82:83], v[28:29], 0, v[42:43]
	ds_bpermute_b32 v28, v98, v2 offset:4
	ds_bpermute_b32 v29, v98, v3 offset:4
	s_waitcnt lgkmcnt(0)
	v_fmac_f64_e32 v[110:111], v[30:31], v[28:29]
	scratch_load_dwordx2 v[30:31], off, off offset:152 ; 8-byte Folded Reload
	ds_bpermute_b32 v28, v98, v2 offset:8
	ds_bpermute_b32 v29, v98, v3 offset:8
	s_waitcnt vmcnt(1)
	v_lshl_add_u64 v[88:89], v[36:37], 0, v[42:43]
	scratch_load_dwordx2 v[36:37], off, off offset:120 ; 8-byte Folded Reload
	s_waitcnt vmcnt(1)
	v_lshl_add_u64 v[40:41], v[30:31], 0, v[42:43]
	v_add_f64 v[30:31], v[34:35], -v[80:81]
	scratch_load_dwordx2 v[34:35], off, off offset:160 ; 8-byte Folded Reload
	v_mul_f64 v[30:31], v[12:13], v[30:31]
	s_waitcnt lgkmcnt(0)
	v_fmac_f64_e32 v[110:111], v[30:31], v[28:29]
	s_waitcnt vmcnt(1)
	v_lshl_add_u64 v[90:91], v[36:37], 0, v[42:43]
	scratch_load_dwordx2 v[36:37], off, off offset:128 ; 8-byte Folded Reload
	s_waitcnt vmcnt(1)
	v_lshl_add_u64 v[80:81], v[34:35], 0, v[42:43]
	ds_bpermute_b32 v34, v98, v6 offset:12
	ds_bpermute_b32 v35, v98, v7 offset:12
	s_waitcnt vmcnt(0)
	v_lshl_add_u64 v[92:93], v[36:37], 0, v[42:43]
	scratch_load_dwordx2 v[36:37], off, off offset:136 ; 8-byte Folded Reload
	global_load_dwordx2 v[30:31], v[88:89], off
	global_load_dwordx2 v[28:29], v[84:85], off
	ds_bpermute_b32 v84, v98, v2 offset:12
	ds_bpermute_b32 v85, v98, v3 offset:12
	s_waitcnt lgkmcnt(2)
	v_add_f64 v[88:89], v[26:27], -v[34:35]
	global_load_dwordx2 v[26:27], v[90:91], off
	global_load_dwordx2 v[34:35], v[92:93], off
	v_mul_f64 v[88:89], v[14:15], v[88:89]
	ds_bpermute_b32 v92, v98, v6 offset:20
	s_waitcnt lgkmcnt(1)
	v_fmac_f64_e32 v[110:111], v[88:89], v[84:85]
	scratch_load_dwordx2 v[84:85], off, off offset:168 ; 8-byte Folded Reload
	ds_bpermute_b32 v93, v98, v7 offset:20
	s_waitcnt lgkmcnt(0)
	v_add_f64 v[24:25], v[24:25], -v[92:93]
	v_mul_f64 v[24:25], v[18:19], v[24:25]
	s_waitcnt vmcnt(5)
	v_lshl_add_u64 v[36:37], v[36:37], 0, v[42:43]
	global_load_dwordx2 v[82:83], v[82:83], off
	s_nop 0
	global_load_dwordx2 v[36:37], v[36:37], off
	s_waitcnt vmcnt(2)
	v_lshl_add_u64 v[90:91], v[84:85], 0, v[42:43]
	ds_bpermute_b32 v84, v98, v2 offset:16
	ds_bpermute_b32 v85, v98, v3 offset:16
	global_load_dwordx2 v[88:89], v[80:81], off
	s_waitcnt lgkmcnt(0)
	v_fmac_f64_e32 v[110:111], v[32:33], v[84:85]
	scratch_load_dwordx2 v[32:33], off, off offset:176 ; 8-byte Folded Reload
	v_fmac_f64_e32 v[110:111], v[24:25], v[94:95]
	s_waitcnt vmcnt(0)
	v_lshl_add_u64 v[84:85], v[32:33], 0, v[42:43]
	scratch_load_dwordx2 v[32:33], off, off offset:184 ; 8-byte Folded Reload
	s_waitcnt vmcnt(0)
	v_lshl_add_u64 v[92:93], v[32:33], 0, v[42:43]
	global_load_dwordx2 v[32:33], v[40:41], off
	s_nop 0
	global_load_dwordx2 v[84:85], v[84:85], off
	ds_bpermute_b32 v40, v98, v6 offset:24
	scratch_load_dwordx2 v[24:25], off, off offset:192 ; 8-byte Folded Reload
	ds_bpermute_b32 v41, v98, v7 offset:24
	s_waitcnt lgkmcnt(0)
	v_add_f64 v[22:23], v[22:23], -v[40:41]
	ds_bpermute_b32 v40, v98, v2 offset:24
	ds_bpermute_b32 v41, v98, v3 offset:24
	v_mul_f64 v[22:23], v[20:21], v[22:23]
	s_waitcnt lgkmcnt(0)
	v_fmac_f64_e32 v[110:111], v[22:23], v[40:41]
	s_waitcnt vmcnt(0)
	v_lshl_add_u64 v[24:25], v[24:25], 0, v[42:43]
	global_load_dwordx2 v[80:81], v[90:91], off
	s_nop 0
	global_load_dwordx2 v[90:91], v[24:25], off
	s_nop 0
	global_load_dwordx2 v[24:25], v[92:93], off
	scratch_load_dwordx2 v[22:23], off, off offset:200 ; 8-byte Folded Reload
	scratch_load_dwordx2 v[40:41], off, off offset:208 ; 8-byte Folded Reload
	s_waitcnt vmcnt(1)
	v_lshl_add_u64 v[22:23], v[22:23], 0, v[42:43]
	s_waitcnt vmcnt(0)
	v_lshl_add_u64 v[40:41], v[40:41], 0, v[42:43]
	global_load_dwordx2 v[92:93], v[40:41], off
	s_nop 0
	global_load_dwordx2 v[22:23], v[22:23], off
	v_add_f64 v[40:41], v[96:97], v[8:9]
	v_add_f64 v[10:11], v[40:41], v[10:11]
	scratch_load_dwordx2 v[8:9], off, off offset:216 ; 8-byte Folded Reload
	scratch_load_dwordx2 v[40:41], off, off offset:224 ; 8-byte Folded Reload
	v_add_f64 v[10:11], v[10:11], v[12:13]
	scratch_load_dwordx2 v[12:13], off, off offset:232 ; 8-byte Folded Reload
	v_add_f64 v[14:15], v[10:11], v[14:15]
	;; [unrolled: 2-line block ×3, first 2 shown]
	ds_bpermute_b32 v16, v98, v6 offset:28
	ds_bpermute_b32 v17, v98, v7 offset:28
	v_add_f64 v[14:15], v[14:15], v[18:19]
	v_add_f64 v[14:15], v[14:15], v[20:21]
	ds_bpermute_b32 v18, v98, v2 offset:28
	ds_bpermute_b32 v19, v98, v3 offset:28
	;; [unrolled: 1-line block ×4, first 2 shown]
	s_waitcnt lgkmcnt(4)
	v_add_f64 v[16:17], v[30:31], -v[16:17]
	v_mul_f64 v[16:17], v[28:29], v[16:17]
	s_waitcnt lgkmcnt(2)
	v_fmac_f64_e32 v[110:111], v[16:17], v[18:19]
	ds_bpermute_b32 v16, v98, v2 offset:32
	ds_bpermute_b32 v17, v98, v3 offset:32
	s_waitcnt lgkmcnt(2)
	v_add_f64 v[18:19], v[34:35], -v[20:21]
	ds_bpermute_b32 v20, v98, v6 offset:36
	ds_bpermute_b32 v21, v98, v7 offset:36
	v_add_f64 v[14:15], v[14:15], v[28:29]
	v_mul_f64 v[18:19], v[26:27], v[18:19]
	s_waitcnt lgkmcnt(2)
	v_fmac_f64_e32 v[110:111], v[18:19], v[16:17]
	v_add_f64 v[14:15], v[14:15], v[26:27]
	s_waitcnt lgkmcnt(0)
	v_add_f64 v[18:19], v[82:83], -v[20:21]
	v_mul_f64 v[18:19], v[36:37], v[18:19]
	v_add_f64 v[14:15], v[14:15], v[36:37]
	ds_bpermute_b32 v16, v98, v2 offset:36
	ds_bpermute_b32 v17, v98, v3 offset:36
	;; [unrolled: 1-line block ×6, first 2 shown]
	s_waitcnt lgkmcnt(4)
	v_fmac_f64_e32 v[110:111], v[18:19], v[16:17]
	ds_bpermute_b32 v16, v98, v2 offset:40
	ds_bpermute_b32 v17, v98, v3 offset:40
	s_waitcnt lgkmcnt(4)
	v_add_f64 v[18:19], v[88:89], -v[20:21]
	ds_bpermute_b32 v20, v98, v6 offset:44
	ds_bpermute_b32 v21, v98, v7 offset:44
	v_mul_f64 v[18:19], v[32:33], v[18:19]
	s_waitcnt lgkmcnt(2)
	v_fmac_f64_e32 v[110:111], v[18:19], v[16:17]
	ds_bpermute_b32 v16, v98, v2 offset:44
	ds_bpermute_b32 v17, v98, v3 offset:44
	s_waitcnt lgkmcnt(2)
	v_add_f64 v[18:19], v[84:85], -v[20:21]
	ds_bpermute_b32 v20, v98, v6 offset:48
	ds_bpermute_b32 v21, v98, v7 offset:48
	v_mul_f64 v[18:19], v[80:81], v[18:19]
	s_waitcnt lgkmcnt(2)
	v_fmac_f64_e32 v[110:111], v[18:19], v[16:17]
	ds_bpermute_b32 v18, v98, v2 offset:52
	ds_bpermute_b32 v19, v98, v3 offset:52
	s_waitcnt lgkmcnt(2)
	v_add_f64 v[16:17], v[90:91], -v[20:21]
	v_mul_f64 v[16:17], v[24:25], v[16:17]
	v_fmac_f64_e32 v[110:111], v[16:17], v[26:27]
	ds_bpermute_b32 v16, v98, v6 offset:52
	ds_bpermute_b32 v17, v98, v7 offset:52
	v_add_f64 v[14:15], v[14:15], v[32:33]
	v_add_f64 v[14:15], v[14:15], v[80:81]
	s_waitcnt vmcnt(5) lgkmcnt(0)
	v_add_f64 v[16:17], v[92:93], -v[16:17]
	s_waitcnt vmcnt(4)
	v_mul_f64 v[16:17], v[22:23], v[16:17]
	v_fmac_f64_e32 v[110:111], v[16:17], v[18:19]
	ds_bpermute_b32 v16, v98, v2 offset:56
	s_waitcnt vmcnt(3)
	v_lshl_add_u64 v[8:9], v[8:9], 0, v[42:43]
	s_waitcnt vmcnt(2)
	v_lshl_add_u64 v[40:41], v[40:41], 0, v[42:43]
	global_load_dwordx2 v[40:41], v[40:41], off
	s_waitcnt vmcnt(2)
	v_lshl_add_u64 v[12:13], v[12:13], 0, v[42:43]
	global_load_dwordx2 v[8:9], v[8:9], off
	;; [unrolled: 3-line block ×3, first 2 shown]
	ds_bpermute_b32 v17, v98, v3 offset:56
	global_load_dwordx2 v[36:37], v[12:13], off
	v_add_f64 v[12:13], v[14:15], v[24:25]
	ds_bpermute_b32 v14, v98, v6 offset:56
	ds_bpermute_b32 v15, v98, v7 offset:56
	ds_bpermute_b32 v6, v98, v6 offset:60
	ds_bpermute_b32 v7, v98, v7 offset:60
	ds_bpermute_b32 v18, v98, v2 offset:60
	ds_bpermute_b32 v19, v98, v3 offset:60
	v_add_f64 v[12:13], v[12:13], v[22:23]
	s_waitcnt vmcnt(3) lgkmcnt(4)
	v_add_f64 v[14:15], v[40:41], -v[14:15]
	s_waitcnt vmcnt(2)
	v_mul_f64 v[14:15], v[8:9], v[14:15]
	v_fmac_f64_e32 v[110:111], v[14:15], v[16:17]
	s_waitcnt vmcnt(1) lgkmcnt(2)
	v_add_f64 v[6:7], v[10:11], -v[6:7]
	v_add_f64 v[2:3], v[12:13], v[8:9]
	s_waitcnt vmcnt(0)
	v_mul_f64 v[6:7], v[36:37], v[6:7]
	s_waitcnt lgkmcnt(0)
	v_mul_f64 v[6:7], v[6:7], v[18:19]
	v_mov_b64_e32 v[40:41], v[110:111]
.LBB36_87:                              ;   in Loop: Header=BB36_88 Depth=1
	s_add_u32 s20, s20, s3
	v_add_f64 v[102:103], v[2:3], v[36:37]
	s_addc_u32 s21, s21, 0
	v_mov_b64_e32 v[2:3], s[8:9]
	v_cmp_ge_i64_e32 vcc, s[20:21], v[2:3]
	scratch_load_dwordx2 v[2:3], off, off offset:8 ; 8-byte Folded Reload
	s_add_u32 s6, s6, s3
	v_add_f64 v[110:111], v[40:41], v[6:7]
	s_addc_u32 s7, s7, 0
	v_lshl_add_u64 v[106:107], v[106:107], 0, s[22:23]
	v_lshl_add_u64 v[108:109], v[108:109], 0, s[22:23]
	;; [unrolled: 1-line block ×32, first 2 shown]
	s_and_b64 vcc, exec, vcc
	s_waitcnt vmcnt(0)
	v_lshl_add_u64 v[2:3], v[2:3], 0, s[22:23]
	scratch_store_dwordx2 off, v[2:3], off offset:8 ; 8-byte Folded Spill
	scratch_load_dwordx2 v[2:3], off, off offset:16 ; 8-byte Folded Reload
	s_waitcnt vmcnt(0)
	v_lshl_add_u64 v[2:3], v[2:3], 0, s[22:23]
	scratch_store_dwordx2 off, v[2:3], off offset:16 ; 8-byte Folded Spill
	scratch_load_dwordx2 v[2:3], off, off offset:24 ; 8-byte Folded Reload
	;; [unrolled: 4-line block ×29, first 2 shown]
	s_waitcnt vmcnt(0)
	v_lshl_add_u64 v[2:3], v[2:3], 0, s[22:23]
	scratch_store_dwordx2 off, v[2:3], off offset:240 ; 8-byte Folded Spill
	s_cbranch_vccnz .LBB36_131
.LBB36_88:                              ; =>This Inner Loop Header: Depth=1
	v_mov_b64_e32 v[2:3], s[8:9]
	v_cmp_ge_i64_e32 vcc, s[6:7], v[2:3]
	scratch_load_dwordx2 v[2:3], off, off offset:324 ; 8-byte Folded Reload
	s_nop 0
	scratch_store_dwordx2 off, v[102:103], off ; 8-byte Folded Spill
	s_waitcnt vmcnt(1)
	v_lshl_add_u64 v[80:81], v[2:3], 0, s[6:7]
	s_cbranch_vccz .LBB36_126
; %bb.89:                               ;   in Loop: Header=BB36_88 Depth=1
	scratch_load_dword v2, off, off offset:320 ; 4-byte Folded Reload
	s_load_dword s33, s[4:5], 0xc
	v_mov_b32_e32 v3, v99
	v_mov_b64_e32 v[88:89], 0
	v_mov_b64_e32 v[84:85], v[88:89]
	;; [unrolled: 1-line block ×3, first 2 shown]
	s_waitcnt lgkmcnt(0)
	s_and_b32 s33, s33, 0xffff
	s_waitcnt vmcnt(0)
	v_mad_u32_u24 v2, v3, s33, v2
	v_and_b32_e32 v4, 63, v2
	v_cmp_gt_u32_e32 vcc, 16, v4
	s_and_saveexec_b64 s[38:39], vcc
	s_cbranch_execz .LBB36_93
; %bb.90:                               ;   in Loop: Header=BB36_88 Depth=1
	v_lshl_add_u64 v[2:3], v[80:81], 0, v[4:5]
	v_lshl_add_u64 v[2:3], v[2:3], 0, s[12:13]
	v_mov_b64_e32 v[82:83], 0
	v_cmp_gt_i64_e32 vcc, s[8:9], v[2:3]
	v_mov_b64_e32 v[84:85], v[82:83]
	s_and_saveexec_b64 s[40:41], vcc
	s_cbranch_execz .LBB36_92
; %bb.91:                               ;   in Loop: Header=BB36_88 Depth=1
	v_lshlrev_b64 v[2:3], 3, v[2:3]
	v_lshl_add_u64 v[6:7], s[18:19], 0, v[2:3]
	v_lshl_add_u64 v[2:3], s[16:17], 0, v[2:3]
	global_load_dwordx2 v[82:83], v[2:3], off
	global_load_dwordx2 v[84:85], v[6:7], off
.LBB36_92:                              ;   in Loop: Header=BB36_88 Depth=1
	s_or_b64 exec, exec, s[40:41]
.LBB36_93:                              ;   in Loop: Header=BB36_88 Depth=1
	s_or_b64 exec, exec, s[38:39]
	s_mov_b32 s37, s36
	v_lshl_add_u64 v[2:3], v[80:81], 0, s[12:13]
	s_mov_b32 s38, s36
	s_mov_b32 s39, s36
	;; [unrolled: 1-line block ×30, first 2 shown]
	v_mov_b64_e32 v[6:7], s[36:37]
	v_cmp_gt_i64_e32 vcc, s[8:9], v[2:3]
	v_mov_b64_e32 v[8:9], s[38:39]
	v_mov_b64_e32 v[10:11], s[40:41]
	;; [unrolled: 1-line block ×15, first 2 shown]
	scratch_store_dwordx2 off, v[88:89], off offset:312 ; 8-byte Folded Spill
	s_and_saveexec_b64 s[38:39], vcc
	s_cbranch_execz .LBB36_95
; %bb.94:                               ;   in Loop: Header=BB36_88 Depth=1
	v_lshl_add_u64 v[6:7], v[108:109], 0, v[42:43]
	global_load_dwordx2 v[6:7], v[6:7], off
	v_lshl_add_u64 v[2:3], v[106:107], 0, v[42:43]
	global_load_dwordx2 v[2:3], v[2:3], off
	v_mov_b32_e32 v8, v5
	v_mov_b32_e32 v9, v5
	;; [unrolled: 1-line block ×27, first 2 shown]
	s_waitcnt vmcnt(1)
	scratch_store_dwordx2 off, v[6:7], off offset:312 ; 8-byte Folded Spill
	v_mov_b32_e32 v6, v5
	v_mov_b32_e32 v7, v5
	s_waitcnt vmcnt(1)
	v_mov_b64_e32 v[36:37], v[32:33]
	v_mov_b64_e32 v[34:35], v[30:31]
	;; [unrolled: 1-line block ×16, first 2 shown]
.LBB36_95:                              ;   in Loop: Header=BB36_88 Depth=1
	s_or_b64 exec, exec, s[38:39]
	v_lshl_add_u64 v[2:3], v[80:81], 0, s[14:15]
	v_cmp_gt_i64_e32 vcc, s[8:9], v[2:3]
	s_and_saveexec_b64 s[38:39], vcc
	s_cbranch_execz .LBB36_97
; %bb.96:                               ;   in Loop: Header=BB36_88 Depth=1
	v_lshl_add_u64 v[2:3], v[76:77], 0, v[42:43]
	global_load_dwordx2 v[8:9], v[2:3], off
	v_lshl_add_u64 v[2:3], v[78:79], 0, v[42:43]
	global_load_dwordx2 v[88:89], v[2:3], off
.LBB36_97:                              ;   in Loop: Header=BB36_88 Depth=1
	s_or_b64 exec, exec, s[38:39]
	v_lshl_add_u64 v[2:3], v[80:81], 0, s[24:25]
	v_cmp_gt_i64_e32 vcc, s[8:9], v[2:3]
	v_mov_b64_e32 v[96:97], 0
	scratch_store_dwordx2 off, v[96:97], off offset:304 ; 8-byte Folded Spill
	s_and_saveexec_b64 s[38:39], vcc
	s_cbranch_execz .LBB36_99
; %bb.98:                               ;   in Loop: Header=BB36_88 Depth=1
	v_lshl_add_u64 v[2:3], v[72:73], 0, v[42:43]
	global_load_dwordx2 v[10:11], v[2:3], off
	v_lshl_add_u64 v[2:3], v[74:75], 0, v[42:43]
	global_load_dwordx2 v[2:3], v[2:3], off
	s_waitcnt vmcnt(0)
	scratch_store_dwordx2 off, v[2:3], off offset:304 ; 8-byte Folded Spill
.LBB36_99:                              ;   in Loop: Header=BB36_88 Depth=1
	s_or_b64 exec, exec, s[38:39]
	v_lshl_add_u64 v[2:3], v[80:81], 0, s[26:27]
	v_cmp_gt_i64_e32 vcc, s[8:9], v[2:3]
	s_and_saveexec_b64 s[38:39], vcc
	s_cbranch_execz .LBB36_101
; %bb.100:                              ;   in Loop: Header=BB36_88 Depth=1
	v_lshl_add_u64 v[2:3], v[68:69], 0, v[42:43]
	global_load_dwordx2 v[12:13], v[2:3], off
	v_lshl_add_u64 v[2:3], v[70:71], 0, v[42:43]
	global_load_dwordx2 v[96:97], v[2:3], off
.LBB36_101:                             ;   in Loop: Header=BB36_88 Depth=1
	s_or_b64 exec, exec, s[38:39]
	v_lshl_add_u64 v[2:3], v[80:81], 0, s[28:29]
	v_cmp_gt_i64_e32 vcc, s[8:9], v[2:3]
	v_mov_b64_e32 v[94:95], 0
	scratch_store_dwordx2 off, v[94:95], off offset:296 ; 8-byte Folded Spill
	s_and_saveexec_b64 s[38:39], vcc
	s_cbranch_execz .LBB36_103
; %bb.102:                              ;   in Loop: Header=BB36_88 Depth=1
	v_lshl_add_u64 v[2:3], v[64:65], 0, v[42:43]
	global_load_dwordx2 v[14:15], v[2:3], off
	v_lshl_add_u64 v[2:3], v[66:67], 0, v[42:43]
	global_load_dwordx2 v[2:3], v[2:3], off
	s_waitcnt vmcnt(0)
	scratch_store_dwordx2 off, v[2:3], off offset:296 ; 8-byte Folded Spill
.LBB36_103:                             ;   in Loop: Header=BB36_88 Depth=1
	s_or_b64 exec, exec, s[38:39]
	v_lshl_add_u64 v[2:3], v[80:81], 0, s[30:31]
	v_cmp_gt_i64_e32 vcc, s[8:9], v[2:3]
	s_and_saveexec_b64 s[38:39], vcc
	s_cbranch_execz .LBB36_105
; %bb.104:                              ;   in Loop: Header=BB36_88 Depth=1
	v_lshl_add_u64 v[2:3], v[60:61], 0, v[42:43]
	global_load_dwordx2 v[16:17], v[2:3], off
	v_lshl_add_u64 v[2:3], v[62:63], 0, v[42:43]
	global_load_dwordx2 v[94:95], v[2:3], off
.LBB36_105:                             ;   in Loop: Header=BB36_88 Depth=1
	s_or_b64 exec, exec, s[38:39]
	v_lshl_add_u64 v[2:3], v[80:81], 0, s[34:35]
	v_cmp_gt_i64_e32 vcc, s[8:9], v[2:3]
	v_mov_b64_e32 v[92:93], 0
	scratch_store_dwordx2 off, v[92:93], off offset:288 ; 8-byte Folded Spill
	s_and_saveexec_b64 s[38:39], vcc
	s_cbranch_execz .LBB36_107
; %bb.106:                              ;   in Loop: Header=BB36_88 Depth=1
	v_lshl_add_u64 v[2:3], v[56:57], 0, v[42:43]
	global_load_dwordx2 v[18:19], v[2:3], off
	v_lshl_add_u64 v[2:3], v[58:59], 0, v[42:43]
	global_load_dwordx2 v[2:3], v[2:3], off
	s_waitcnt vmcnt(0)
	scratch_store_dwordx2 off, v[2:3], off offset:288 ; 8-byte Folded Spill
.LBB36_107:                             ;   in Loop: Header=BB36_88 Depth=1
	s_or_b64 exec, exec, s[38:39]
	v_lshl_add_u64 v[2:3], v[80:81], 0, s[68:69]
	v_cmp_gt_i64_e32 vcc, s[8:9], v[2:3]
	s_and_saveexec_b64 s[38:39], vcc
	s_cbranch_execz .LBB36_109
; %bb.108:                              ;   in Loop: Header=BB36_88 Depth=1
	v_lshl_add_u64 v[2:3], v[52:53], 0, v[42:43]
	global_load_dwordx2 v[20:21], v[2:3], off
	v_lshl_add_u64 v[2:3], v[54:55], 0, v[42:43]
	global_load_dwordx2 v[92:93], v[2:3], off
.LBB36_109:                             ;   in Loop: Header=BB36_88 Depth=1
	s_or_b64 exec, exec, s[38:39]
	v_lshl_add_u64 v[2:3], v[80:81], 0, s[70:71]
	v_cmp_gt_i64_e32 vcc, s[8:9], v[2:3]
	v_mov_b64_e32 v[90:91], 0
	scratch_store_dwordx2 off, v[90:91], off offset:280 ; 8-byte Folded Spill
	s_and_saveexec_b64 s[38:39], vcc
	s_cbranch_execz .LBB36_111
; %bb.110:                              ;   in Loop: Header=BB36_88 Depth=1
	v_lshl_add_u64 v[2:3], v[48:49], 0, v[42:43]
	global_load_dwordx2 v[22:23], v[2:3], off
	v_lshl_add_u64 v[2:3], v[50:51], 0, v[42:43]
	global_load_dwordx2 v[2:3], v[2:3], off
	s_waitcnt vmcnt(0)
	scratch_store_dwordx2 off, v[2:3], off offset:280 ; 8-byte Folded Spill
.LBB36_111:                             ;   in Loop: Header=BB36_88 Depth=1
	s_or_b64 exec, exec, s[38:39]
	v_lshl_add_u64 v[2:3], v[80:81], 0, s[72:73]
	v_cmp_gt_i64_e32 vcc, s[8:9], v[2:3]
	s_and_saveexec_b64 s[38:39], vcc
	s_cbranch_execz .LBB36_113
; %bb.112:                              ;   in Loop: Header=BB36_88 Depth=1
	v_lshl_add_u64 v[2:3], v[44:45], 0, v[42:43]
	global_load_dwordx2 v[24:25], v[2:3], off
	v_lshl_add_u64 v[2:3], v[46:47], 0, v[42:43]
	global_load_dwordx2 v[90:91], v[2:3], off
.LBB36_113:                             ;   in Loop: Header=BB36_88 Depth=1
	s_or_b64 exec, exec, s[38:39]
	v_lshl_add_u64 v[2:3], v[80:81], 0, s[74:75]
	v_cmp_gt_i64_e32 vcc, s[8:9], v[2:3]
	v_mov_b64_e32 v[2:3], 0
	scratch_store_dwordx2 off, v[2:3], off offset:272 ; 8-byte Folded Spill
	s_and_saveexec_b64 s[38:39], vcc
	s_cbranch_execz .LBB36_115
; %bb.114:                              ;   in Loop: Header=BB36_88 Depth=1
	v_lshl_add_u64 v[26:27], v[0:1], 0, v[42:43]
	v_lshl_add_u64 v[100:101], v[38:39], 0, v[42:43]
	global_load_dwordx2 v[26:27], v[26:27], off
	s_nop 0
	global_load_dwordx2 v[40:41], v[100:101], off
	s_waitcnt vmcnt(0)
	scratch_store_dwordx2 off, v[40:41], off offset:272 ; 8-byte Folded Spill
.LBB36_115:                             ;   in Loop: Header=BB36_88 Depth=1
	s_or_b64 exec, exec, s[38:39]
	v_lshl_add_u64 v[100:101], v[80:81], 0, s[76:77]
	v_cmp_gt_i64_e32 vcc, s[8:9], v[100:101]
	s_and_saveexec_b64 s[38:39], vcc
	s_cbranch_execz .LBB36_117
; %bb.116:                              ;   in Loop: Header=BB36_88 Depth=1
	v_lshl_add_u64 v[2:3], v[126:127], 0, v[42:43]
	global_load_dwordx2 v[28:29], v[2:3], off
	v_lshl_add_u64 v[2:3], v[104:105], 0, v[42:43]
	global_load_dwordx2 v[2:3], v[2:3], off
.LBB36_117:                             ;   in Loop: Header=BB36_88 Depth=1
	s_or_b64 exec, exec, s[38:39]
	v_lshl_add_u64 v[100:101], v[80:81], 0, s[78:79]
	v_cmp_gt_i64_e32 vcc, s[8:9], v[100:101]
	v_mov_b64_e32 v[40:41], 0
	scratch_store_dwordx2 off, v[40:41], off offset:248 ; 8-byte Folded Spill
	scratch_store_dwordx2 off, v[40:41], off offset:264 ; 8-byte Folded Spill
	s_and_saveexec_b64 s[38:39], vcc
	s_cbranch_execz .LBB36_119
; %bb.118:                              ;   in Loop: Header=BB36_88 Depth=1
	v_lshl_add_u64 v[30:31], v[122:123], 0, v[42:43]
	v_lshl_add_u64 v[100:101], v[124:125], 0, v[42:43]
	global_load_dwordx2 v[30:31], v[30:31], off
	s_nop 0
	global_load_dwordx2 v[40:41], v[100:101], off
	s_waitcnt vmcnt(0)
	scratch_store_dwordx2 off, v[40:41], off offset:264 ; 8-byte Folded Spill
.LBB36_119:                             ;   in Loop: Header=BB36_88 Depth=1
	s_or_b64 exec, exec, s[38:39]
	v_lshl_add_u64 v[100:101], v[80:81], 0, s[80:81]
	v_cmp_gt_i64_e32 vcc, s[8:9], v[100:101]
	s_and_saveexec_b64 s[38:39], vcc
	s_cbranch_execz .LBB36_121
; %bb.120:                              ;   in Loop: Header=BB36_88 Depth=1
	v_lshl_add_u64 v[32:33], v[118:119], 0, v[42:43]
	v_lshl_add_u64 v[100:101], v[120:121], 0, v[42:43]
	global_load_dwordx2 v[32:33], v[32:33], off
	s_nop 0
	global_load_dwordx2 v[40:41], v[100:101], off
	s_waitcnt vmcnt(0)
	scratch_store_dwordx2 off, v[40:41], off offset:248 ; 8-byte Folded Spill
.LBB36_121:                             ;   in Loop: Header=BB36_88 Depth=1
	s_or_b64 exec, exec, s[38:39]
	v_lshl_add_u64 v[100:101], v[80:81], 0, s[82:83]
	v_cmp_gt_i64_e32 vcc, s[8:9], v[100:101]
	v_mov_b64_e32 v[40:41], 0
	scratch_store_dwordx2 off, v[40:41], off offset:256 ; 8-byte Folded Spill
	s_and_saveexec_b64 s[38:39], vcc
	s_cbranch_execz .LBB36_123
; %bb.122:                              ;   in Loop: Header=BB36_88 Depth=1
	v_lshl_add_u64 v[34:35], v[114:115], 0, v[42:43]
	v_lshl_add_u64 v[100:101], v[116:117], 0, v[42:43]
	global_load_dwordx2 v[34:35], v[34:35], off
	s_nop 0
	global_load_dwordx2 v[100:101], v[100:101], off
	s_waitcnt vmcnt(0)
	scratch_store_dwordx2 off, v[100:101], off offset:256 ; 8-byte Folded Spill
.LBB36_123:                             ;   in Loop: Header=BB36_88 Depth=1
	s_or_b64 exec, exec, s[38:39]
	v_lshl_add_u64 v[100:101], v[80:81], 0, s[84:85]
	v_cmp_gt_i64_e32 vcc, s[8:9], v[100:101]
	s_waitcnt vmcnt(3)
	scratch_store_dwordx2 off, v[2:3], off offset:340 ; 8-byte Folded Spill
	s_and_saveexec_b64 s[38:39], vcc
	s_cbranch_execz .LBB36_125
; %bb.124:                              ;   in Loop: Header=BB36_88 Depth=1
	v_lshl_add_u64 v[36:37], v[86:87], 0, v[42:43]
	v_lshl_add_u64 v[100:101], v[112:113], 0, v[42:43]
	global_load_dwordx2 v[36:37], v[36:37], off
	s_nop 0
	global_load_dwordx2 v[40:41], v[100:101], off
.LBB36_125:                             ;   in Loop: Header=BB36_88 Depth=1
	s_or_b64 exec, exec, s[38:39]
	scratch_load_dwordx2 v[2:3], off, off offset:312 ; 8-byte Folded Reload
	ds_bpermute_b32 v100, v98, v84
	s_waitcnt vmcnt(1)
	scratch_store_dwordx2 off, v[40:41], off offset:332 ; 8-byte Folded Spill
	ds_bpermute_b32 v40, v98, v82
	ds_bpermute_b32 v41, v98, v83
	;; [unrolled: 1-line block ×3, first 2 shown]
	s_waitcnt vmcnt(1) lgkmcnt(1)
	v_add_f64 v[40:41], v[2:3], -v[40:41]
	v_mul_f64 v[40:41], v[6:7], v[40:41]
	v_add_f64 v[6:7], v[102:103], v[6:7]
	ds_bpermute_b32 v102, v98, v82 offset:4
	ds_bpermute_b32 v103, v98, v83 offset:4
	s_waitcnt lgkmcnt(2)
	v_fma_f64 v[40:41], v[40:41], v[100:101], v[110:111]
	ds_bpermute_b32 v100, v98, v84 offset:4
	ds_bpermute_b32 v101, v98, v85 offset:4
	v_add_f64 v[6:7], v[8:9], v[6:7]
	s_waitcnt lgkmcnt(2)
	v_add_f64 v[88:89], v[88:89], -v[102:103]
	v_mul_f64 v[88:89], v[8:9], v[88:89]
	v_add_f64 v[6:7], v[10:11], v[6:7]
	s_waitcnt lgkmcnt(0)
	v_fmac_f64_e32 v[40:41], v[88:89], v[100:101]
	scratch_load_dwordx2 v[100:101], off, off offset:304 ; 8-byte Folded Reload
	ds_bpermute_b32 v88, v98, v82 offset:8
	ds_bpermute_b32 v89, v98, v83 offset:8
	v_add_f64 v[6:7], v[12:13], v[6:7]
	ds_bpermute_b32 v8, v98, v84 offset:8
	ds_bpermute_b32 v9, v98, v85 offset:8
	v_add_f64 v[6:7], v[14:15], v[6:7]
	v_add_f64 v[6:7], v[16:17], v[6:7]
	;; [unrolled: 1-line block ×7, first 2 shown]
	scratch_load_dwordx2 v[2:3], off, off offset:340 ; 8-byte Folded Reload
	s_waitcnt vmcnt(1) lgkmcnt(2)
	v_add_f64 v[88:89], v[100:101], -v[88:89]
	v_mul_f64 v[88:89], v[10:11], v[88:89]
	ds_bpermute_b32 v10, v98, v82 offset:12
	ds_bpermute_b32 v11, v98, v83 offset:12
	s_waitcnt lgkmcnt(2)
	v_fmac_f64_e32 v[40:41], v[88:89], v[8:9]
	ds_bpermute_b32 v8, v98, v84 offset:12
	ds_bpermute_b32 v9, v98, v85 offset:12
	s_waitcnt lgkmcnt(2)
	v_add_f64 v[10:11], v[96:97], -v[10:11]
	v_mul_f64 v[10:11], v[12:13], v[10:11]
	scratch_load_dwordx2 v[12:13], off, off offset:296 ; 8-byte Folded Reload
	s_waitcnt lgkmcnt(0)
	v_fmac_f64_e32 v[40:41], v[10:11], v[8:9]
	ds_bpermute_b32 v10, v98, v82 offset:16
	ds_bpermute_b32 v11, v98, v83 offset:16
	ds_bpermute_b32 v8, v98, v84 offset:16
	ds_bpermute_b32 v9, v98, v85 offset:16
	s_waitcnt vmcnt(0) lgkmcnt(2)
	v_add_f64 v[10:11], v[12:13], -v[10:11]
	scratch_load_dwordx2 v[12:13], off, off offset:288 ; 8-byte Folded Reload
	v_mul_f64 v[10:11], v[14:15], v[10:11]
	s_waitcnt lgkmcnt(0)
	v_fmac_f64_e32 v[40:41], v[10:11], v[8:9]
	ds_bpermute_b32 v10, v98, v82 offset:20
	ds_bpermute_b32 v11, v98, v83 offset:20
	ds_bpermute_b32 v8, v98, v84 offset:20
	ds_bpermute_b32 v9, v98, v85 offset:20
	s_waitcnt lgkmcnt(2)
	v_add_f64 v[10:11], v[94:95], -v[10:11]
	v_mul_f64 v[10:11], v[16:17], v[10:11]
	s_waitcnt lgkmcnt(0)
	v_fmac_f64_e32 v[40:41], v[10:11], v[8:9]
	ds_bpermute_b32 v10, v98, v82 offset:24
	ds_bpermute_b32 v11, v98, v83 offset:24
	ds_bpermute_b32 v8, v98, v84 offset:24
	ds_bpermute_b32 v9, v98, v85 offset:24
	s_waitcnt vmcnt(0) lgkmcnt(2)
	v_add_f64 v[10:11], v[12:13], -v[10:11]
	scratch_load_dwordx2 v[12:13], off, off offset:280 ; 8-byte Folded Reload
	v_mul_f64 v[10:11], v[18:19], v[10:11]
	s_waitcnt lgkmcnt(0)
	v_fmac_f64_e32 v[40:41], v[10:11], v[8:9]
	ds_bpermute_b32 v10, v98, v82 offset:28
	ds_bpermute_b32 v11, v98, v83 offset:28
	ds_bpermute_b32 v8, v98, v84 offset:28
	ds_bpermute_b32 v9, v98, v85 offset:28
	s_waitcnt lgkmcnt(2)
	v_add_f64 v[10:11], v[92:93], -v[10:11]
	v_mul_f64 v[10:11], v[20:21], v[10:11]
	;; [unrolled: 19-line block ×3, first 2 shown]
	s_waitcnt lgkmcnt(0)
	v_fmac_f64_e32 v[40:41], v[10:11], v[8:9]
	ds_bpermute_b32 v10, v98, v82 offset:40
	ds_bpermute_b32 v11, v98, v83 offset:40
	;; [unrolled: 1-line block ×4, first 2 shown]
	s_waitcnt vmcnt(0) lgkmcnt(2)
	v_add_f64 v[10:11], v[12:13], -v[10:11]
	v_mul_f64 v[10:11], v[26:27], v[10:11]
	s_waitcnt lgkmcnt(0)
	v_fmac_f64_e32 v[40:41], v[10:11], v[8:9]
	ds_bpermute_b32 v10, v98, v82 offset:44
	ds_bpermute_b32 v11, v98, v83 offset:44
	;; [unrolled: 1-line block ×4, first 2 shown]
	s_waitcnt lgkmcnt(2)
	v_add_f64 v[2:3], v[2:3], -v[10:11]
	scratch_load_dwordx2 v[10:11], off, off offset:264 ; 8-byte Folded Reload
	v_mul_f64 v[2:3], v[28:29], v[2:3]
	s_waitcnt lgkmcnt(0)
	v_fmac_f64_e32 v[40:41], v[2:3], v[8:9]
	ds_bpermute_b32 v8, v98, v82 offset:48
	ds_bpermute_b32 v9, v98, v83 offset:48
	v_add_f64 v[2:3], v[28:29], v[6:7]
	ds_bpermute_b32 v6, v98, v84 offset:48
	ds_bpermute_b32 v7, v98, v85 offset:48
	v_add_f64 v[2:3], v[30:31], v[2:3]
	v_add_f64 v[2:3], v[32:33], v[2:3]
	v_add_f64 v[2:3], v[34:35], v[2:3]
	s_waitcnt vmcnt(0) lgkmcnt(2)
	v_add_f64 v[8:9], v[10:11], -v[8:9]
	scratch_load_dwordx2 v[10:11], off, off offset:248 ; 8-byte Folded Reload
	v_mul_f64 v[8:9], v[30:31], v[8:9]
	s_waitcnt lgkmcnt(0)
	v_fmac_f64_e32 v[40:41], v[8:9], v[6:7]
	ds_bpermute_b32 v8, v98, v82 offset:52
	ds_bpermute_b32 v9, v98, v83 offset:52
	ds_bpermute_b32 v6, v98, v84 offset:52
	ds_bpermute_b32 v7, v98, v85 offset:52
	s_waitcnt vmcnt(0) lgkmcnt(2)
	v_add_f64 v[8:9], v[10:11], -v[8:9]
	scratch_load_dwordx2 v[10:11], off, off offset:256 ; 8-byte Folded Reload
	v_mul_f64 v[8:9], v[32:33], v[8:9]
	s_waitcnt lgkmcnt(0)
	v_fmac_f64_e32 v[40:41], v[8:9], v[6:7]
	ds_bpermute_b32 v8, v98, v82 offset:56
	ds_bpermute_b32 v9, v98, v83 offset:56
	ds_bpermute_b32 v6, v98, v84 offset:56
	ds_bpermute_b32 v7, v98, v85 offset:56
	;; [unrolled: 10-line block ×3, first 2 shown]
	s_waitcnt vmcnt(0) lgkmcnt(2)
	v_add_f64 v[8:9], v[10:11], -v[8:9]
	v_mul_f64 v[8:9], v[36:37], v[8:9]
	s_waitcnt lgkmcnt(0)
	v_mul_f64 v[6:7], v[8:9], v[6:7]
	s_branch .LBB36_87
.LBB36_126:                             ;   in Loop: Header=BB36_88 Depth=1
                                        ; implicit-def: $vgpr36_vgpr37
                                        ; implicit-def: $vgpr6_vgpr7
                                        ; implicit-def: $vgpr2_vgpr3
                                        ; implicit-def: $vgpr40_vgpr41
	s_cbranch_execz .LBB36_87
; %bb.127:                              ;   in Loop: Header=BB36_88 Depth=1
	s_load_dword s33, s[4:5], 0x0
	scratch_load_dword v6, off, off offset:320 ; 4-byte Folded Reload
	v_mov_b32_e32 v7, v99
	v_mov_b64_e32 v[2:3], 0
	s_waitcnt lgkmcnt(0)
	s_cmp_lt_u32 s2, s33
	s_cselect_b32 s33, 12, 18
	s_add_u32 s38, s4, s33
	s_addc_u32 s39, s5, 0
	global_load_ushort v4, v5, s[38:39]
	s_waitcnt vmcnt(0)
	v_mad_u32_u24 v4, v7, v4, v6
	v_and_b32_e32 v4, 63, v4
	v_mov_b64_e32 v[6:7], v[2:3]
	v_cmp_gt_u32_e32 vcc, 16, v4
	s_mov_b64 s[38:39], exec
	scratch_load_dwordx2 v[96:97], off, off ; 8-byte Folded Reload
	s_and_b64 s[40:41], s[38:39], vcc
	s_mov_b64 exec, s[40:41]
	s_cbranch_execz .LBB36_86
; %bb.128:                              ;   in Loop: Header=BB36_88 Depth=1
	v_lshl_add_u64 v[2:3], v[80:81], 0, v[4:5]
	v_lshl_add_u64 v[8:9], v[2:3], 0, s[12:13]
	v_mov_b64_e32 v[6:7], 0
	v_cmp_gt_i64_e32 vcc, s[8:9], v[8:9]
	v_mov_b64_e32 v[2:3], v[6:7]
	s_and_saveexec_b64 s[40:41], vcc
	s_cbranch_execz .LBB36_85
; %bb.129:                              ;   in Loop: Header=BB36_88 Depth=1
	v_lshlrev_b64 v[2:3], 3, v[8:9]
	v_lshl_add_u64 v[8:9], s[18:19], 0, v[2:3]
	v_lshl_add_u64 v[2:3], s[16:17], 0, v[2:3]
	global_load_dwordx2 v[6:7], v[2:3], off
	s_nop 0
	global_load_dwordx2 v[2:3], v[8:9], off
	s_branch .LBB36_85
.LBB36_130:
	scratch_load_dwordx2 v[102:103], off, off ; 8-byte Folded Reload
	s_andn2_b64 vcc, exec, s[22:23]
	s_cbranch_vccz .LBB36_83
	s_branch .LBB36_132
.LBB36_131:
	scratch_load_dword v49, off, off offset:348 ; 4-byte Folded Reload
.LBB36_132:
	s_waitcnt vmcnt(0)
	v_bfe_u32 v6, v49, 10, 10
	v_and_b32_e32 v0, 0x3ff, v49
	s_movk_i32 s3, 0x41
	v_mad_u32_u24 v1, v6, s3, v0
	v_lshl_add_u32 v1, v1, 3, 0
	v_lshrrev_b32_e32 v8, 6, v0
	ds_write_b64 v1, v[110:111]
	ds_write_b64 v1, v[102:103] offset:8320
	v_add_u32_e32 v1, v8, v6
	s_mov_b32 s3, 0
	v_cmp_gt_u32_e32 vcc, 64, v1
	s_waitcnt lgkmcnt(0)
	s_barrier
	s_and_saveexec_b64 s[4:5], vcc
	s_cbranch_execz .LBB36_142
; %bb.133:
	v_and_b32_e32 v1, 63, v0
	s_load_dwordx4 s[16:19], s[0:1], 0x30
	v_cmp_gt_u32_e64 s[0:1], 16, v1
	v_mul_u32_u24_e32 v14, 0x41, v1
	v_mbcnt_lo_u32_b32 v1, -1, 0
	v_mbcnt_hi_u32_b32 v1, -1, v1
	v_and_b32_e32 v2, 64, v1
	v_add_u32_e32 v2, 64, v2
	s_lshl_b64 s[4:5], s[2:3], 6
	v_cmp_eq_u32_e64 s[2:3], 0, v0
	v_xor_b32_e32 v0, 8, v1
	v_cmp_lt_i32_e32 vcc, v0, v2
	v_mov_b32_e32 v9, 0
	v_mov_b32_e32 v7, v9
	v_cndmask_b32_e32 v0, v1, v0, vcc
	v_lshlrev_b32_e32 v10, 2, v0
	v_xor_b32_e32 v0, 4, v1
	v_cmp_lt_i32_e32 vcc, v0, v2
	s_waitcnt lgkmcnt(0)
	s_cmp_lg_u64 s[16:17], 0
	s_cselect_b64 s[8:9], -1, 0
	v_cndmask_b32_e32 v0, v1, v0, vcc
	v_lshlrev_b32_e32 v11, 2, v0
	v_xor_b32_e32 v0, 2, v1
	v_cmp_lt_i32_e32 vcc, v0, v2
	s_cmp_lg_u64 s[18:19], 0
	s_mov_b64 s[6:7], 0
	v_cndmask_b32_e32 v0, v1, v0, vcc
	v_lshlrev_b32_e32 v12, 2, v0
	v_xor_b32_e32 v0, 1, v1
	v_cmp_lt_i32_e32 vcc, v0, v2
	s_cselect_b64 s[12:13], -1, 0
	s_mov_b64 s[14:15], 0x80
	v_cndmask_b32_e32 v0, v1, v0, vcc
	v_lshlrev_b32_e32 v13, 2, v0
	v_lshl_add_u64 v[0:1], v[8:9], 0, v[6:7]
	v_lshl_add_u64 v[2:3], v[0:1], 0, s[4:5]
	v_lshlrev_b64 v[4:5], 3, v[2:3]
	v_add3_u32 v6, v14, v6, v8
	v_lshl_add_u64 v[2:3], s[18:19], 0, v[4:5]
	v_lshl_add_u64 v[4:5], s[16:17], 0, v[4:5]
	v_lshl_add_u32 v14, v6, 3, 0
                                        ; implicit-def: $vgpr6_vgpr7
                                        ; implicit-def: $vgpr8_vgpr9
	s_branch .LBB36_135
.LBB36_134:                             ;   in Loop: Header=BB36_135 Depth=1
	s_or_b64 exec, exec, s[16:17]
	v_lshl_add_u64 v[0:1], v[0:1], 0, 16
	v_add_u32_e32 v15, -16, v0
	v_cmp_lt_u32_e32 vcc, 47, v15
	v_lshl_add_u64 v[2:3], v[2:3], 0, s[14:15]
	v_lshl_add_u64 v[4:5], v[4:5], 0, s[14:15]
	s_or_b64 s[6:7], vcc, s[6:7]
	v_add_u32_e32 v14, 0x80, v14
	s_andn2_b64 exec, exec, s[6:7]
	s_cbranch_execz .LBB36_142
.LBB36_135:                             ; =>This Inner Loop Header: Depth=1
	s_and_saveexec_b64 s[16:17], s[0:1]
	s_cbranch_execz .LBB36_137
; %bb.136:                              ;   in Loop: Header=BB36_135 Depth=1
	ds_read_b64 v[6:7], v14
	ds_read_b64 v[8:9], v14 offset:8320
.LBB36_137:                             ;   in Loop: Header=BB36_135 Depth=1
	s_or_b64 exec, exec, s[16:17]
	s_waitcnt lgkmcnt(1)
	ds_bpermute_b32 v16, v10, v6
	ds_bpermute_b32 v17, v10, v7
	s_waitcnt lgkmcnt(2)
	ds_bpermute_b32 v18, v10, v8
	ds_bpermute_b32 v19, v10, v9
	s_waitcnt lgkmcnt(2)
	v_add_f64 v[6:7], v[6:7], v[16:17]
	ds_bpermute_b32 v16, v11, v6
	ds_bpermute_b32 v17, v11, v7
	s_waitcnt lgkmcnt(2)
	v_add_f64 v[8:9], v[8:9], v[18:19]
	;; [unrolled: 4-line block ×7, first 2 shown]
	v_lshl_add_u64 v[16:17], s[4:5], 0, v[0:1]
	v_cmp_gt_i64_e32 vcc, s[10:11], v[16:17]
	s_waitcnt lgkmcnt(0)
	v_add_f64 v[8:9], v[8:9], v[18:19]
	s_and_b64 s[18:19], s[2:3], vcc
	s_and_saveexec_b64 s[16:17], s[18:19]
	s_cbranch_execz .LBB36_134
; %bb.138:                              ;   in Loop: Header=BB36_135 Depth=1
	s_andn2_b64 vcc, exec, s[8:9]
	s_cbranch_vccnz .LBB36_140
; %bb.139:                              ;   in Loop: Header=BB36_135 Depth=1
	global_store_dwordx2 v[4:5], v[6:7], off
.LBB36_140:                             ;   in Loop: Header=BB36_135 Depth=1
	s_andn2_b64 vcc, exec, s[12:13]
	s_cbranch_vccnz .LBB36_134
; %bb.141:                              ;   in Loop: Header=BB36_135 Depth=1
	global_store_dwordx2 v[2:3], v[8:9], off
	s_branch .LBB36_134
.LBB36_142:
	s_endpgm
	.section	.rodata,"a",@progbits
	.p2align	6, 0x0
	.amdhsa_kernel _ZN2at6native12_GLOBAL__N_135GammaBetaBackwardCUDAKernelTemplateIddLj64ELj16ELj256ELb0ELb0ELb0EEEvllPKT_S5_PKT0_S8_PS3_S9_
		.amdhsa_group_segment_fixed_size 0
		.amdhsa_private_segment_fixed_size 356
		.amdhsa_kernarg_size 320
		.amdhsa_user_sgpr_count 2
		.amdhsa_user_sgpr_dispatch_ptr 0
		.amdhsa_user_sgpr_queue_ptr 0
		.amdhsa_user_sgpr_kernarg_segment_ptr 1
		.amdhsa_user_sgpr_dispatch_id 0
		.amdhsa_user_sgpr_kernarg_preload_length 0
		.amdhsa_user_sgpr_kernarg_preload_offset 0
		.amdhsa_user_sgpr_private_segment_size 0
		.amdhsa_uses_dynamic_stack 0
		.amdhsa_enable_private_segment 1
		.amdhsa_system_sgpr_workgroup_id_x 1
		.amdhsa_system_sgpr_workgroup_id_y 1
		.amdhsa_system_sgpr_workgroup_id_z 0
		.amdhsa_system_sgpr_workgroup_info 0
		.amdhsa_system_vgpr_workitem_id 1
		.amdhsa_next_free_vgpr 128
		.amdhsa_next_free_sgpr 100
		.amdhsa_accum_offset 128
		.amdhsa_reserve_vcc 1
		.amdhsa_float_round_mode_32 0
		.amdhsa_float_round_mode_16_64 0
		.amdhsa_float_denorm_mode_32 3
		.amdhsa_float_denorm_mode_16_64 3
		.amdhsa_dx10_clamp 1
		.amdhsa_ieee_mode 1
		.amdhsa_fp16_overflow 0
		.amdhsa_tg_split 0
		.amdhsa_exception_fp_ieee_invalid_op 0
		.amdhsa_exception_fp_denorm_src 0
		.amdhsa_exception_fp_ieee_div_zero 0
		.amdhsa_exception_fp_ieee_overflow 0
		.amdhsa_exception_fp_ieee_underflow 0
		.amdhsa_exception_fp_ieee_inexact 0
		.amdhsa_exception_int_div_zero 0
	.end_amdhsa_kernel
	.section	.text._ZN2at6native12_GLOBAL__N_135GammaBetaBackwardCUDAKernelTemplateIddLj64ELj16ELj256ELb0ELb0ELb0EEEvllPKT_S5_PKT0_S8_PS3_S9_,"axG",@progbits,_ZN2at6native12_GLOBAL__N_135GammaBetaBackwardCUDAKernelTemplateIddLj64ELj16ELj256ELb0ELb0ELb0EEEvllPKT_S5_PKT0_S8_PS3_S9_,comdat
.Lfunc_end36:
	.size	_ZN2at6native12_GLOBAL__N_135GammaBetaBackwardCUDAKernelTemplateIddLj64ELj16ELj256ELb0ELb0ELb0EEEvllPKT_S5_PKT0_S8_PS3_S9_, .Lfunc_end36-_ZN2at6native12_GLOBAL__N_135GammaBetaBackwardCUDAKernelTemplateIddLj64ELj16ELj256ELb0ELb0ELb0EEEvllPKT_S5_PKT0_S8_PS3_S9_
                                        ; -- End function
	.section	.AMDGPU.csdata,"",@progbits
; Kernel info:
; codeLenInByte = 16680
; NumSgprs: 106
; NumVgprs: 128
; NumAgprs: 0
; TotalNumVgprs: 128
; ScratchSize: 356
; MemoryBound: 0
; FloatMode: 240
; IeeeMode: 1
; LDSByteSize: 0 bytes/workgroup (compile time only)
; SGPRBlocks: 13
; VGPRBlocks: 15
; NumSGPRsForWavesPerEU: 106
; NumVGPRsForWavesPerEU: 128
; AccumOffset: 128
; Occupancy: 4
; WaveLimiterHint : 0
; COMPUTE_PGM_RSRC2:SCRATCH_EN: 1
; COMPUTE_PGM_RSRC2:USER_SGPR: 2
; COMPUTE_PGM_RSRC2:TRAP_HANDLER: 0
; COMPUTE_PGM_RSRC2:TGID_X_EN: 1
; COMPUTE_PGM_RSRC2:TGID_Y_EN: 1
; COMPUTE_PGM_RSRC2:TGID_Z_EN: 0
; COMPUTE_PGM_RSRC2:TIDIG_COMP_CNT: 1
; COMPUTE_PGM_RSRC3_GFX90A:ACCUM_OFFSET: 31
; COMPUTE_PGM_RSRC3_GFX90A:TG_SPLIT: 0
	.section	.text._ZN2at6native12_GLOBAL__N_135GammaBetaBackwardCUDAKernelTemplateIddLj32ELj1ELj32ELb1ELb1ELb0EEEvllPKT_S5_PKT0_S8_PS3_S9_,"axG",@progbits,_ZN2at6native12_GLOBAL__N_135GammaBetaBackwardCUDAKernelTemplateIddLj32ELj1ELj32ELb1ELb1ELb0EEEvllPKT_S5_PKT0_S8_PS3_S9_,comdat
	.globl	_ZN2at6native12_GLOBAL__N_135GammaBetaBackwardCUDAKernelTemplateIddLj32ELj1ELj32ELb1ELb1ELb0EEEvllPKT_S5_PKT0_S8_PS3_S9_ ; -- Begin function _ZN2at6native12_GLOBAL__N_135GammaBetaBackwardCUDAKernelTemplateIddLj32ELj1ELj32ELb1ELb1ELb0EEEvllPKT_S5_PKT0_S8_PS3_S9_
	.p2align	8
	.type	_ZN2at6native12_GLOBAL__N_135GammaBetaBackwardCUDAKernelTemplateIddLj32ELj1ELj32ELb1ELb1ELb0EEEvllPKT_S5_PKT0_S8_PS3_S9_,@function
_ZN2at6native12_GLOBAL__N_135GammaBetaBackwardCUDAKernelTemplateIddLj32ELj1ELj32ELb1ELb1ELb0EEEvllPKT_S5_PKT0_S8_PS3_S9_: ; @_ZN2at6native12_GLOBAL__N_135GammaBetaBackwardCUDAKernelTemplateIddLj32ELj1ELj32ELb1ELb1ELb0EEEvllPKT_S5_PKT0_S8_PS3_S9_
; %bb.0:
	s_load_dwordx4 s[16:19], s[0:1], 0x0
	s_lshl_b32 s6, s3, 5
	s_mov_b32 s7, 0
	s_mov_b32 s4, s3
	v_bfe_u32 v1, v0, 10, 10
	s_waitcnt lgkmcnt(0)
	v_mov_b64_e32 v[2:3], s[16:17]
	v_cmp_lt_i64_e32 vcc, s[6:7], v[2:3]
	s_cbranch_vccnz .LBB37_2
; %bb.1:
	s_add_u32 s24, s0, 64
	s_addc_u32 s25, s1, 0
	s_mov_b64 s[8:9], 0
	s_mov_b64 s[10:11], 0
	v_bfe_u32 v4, v0, 10, 10
	s_branch .LBB37_3
.LBB37_2:
	s_mov_b64 s[8:9], -1
                                        ; implicit-def: $sgpr10_sgpr11
                                        ; implicit-def: $sgpr24_sgpr25
                                        ; implicit-def: $vgpr4
.LBB37_3:
	s_load_dwordx4 s[20:23], s[0:1], 0x30
	v_and_b32_e32 v0, 0x3ff, v0
	s_andn2_b64 vcc, exec, s[8:9]
	v_mov_b64_e32 v[16:17], s[10:11]
	v_mov_b64_e32 v[2:3], s[10:11]
	s_cbranch_vccnz .LBB37_11
; %bb.4:
	s_load_dword s3, s[0:1], 0x4c
	s_load_dword s5, s[0:1], 0x44
	s_load_dwordx8 s[8:15], s[0:1], 0x10
	s_add_u32 s24, s0, 64
	s_addc_u32 s25, s1, 0
	s_waitcnt lgkmcnt(0)
	s_and_b32 s0, s3, 0xffff
	v_mad_u32_u24 v2, v1, s0, v0
	v_lshlrev_b32_e32 v4, 5, v1
	v_mov_b32_e32 v5, 0
	v_mbcnt_lo_u32_b32 v6, -1, 0
	v_and_b32_e32 v2, 63, v2
	v_mov_b32_e32 v3, v5
	v_mbcnt_hi_u32_b32 v6, -1, v6
	s_lshl_b32 s26, s5, 5
	v_lshl_add_u64 v[10:11], v[4:5], 0, s[6:7]
	v_cmp_gt_u32_e64 s[0:1], 32, v2
	v_lshl_add_u32 v8, s2, 5, v0
	v_mov_b32_e32 v9, v5
	v_lshlrev_b32_e32 v6, 2, v6
	v_lshl_add_u64 v[4:5], v[10:11], 0, v[2:3]
	v_mul_lo_u32 v12, s19, v10
	v_mul_lo_u32 v11, s18, v11
	v_mad_u64_u32 v[2:3], s[30:31], s18, v10, 0
	s_mul_i32 s3, s19, s26
	s_mul_hi_u32 s5, s18, s26
	s_mov_b32 s27, 0
	v_and_b32_e32 v70, 0x100, v6
	v_add3_u32 v3, v3, v11, v12
	v_lshlrev_b64 v[8:9], 3, v[8:9]
	s_add_i32 s31, s5, s3
	s_mul_i32 s30, s18, s26
	v_mov_b64_e32 v[10:11], 0
	v_or_b32_e32 v71, 4, v70
	v_or_b32_e32 v72, 8, v70
	v_or_b32_e32 v73, 12, v70
	v_or_b32_e32 v74, 16, v70
	v_or_b32_e32 v75, 20, v70
	v_or_b32_e32 v76, 24, v70
	v_or_b32_e32 v77, 28, v70
	v_or_b32_e32 v78, 32, v70
	v_or_b32_e32 v79, 36, v70
	v_or_b32_e32 v80, 40, v70
	v_or_b32_e32 v81, 44, v70
	v_or_b32_e32 v82, 48, v70
	v_or_b32_e32 v83, 52, v70
	v_or_b32_e32 v84, 56, v70
	v_or_b32_e32 v85, 60, v70
	v_or_b32_e32 v86, 64, v70
	v_or_b32_e32 v87, 0x44, v70
	v_or_b32_e32 v88, 0x48, v70
	v_or_b32_e32 v89, 0x4c, v70
	v_or_b32_e32 v90, 0x50, v70
	v_or_b32_e32 v91, 0x54, v70
	v_or_b32_e32 v92, 0x58, v70
	v_or_b32_e32 v93, 0x5c, v70
	v_or_b32_e32 v94, 0x60, v70
	v_or_b32_e32 v95, 0x64, v70
	v_or_b32_e32 v96, 0x68, v70
	v_or_b32_e32 v97, 0x6c, v70
	v_or_b32_e32 v98, 0x70, v70
	v_or_b32_e32 v99, 0x74, v70
	v_or_b32_e32 v100, 0x78, v70
	v_or_b32_e32 v101, 0x7c, v70
	v_lshlrev_b64 v[6:7], 3, v[4:5]
	s_lshl_b64 s[28:29], s[26:27], 3
	v_lshl_add_u64 v[8:9], v[2:3], 3, v[8:9]
	s_lshl_b64 s[30:31], s[30:31], 3
	s_lshl_b64 s[34:35], s[18:19], 3
	v_mov_b64_e32 v[2:3], v[10:11]
	v_mov_b64_e32 v[16:17], v[10:11]
	s_branch .LBB37_7
.LBB37_5:                               ;   in Loop: Header=BB37_7 Depth=1
	s_or_b64 exec, exec, s[38:39]
.LBB37_6:                               ;   in Loop: Header=BB37_7 Depth=1
	s_or_b64 exec, exec, s[36:37]
	v_lshl_add_u64 v[20:21], s[10:11], 0, v[8:9]
	global_load_dwordx2 v[36:37], v[20:21], off
	v_lshl_add_u64 v[22:23], s[8:9], 0, v[8:9]
	global_load_dwordx2 v[18:19], v[22:23], off
	;; [unrolled: 2-line block ×11, first 2 shown]
	v_lshl_add_u64 v[32:33], v[28:29], 0, s[34:35]
	v_lshl_add_u64 v[30:31], v[30:31], 0, s[34:35]
	global_load_dwordx2 v[46:47], v[32:33], off
	global_load_dwordx2 v[28:29], v[30:31], off
	v_lshl_add_u64 v[48:49], v[30:31], 0, s[34:35]
	global_load_dwordx2 v[30:31], v[48:49], off
	v_lshl_add_u64 v[50:51], v[32:33], 0, s[34:35]
	;; [unrolled: 2-line block ×3, first 2 shown]
	global_load_dwordx2 v[32:33], v[48:49], off
	s_waitcnt vmcnt(17)
	ds_bpermute_b32 v54, v70, v14
	ds_bpermute_b32 v55, v70, v15
	v_lshl_add_u64 v[48:49], v[48:49], 0, s[34:35]
	s_waitcnt vmcnt(16)
	ds_bpermute_b32 v56, v76, v12
	ds_bpermute_b32 v57, v76, v13
	;; [unrolled: 1-line block ×22, first 2 shown]
	s_add_u32 s6, s6, s26
	s_addc_u32 s7, s7, 0
	v_lshl_add_u64 v[6:7], v[6:7], 0, s[28:29]
	v_lshl_add_u64 v[4:5], v[4:5], 0, s[26:27]
	;; [unrolled: 1-line block ×3, first 2 shown]
	s_waitcnt vmcnt(15) lgkmcnt(14)
	v_add_f64 v[36:37], v[36:37], -v[54:55]
	ds_bpermute_b32 v54, v70, v12
	ds_bpermute_b32 v55, v70, v13
	s_waitcnt vmcnt(14)
	v_mul_f64 v[36:37], v[18:19], v[36:37]
	v_add_f64 v[16:17], v[16:17], v[18:19]
	s_waitcnt vmcnt(12)
	v_add_f64 v[16:17], v[16:17], v[20:21]
	s_waitcnt lgkmcnt(0)
	v_fmac_f64_e32 v[2:3], v[36:37], v[54:55]
	ds_bpermute_b32 v36, v71, v14
	ds_bpermute_b32 v37, v71, v15
	;; [unrolled: 1-line block ×4, first 2 shown]
	s_waitcnt vmcnt(10)
	v_add_f64 v[16:17], v[16:17], v[22:23]
	s_waitcnt lgkmcnt(2)
	v_add_f64 v[34:35], v[34:35], -v[36:37]
	ds_bpermute_b32 v36, v72, v14
	ds_bpermute_b32 v37, v72, v15
	v_mul_f64 v[34:35], v[20:21], v[34:35]
	s_waitcnt lgkmcnt(2)
	v_fmac_f64_e32 v[2:3], v[34:35], v[54:55]
	ds_bpermute_b32 v34, v72, v12
	ds_bpermute_b32 v35, v72, v13
	;; [unrolled: 1-line block ×4, first 2 shown]
	s_waitcnt lgkmcnt(4)
	v_add_f64 v[36:37], v[38:39], -v[36:37]
	v_mul_f64 v[36:37], v[22:23], v[36:37]
	ds_bpermute_b32 v38, v73, v12
	ds_bpermute_b32 v39, v73, v13
	s_waitcnt lgkmcnt(4)
	v_fmac_f64_e32 v[2:3], v[36:37], v[34:35]
	ds_bpermute_b32 v34, v74, v14
	ds_bpermute_b32 v35, v74, v15
	;; [unrolled: 1-line block ×4, first 2 shown]
	s_waitcnt vmcnt(9) lgkmcnt(6)
	v_add_f64 v[40:41], v[40:41], -v[54:55]
	s_waitcnt vmcnt(8)
	v_mul_f64 v[40:41], v[24:25], v[40:41]
	s_waitcnt lgkmcnt(4)
	v_fmac_f64_e32 v[2:3], v[40:41], v[38:39]
	v_lshl_add_u64 v[40:41], v[50:51], 0, s[34:35]
	s_waitcnt vmcnt(7) lgkmcnt(2)
	v_add_f64 v[34:35], v[42:43], -v[34:35]
	global_load_dwordx2 v[50:51], v[40:41], off
	s_waitcnt vmcnt(7)
	v_mul_f64 v[34:35], v[26:27], v[34:35]
	s_waitcnt lgkmcnt(0)
	v_fmac_f64_e32 v[2:3], v[34:35], v[36:37]
	global_load_dwordx2 v[34:35], v[48:49], off
	ds_bpermute_b32 v54, v75, v14
	ds_bpermute_b32 v55, v75, v15
	;; [unrolled: 1-line block ×6, first 2 shown]
	v_lshl_add_u64 v[40:41], v[40:41], 0, s[34:35]
	v_lshl_add_u64 v[48:49], v[48:49], 0, s[34:35]
	s_waitcnt vmcnt(7) lgkmcnt(4)
	v_add_f64 v[44:45], v[44:45], -v[54:55]
	global_load_dwordx2 v[54:55], v[40:41], off
	global_load_dwordx2 v[36:37], v[48:49], off
	s_waitcnt vmcnt(8) lgkmcnt(2)
	v_add_f64 v[42:43], v[46:47], -v[42:43]
	v_lshl_add_u64 v[40:41], v[40:41], 0, s[34:35]
	s_waitcnt vmcnt(7)
	v_mul_f64 v[44:45], v[28:29], v[44:45]
	s_waitcnt lgkmcnt(0)
	v_fmac_f64_e32 v[2:3], v[44:45], v[38:39]
	s_waitcnt vmcnt(6)
	v_mul_f64 v[38:39], v[30:31], v[42:43]
	global_load_dwordx2 v[42:43], v[40:41], off
	v_lshl_add_u64 v[46:47], v[48:49], 0, s[34:35]
	v_fmac_f64_e32 v[2:3], v[38:39], v[56:57]
	global_load_dwordx2 v[38:39], v[46:47], off
	ds_bpermute_b32 v44, v77, v14
	ds_bpermute_b32 v45, v77, v15
	;; [unrolled: 1-line block ×4, first 2 shown]
	v_add_f64 v[16:17], v[16:17], v[24:25]
	v_add_f64 v[16:17], v[16:17], v[26:27]
	s_waitcnt vmcnt(7) lgkmcnt(2)
	v_add_f64 v[44:45], v[52:53], -v[44:45]
	v_lshl_add_u64 v[52:53], v[40:41], 0, s[34:35]
	global_load_dwordx2 v[56:57], v[52:53], off
	s_waitcnt vmcnt(7)
	v_mul_f64 v[40:41], v[32:33], v[44:45]
	v_lshl_add_u64 v[44:45], v[46:47], 0, s[34:35]
	s_waitcnt lgkmcnt(0)
	v_fmac_f64_e32 v[2:3], v[40:41], v[48:49]
	global_load_dwordx2 v[40:41], v[44:45], off
	ds_bpermute_b32 v46, v78, v14
	ds_bpermute_b32 v47, v78, v15
	;; [unrolled: 1-line block ×4, first 2 shown]
	v_lshl_add_u64 v[44:45], v[44:45], 0, s[34:35]
	v_add_f64 v[16:17], v[16:17], v[28:29]
	v_add_f64 v[16:17], v[16:17], v[30:31]
	;; [unrolled: 1-line block ×3, first 2 shown]
	s_waitcnt vmcnt(7) lgkmcnt(2)
	v_add_f64 v[46:47], v[50:51], -v[46:47]
	ds_bpermute_b32 v50, v80, v14
	ds_bpermute_b32 v51, v80, v15
	s_waitcnt vmcnt(6)
	v_mul_f64 v[46:47], v[34:35], v[46:47]
	s_waitcnt lgkmcnt(2)
	v_fmac_f64_e32 v[2:3], v[46:47], v[48:49]
	ds_bpermute_b32 v46, v79, v14
	ds_bpermute_b32 v47, v79, v15
	;; [unrolled: 1-line block ×4, first 2 shown]
	v_add_f64 v[16:17], v[16:17], v[34:35]
	s_waitcnt vmcnt(5) lgkmcnt(2)
	v_add_f64 v[46:47], v[54:55], -v[46:47]
	s_waitcnt vmcnt(4)
	v_mul_f64 v[46:47], v[36:37], v[46:47]
	s_waitcnt lgkmcnt(0)
	v_fmac_f64_e32 v[2:3], v[46:47], v[48:49]
	ds_bpermute_b32 v46, v80, v12
	ds_bpermute_b32 v47, v80, v13
	v_lshl_add_u64 v[48:49], v[52:53], 0, s[34:35]
	ds_bpermute_b32 v52, v81, v12
	s_waitcnt vmcnt(3)
	v_add_f64 v[42:43], v[42:43], -v[50:51]
	global_load_dwordx2 v[50:51], v[48:49], off
	ds_bpermute_b32 v53, v81, v13
	s_waitcnt vmcnt(3)
	v_mul_f64 v[42:43], v[38:39], v[42:43]
	s_waitcnt lgkmcnt(2)
	v_fmac_f64_e32 v[2:3], v[42:43], v[46:47]
	global_load_dwordx2 v[42:43], v[44:45], off
	ds_bpermute_b32 v46, v81, v14
	ds_bpermute_b32 v47, v81, v15
	v_lshl_add_u64 v[48:49], v[48:49], 0, s[34:35]
	global_load_dwordx2 v[54:55], v[48:49], off
	v_lshl_add_u64 v[44:45], v[44:45], 0, s[34:35]
	v_lshl_add_u64 v[48:49], v[48:49], 0, s[34:35]
	s_waitcnt vmcnt(4) lgkmcnt(0)
	v_add_f64 v[46:47], v[56:57], -v[46:47]
	ds_bpermute_b32 v56, v85, v12
	ds_bpermute_b32 v57, v85, v13
	v_add_f64 v[16:17], v[16:17], v[36:37]
	s_waitcnt vmcnt(3)
	v_mul_f64 v[46:47], v[40:41], v[46:47]
	v_fmac_f64_e32 v[2:3], v[46:47], v[52:53]
	global_load_dwordx2 v[46:47], v[44:45], off
	ds_bpermute_b32 v52, v82, v14
	ds_bpermute_b32 v53, v82, v15
	v_lshl_add_u64 v[44:45], v[44:45], 0, s[34:35]
	v_add_f64 v[16:17], v[16:17], v[38:39]
	v_add_f64 v[16:17], v[16:17], v[40:41]
	s_waitcnt vmcnt(3) lgkmcnt(0)
	v_add_f64 v[50:51], v[50:51], -v[52:53]
	ds_bpermute_b32 v52, v82, v12
	ds_bpermute_b32 v53, v82, v13
	s_waitcnt vmcnt(2)
	v_mul_f64 v[50:51], v[42:43], v[50:51]
	v_add_f64 v[16:17], v[16:17], v[42:43]
	s_waitcnt lgkmcnt(0)
	v_fmac_f64_e32 v[2:3], v[50:51], v[52:53]
	ds_bpermute_b32 v50, v83, v14
	ds_bpermute_b32 v51, v83, v15
	ds_bpermute_b32 v52, v83, v12
	ds_bpermute_b32 v53, v83, v13
	s_waitcnt vmcnt(1) lgkmcnt(2)
	v_add_f64 v[50:51], v[54:55], -v[50:51]
	global_load_dwordx2 v[54:55], v[48:49], off
	v_lshl_add_u64 v[48:49], v[48:49], 0, s[34:35]
	s_waitcnt vmcnt(1)
	v_mul_f64 v[50:51], v[46:47], v[50:51]
	s_waitcnt lgkmcnt(0)
	v_fmac_f64_e32 v[2:3], v[50:51], v[52:53]
	global_load_dwordx2 v[50:51], v[44:45], off
	ds_bpermute_b32 v52, v84, v14
	ds_bpermute_b32 v53, v84, v15
	v_add_f64 v[16:17], v[16:17], v[46:47]
	s_waitcnt vmcnt(1) lgkmcnt(0)
	v_add_f64 v[52:53], v[54:55], -v[52:53]
	ds_bpermute_b32 v54, v84, v12
	ds_bpermute_b32 v55, v84, v13
	s_waitcnt vmcnt(0)
	v_mul_f64 v[52:53], v[50:51], v[52:53]
	v_add_f64 v[16:17], v[16:17], v[50:51]
	s_waitcnt lgkmcnt(0)
	v_fmac_f64_e32 v[2:3], v[52:53], v[54:55]
	global_load_dwordx2 v[52:53], v[48:49], off
	ds_bpermute_b32 v54, v85, v14
	ds_bpermute_b32 v55, v85, v15
	s_waitcnt vmcnt(0) lgkmcnt(0)
	v_add_f64 v[52:53], v[52:53], -v[54:55]
	v_lshl_add_u64 v[54:55], v[44:45], 0, s[34:35]
	global_load_dwordx2 v[44:45], v[54:55], off
	v_lshl_add_u64 v[54:55], v[54:55], 0, s[34:35]
	s_waitcnt vmcnt(0)
	v_mul_f64 v[52:53], v[44:45], v[52:53]
	v_fmac_f64_e32 v[2:3], v[52:53], v[56:57]
	v_lshl_add_u64 v[52:53], v[48:49], 0, s[34:35]
	global_load_dwordx2 v[56:57], v[52:53], off
	ds_bpermute_b32 v48, v86, v14
	ds_bpermute_b32 v49, v86, v15
	v_add_f64 v[16:17], v[16:17], v[44:45]
	s_waitcnt vmcnt(0) lgkmcnt(0)
	v_add_f64 v[56:57], v[56:57], -v[48:49]
	global_load_dwordx2 v[48:49], v[54:55], off
	v_lshl_add_u64 v[54:55], v[54:55], 0, s[34:35]
	s_waitcnt vmcnt(0)
	v_mul_f64 v[56:57], v[48:49], v[56:57]
	v_fmac_f64_e32 v[2:3], v[56:57], v[58:59]
	v_lshl_add_u64 v[56:57], v[52:53], 0, s[34:35]
	global_load_dwordx2 v[58:59], v[56:57], off
	ds_bpermute_b32 v52, v87, v14
	ds_bpermute_b32 v53, v87, v15
	v_lshl_add_u64 v[56:57], v[56:57], 0, s[34:35]
	v_add_f64 v[16:17], v[16:17], v[48:49]
	s_waitcnt vmcnt(0) lgkmcnt(0)
	v_add_f64 v[58:59], v[58:59], -v[52:53]
	global_load_dwordx2 v[52:53], v[54:55], off
	s_waitcnt vmcnt(0)
	v_mul_f64 v[58:59], v[52:53], v[58:59]
	v_fmac_f64_e32 v[2:3], v[58:59], v[60:61]
	global_load_dwordx2 v[60:61], v[56:57], off
	ds_bpermute_b32 v58, v88, v14
	ds_bpermute_b32 v59, v88, v15
	v_add_f64 v[16:17], v[16:17], v[52:53]
	s_waitcnt vmcnt(0) lgkmcnt(0)
	v_add_f64 v[58:59], v[60:61], -v[58:59]
	v_lshl_add_u64 v[60:61], v[54:55], 0, s[34:35]
	global_load_dwordx2 v[54:55], v[60:61], off
	v_lshl_add_u64 v[60:61], v[60:61], 0, s[34:35]
	s_waitcnt vmcnt(0)
	v_mul_f64 v[58:59], v[54:55], v[58:59]
	v_fmac_f64_e32 v[2:3], v[58:59], v[62:63]
	v_lshl_add_u64 v[58:59], v[56:57], 0, s[34:35]
	global_load_dwordx2 v[62:63], v[58:59], off
	ds_bpermute_b32 v56, v89, v14
	ds_bpermute_b32 v57, v89, v15
	v_add_f64 v[16:17], v[16:17], v[54:55]
	s_waitcnt vmcnt(0) lgkmcnt(0)
	v_add_f64 v[62:63], v[62:63], -v[56:57]
	global_load_dwordx2 v[56:57], v[60:61], off
	v_lshl_add_u64 v[60:61], v[60:61], 0, s[34:35]
	s_waitcnt vmcnt(0)
	v_mul_f64 v[62:63], v[56:57], v[62:63]
	v_fmac_f64_e32 v[2:3], v[62:63], v[64:65]
	v_lshl_add_u64 v[62:63], v[58:59], 0, s[34:35]
	global_load_dwordx2 v[64:65], v[62:63], off
	ds_bpermute_b32 v58, v90, v14
	ds_bpermute_b32 v59, v90, v15
	v_lshl_add_u64 v[62:63], v[62:63], 0, s[34:35]
	v_add_f64 v[16:17], v[16:17], v[56:57]
	s_waitcnt vmcnt(0) lgkmcnt(0)
	v_add_f64 v[64:65], v[64:65], -v[58:59]
	global_load_dwordx2 v[58:59], v[60:61], off
	s_waitcnt vmcnt(0)
	v_mul_f64 v[64:65], v[58:59], v[64:65]
	v_fmac_f64_e32 v[2:3], v[64:65], v[66:67]
	global_load_dwordx2 v[66:67], v[62:63], off
	ds_bpermute_b32 v64, v91, v14
	ds_bpermute_b32 v65, v91, v15
	v_add_f64 v[16:17], v[16:17], v[58:59]
	;; [unrolled: 36-line block ×3, first 2 shown]
	s_waitcnt vmcnt(0) lgkmcnt(0)
	v_add_f64 v[102:103], v[104:105], -v[102:103]
	v_lshl_add_u64 v[104:105], v[66:67], 0, s[34:35]
	global_load_dwordx2 v[66:67], v[104:105], off
	v_lshl_add_u64 v[104:105], v[104:105], 0, s[34:35]
	s_waitcnt vmcnt(0)
	v_mul_f64 v[102:103], v[66:67], v[102:103]
	v_fmac_f64_e32 v[2:3], v[102:103], v[106:107]
	v_lshl_add_u64 v[102:103], v[68:69], 0, s[34:35]
	global_load_dwordx2 v[106:107], v[102:103], off
	ds_bpermute_b32 v68, v95, v14
	ds_bpermute_b32 v69, v95, v15
	v_lshl_add_u64 v[102:103], v[102:103], 0, s[34:35]
	v_add_f64 v[16:17], v[16:17], v[66:67]
	s_waitcnt vmcnt(0) lgkmcnt(0)
	v_add_f64 v[106:107], v[106:107], -v[68:69]
	global_load_dwordx2 v[68:69], v[104:105], off
	v_lshl_add_u64 v[104:105], v[104:105], 0, s[34:35]
	global_load_dwordx2 v[110:111], v[104:105], off
	v_lshl_add_u64 v[104:105], v[104:105], 0, s[34:35]
	;; [unrolled: 2-line block ×5, first 2 shown]
	s_waitcnt vmcnt(4)
	v_mul_f64 v[106:107], v[68:69], v[106:107]
	v_fmac_f64_e32 v[2:3], v[106:107], v[108:109]
	global_load_dwordx2 v[108:109], v[102:103], off
	ds_bpermute_b32 v106, v96, v14
	ds_bpermute_b32 v107, v96, v15
	v_lshl_add_u64 v[102:103], v[102:103], 0, s[34:35]
	v_add_f64 v[16:17], v[16:17], v[68:69]
	s_waitcnt vmcnt(4)
	v_add_f64 v[16:17], v[16:17], v[110:111]
	s_waitcnt vmcnt(3)
	;; [unrolled: 2-line block ×4, first 2 shown]
	v_add_f64 v[16:17], v[16:17], v[116:117]
	s_waitcnt vmcnt(0) lgkmcnt(0)
	v_add_f64 v[106:107], v[108:109], -v[106:107]
	ds_bpermute_b32 v108, v96, v12
	ds_bpermute_b32 v109, v96, v13
	v_mul_f64 v[106:107], v[110:111], v[106:107]
	s_waitcnt lgkmcnt(0)
	v_fmac_f64_e32 v[2:3], v[106:107], v[108:109]
	global_load_dwordx2 v[108:109], v[102:103], off
	ds_bpermute_b32 v106, v97, v14
	ds_bpermute_b32 v107, v97, v15
	v_lshl_add_u64 v[102:103], v[102:103], 0, s[34:35]
	s_waitcnt vmcnt(0) lgkmcnt(0)
	v_add_f64 v[106:107], v[108:109], -v[106:107]
	ds_bpermute_b32 v108, v97, v12
	ds_bpermute_b32 v109, v97, v13
	v_mul_f64 v[106:107], v[112:113], v[106:107]
	s_waitcnt lgkmcnt(0)
	v_fmac_f64_e32 v[2:3], v[106:107], v[108:109]
	global_load_dwordx2 v[108:109], v[102:103], off
	ds_bpermute_b32 v106, v98, v14
	ds_bpermute_b32 v107, v98, v15
	v_lshl_add_u64 v[102:103], v[102:103], 0, s[34:35]
	v_lshl_add_u64 v[20:21], v[102:103], 0, s[34:35]
	s_waitcnt vmcnt(0) lgkmcnt(0)
	v_add_f64 v[106:107], v[108:109], -v[106:107]
	ds_bpermute_b32 v108, v98, v12
	ds_bpermute_b32 v109, v98, v13
	v_mul_f64 v[106:107], v[114:115], v[106:107]
	s_waitcnt lgkmcnt(0)
	v_fmac_f64_e32 v[2:3], v[106:107], v[108:109]
	global_load_dwordx2 v[108:109], v[102:103], off
	global_load_dwordx2 v[22:23], v[20:21], off
	;; [unrolled: 1-line block ×3, first 2 shown]
	v_lshl_add_u64 v[20:21], v[20:21], 0, s[34:35]
	v_lshl_add_u64 v[18:19], v[18:19], 0, s[34:35]
	global_load_dwordx2 v[26:27], v[20:21], off
	global_load_dwordx2 v[28:29], v[18:19], off
	ds_bpermute_b32 v106, v99, v14
	ds_bpermute_b32 v107, v99, v15
	;; [unrolled: 1-line block ×8, first 2 shown]
	s_waitcnt vmcnt(3) lgkmcnt(4)
	v_add_f64 v[18:19], v[22:23], -v[18:19]
	v_add_f64 v[106:107], v[108:109], -v[106:107]
	ds_bpermute_b32 v108, v99, v12
	ds_bpermute_b32 v109, v99, v13
	ds_bpermute_b32 v12, v101, v12
	ds_bpermute_b32 v13, v101, v13
	v_mul_f64 v[106:107], v[116:117], v[106:107]
	s_waitcnt vmcnt(2)
	v_mul_f64 v[18:19], v[24:25], v[18:19]
	s_waitcnt lgkmcnt(2)
	v_fmac_f64_e32 v[2:3], v[106:107], v[108:109]
	s_waitcnt vmcnt(1)
	v_add_f64 v[14:15], v[26:27], -v[14:15]
	v_fmac_f64_e32 v[2:3], v[18:19], v[20:21]
	s_waitcnt vmcnt(0)
	v_mul_f64 v[14:15], v[28:29], v[14:15]
	s_waitcnt lgkmcnt(0)
	v_fmac_f64_e32 v[2:3], v[14:15], v[12:13]
	v_mov_b64_e32 v[12:13], s[16:17]
	v_add_f64 v[16:17], v[16:17], v[24:25]
	v_cmp_lt_i64_e32 vcc, s[6:7], v[12:13]
	v_add_f64 v[16:17], v[16:17], v[28:29]
	s_cbranch_vccz .LBB37_10
.LBB37_7:                               ; =>This Inner Loop Header: Depth=1
	v_mov_b64_e32 v[12:13], v[10:11]
	v_mov_b64_e32 v[14:15], v[10:11]
	s_and_saveexec_b64 s[36:37], s[0:1]
	s_cbranch_execz .LBB37_6
; %bb.8:                                ;   in Loop: Header=BB37_7 Depth=1
	v_mov_b64_e32 v[14:15], 0
	v_cmp_gt_i64_e32 vcc, s[16:17], v[4:5]
	v_mov_b64_e32 v[12:13], v[14:15]
	s_and_saveexec_b64 s[38:39], vcc
	s_cbranch_execz .LBB37_5
; %bb.9:                                ;   in Loop: Header=BB37_7 Depth=1
	v_lshl_add_u64 v[20:21], s[12:13], 0, v[6:7]
	v_lshl_add_u64 v[18:19], s[14:15], 0, v[6:7]
	global_load_dwordx2 v[14:15], v[20:21], off
	global_load_dwordx2 v[12:13], v[18:19], off
	s_branch .LBB37_5
.LBB37_10:
	v_mov_b32_e32 v4, v1
.LBB37_11:
	s_load_dword s5, s[24:25], 0xc
	s_mov_b32 s3, 0
	v_mov_b32_e32 v1, 0
	s_lshl_b64 s[0:1], s[2:3], 5
	v_lshl_add_u64 v[6:7], s[0:1], 0, v[0:1]
	s_waitcnt lgkmcnt(0)
	s_lshr_b32 s0, s5, 16
	v_mov_b32_e32 v5, v1
	v_mov_b32_e32 v0, s4
	v_mad_u64_u32 v[0:1], s[0:1], s0, v0, v[4:5]
	s_cmp_eq_u64 s[20:21], 0
	v_mul_lo_u32 v1, v1, s18
	v_mul_lo_u32 v4, v0, s19
	s_cbranch_scc1 .LBB37_13
; %bb.12:
	v_mad_u64_u32 v[8:9], s[0:1], v0, s18, 0
	v_add3_u32 v9, v9, v4, v1
	v_lshl_add_u64 v[8:9], v[8:9], 3, s[20:21]
	v_lshl_add_u64 v[8:9], v[6:7], 3, v[8:9]
	global_store_dwordx2 v[8:9], v[2:3], off
.LBB37_13:
	s_cmp_eq_u64 s[22:23], 0
	s_cbranch_scc1 .LBB37_15
; %bb.14:
	v_mad_u64_u32 v[2:3], s[0:1], v0, s18, 0
	v_add3_u32 v3, v3, v4, v1
	v_lshl_add_u64 v[0:1], v[2:3], 3, s[22:23]
	v_lshl_add_u64 v[0:1], v[6:7], 3, v[0:1]
	global_store_dwordx2 v[0:1], v[16:17], off
.LBB37_15:
	s_endpgm
	.section	.rodata,"a",@progbits
	.p2align	6, 0x0
	.amdhsa_kernel _ZN2at6native12_GLOBAL__N_135GammaBetaBackwardCUDAKernelTemplateIddLj32ELj1ELj32ELb1ELb1ELb0EEEvllPKT_S5_PKT0_S8_PS3_S9_
		.amdhsa_group_segment_fixed_size 0
		.amdhsa_private_segment_fixed_size 0
		.amdhsa_kernarg_size 320
		.amdhsa_user_sgpr_count 2
		.amdhsa_user_sgpr_dispatch_ptr 0
		.amdhsa_user_sgpr_queue_ptr 0
		.amdhsa_user_sgpr_kernarg_segment_ptr 1
		.amdhsa_user_sgpr_dispatch_id 0
		.amdhsa_user_sgpr_kernarg_preload_length 0
		.amdhsa_user_sgpr_kernarg_preload_offset 0
		.amdhsa_user_sgpr_private_segment_size 0
		.amdhsa_uses_dynamic_stack 0
		.amdhsa_enable_private_segment 0
		.amdhsa_system_sgpr_workgroup_id_x 1
		.amdhsa_system_sgpr_workgroup_id_y 1
		.amdhsa_system_sgpr_workgroup_id_z 0
		.amdhsa_system_sgpr_workgroup_info 0
		.amdhsa_system_vgpr_workitem_id 1
		.amdhsa_next_free_vgpr 118
		.amdhsa_next_free_sgpr 40
		.amdhsa_accum_offset 120
		.amdhsa_reserve_vcc 1
		.amdhsa_float_round_mode_32 0
		.amdhsa_float_round_mode_16_64 0
		.amdhsa_float_denorm_mode_32 3
		.amdhsa_float_denorm_mode_16_64 3
		.amdhsa_dx10_clamp 1
		.amdhsa_ieee_mode 1
		.amdhsa_fp16_overflow 0
		.amdhsa_tg_split 0
		.amdhsa_exception_fp_ieee_invalid_op 0
		.amdhsa_exception_fp_denorm_src 0
		.amdhsa_exception_fp_ieee_div_zero 0
		.amdhsa_exception_fp_ieee_overflow 0
		.amdhsa_exception_fp_ieee_underflow 0
		.amdhsa_exception_fp_ieee_inexact 0
		.amdhsa_exception_int_div_zero 0
	.end_amdhsa_kernel
	.section	.text._ZN2at6native12_GLOBAL__N_135GammaBetaBackwardCUDAKernelTemplateIddLj32ELj1ELj32ELb1ELb1ELb0EEEvllPKT_S5_PKT0_S8_PS3_S9_,"axG",@progbits,_ZN2at6native12_GLOBAL__N_135GammaBetaBackwardCUDAKernelTemplateIddLj32ELj1ELj32ELb1ELb1ELb0EEEvllPKT_S5_PKT0_S8_PS3_S9_,comdat
.Lfunc_end37:
	.size	_ZN2at6native12_GLOBAL__N_135GammaBetaBackwardCUDAKernelTemplateIddLj32ELj1ELj32ELb1ELb1ELb0EEEvllPKT_S5_PKT0_S8_PS3_S9_, .Lfunc_end37-_ZN2at6native12_GLOBAL__N_135GammaBetaBackwardCUDAKernelTemplateIddLj32ELj1ELj32ELb1ELb1ELb0EEEvllPKT_S5_PKT0_S8_PS3_S9_
                                        ; -- End function
	.section	.AMDGPU.csdata,"",@progbits
; Kernel info:
; codeLenInByte = 4104
; NumSgprs: 46
; NumVgprs: 118
; NumAgprs: 0
; TotalNumVgprs: 118
; ScratchSize: 0
; MemoryBound: 0
; FloatMode: 240
; IeeeMode: 1
; LDSByteSize: 0 bytes/workgroup (compile time only)
; SGPRBlocks: 5
; VGPRBlocks: 14
; NumSGPRsForWavesPerEU: 46
; NumVGPRsForWavesPerEU: 118
; AccumOffset: 120
; Occupancy: 4
; WaveLimiterHint : 0
; COMPUTE_PGM_RSRC2:SCRATCH_EN: 0
; COMPUTE_PGM_RSRC2:USER_SGPR: 2
; COMPUTE_PGM_RSRC2:TRAP_HANDLER: 0
; COMPUTE_PGM_RSRC2:TGID_X_EN: 1
; COMPUTE_PGM_RSRC2:TGID_Y_EN: 1
; COMPUTE_PGM_RSRC2:TGID_Z_EN: 0
; COMPUTE_PGM_RSRC2:TIDIG_COMP_CNT: 1
; COMPUTE_PGM_RSRC3_GFX90A:ACCUM_OFFSET: 29
; COMPUTE_PGM_RSRC3_GFX90A:TG_SPLIT: 0
	.section	.text._ZN2at6native12_GLOBAL__N_135GammaBetaBackwardCUDAKernelTemplateIddLj32ELj1ELj32ELb1ELb0ELb0EEEvllPKT_S5_PKT0_S8_PS3_S9_,"axG",@progbits,_ZN2at6native12_GLOBAL__N_135GammaBetaBackwardCUDAKernelTemplateIddLj32ELj1ELj32ELb1ELb0ELb0EEEvllPKT_S5_PKT0_S8_PS3_S9_,comdat
	.globl	_ZN2at6native12_GLOBAL__N_135GammaBetaBackwardCUDAKernelTemplateIddLj32ELj1ELj32ELb1ELb0ELb0EEEvllPKT_S5_PKT0_S8_PS3_S9_ ; -- Begin function _ZN2at6native12_GLOBAL__N_135GammaBetaBackwardCUDAKernelTemplateIddLj32ELj1ELj32ELb1ELb0ELb0EEEvllPKT_S5_PKT0_S8_PS3_S9_
	.p2align	8
	.type	_ZN2at6native12_GLOBAL__N_135GammaBetaBackwardCUDAKernelTemplateIddLj32ELj1ELj32ELb1ELb0ELb0EEEvllPKT_S5_PKT0_S8_PS3_S9_,@function
_ZN2at6native12_GLOBAL__N_135GammaBetaBackwardCUDAKernelTemplateIddLj32ELj1ELj32ELb1ELb0ELb0EEEvllPKT_S5_PKT0_S8_PS3_S9_: ; @_ZN2at6native12_GLOBAL__N_135GammaBetaBackwardCUDAKernelTemplateIddLj32ELj1ELj32ELb1ELb0ELb0EEEvllPKT_S5_PKT0_S8_PS3_S9_
; %bb.0:
	s_load_dwordx8 s[12:19], s[0:1], 0x0
	s_load_dwordx4 s[20:23], s[0:1], 0x20
	s_mov_b32 s8, s3
	s_lshl_b32 s3, s2, 5
	v_mov_b32_e32 v11, v0
	s_or_b32 s10, s3, 31
	s_mov_b32 s11, 0
	s_waitcnt lgkmcnt(0)
	v_mov_b64_e32 v[0:1], s[14:15]
	v_cmp_ge_i64_e32 vcc, s[10:11], v[0:1]
	s_lshl_b32 s10, s8, 5
	v_mov_b64_e32 v[0:1], s[12:13]
	v_cmp_lt_i64_e64 s[4:5], s[10:11], v[0:1]
	s_nop 1
	v_cndmask_b32_e64 v0, 0, 1, s[4:5]
	v_cmp_ne_u32_e64 s[4:5], 1, v0
	s_cbranch_vccz .LBB38_145
; %bb.1:
	v_mov_b64_e32 v[140:141], 0
	s_mov_b64 s[24:25], 0
	s_and_b64 vcc, exec, s[4:5]
	v_mov_b64_e32 v[138:139], v[140:141]
	s_cbranch_vccnz .LBB38_146
; %bb.2:
	v_and_b32_e32 v0, 0x3ff, v11
	v_mov_b32_e32 v1, 0
	v_bfe_u32 v2, v11, 10, 10
	v_accvgpr_write_b32 a2, v0
	v_add_u32_e32 v0, s3, v0
	v_lshlrev_b32_e32 v6, 5, v2
	v_mov_b32_e32 v7, v1
	v_cmp_gt_i64_e64 s[6:7], s[14:15], v[0:1]
	v_accvgpr_write_b32 a5, v1
	v_lshlrev_b64 v[8:9], 3, v[0:1]
	v_lshl_add_u64 v[0:1], v[6:7], 0, s[10:11]
	v_accvgpr_write_b32 a3, v2
	v_lshl_add_u64 v[2:3], v[0:1], 0, 31
	v_mul_lo_u32 v4, s15, v2
	v_mul_lo_u32 v5, s14, v3
	v_mad_u64_u32 v[2:3], s[34:35], s14, v2, 0
	v_add3_u32 v3, v3, v5, v4
	v_lshlrev_b64 v[2:3], 3, v[2:3]
	v_lshl_add_u64 v[4:5], s[16:17], 0, v[2:3]
	v_accvgpr_write_b32 a7, v5
	v_lshl_add_u64 v[12:13], s[18:19], 0, v[2:3]
	v_lshl_add_u64 v[2:3], v[0:1], 0, 30
	v_accvgpr_write_b32 a6, v4
	v_mul_lo_u32 v4, s15, v2
	v_mul_lo_u32 v5, s14, v3
	v_mad_u64_u32 v[2:3], s[36:37], s14, v2, 0
	v_add3_u32 v3, v3, v5, v4
	v_lshlrev_b64 v[2:3], 3, v[2:3]
	v_lshl_add_u64 v[14:15], s[16:17], 0, v[2:3]
	v_lshl_add_u64 v[16:17], s[18:19], 0, v[2:3]
	v_lshl_add_u64 v[2:3], v[0:1], 0, 29
	v_mul_lo_u32 v4, s15, v2
	v_mul_lo_u32 v5, s14, v3
	v_mad_u64_u32 v[2:3], s[36:37], s14, v2, 0
	v_add3_u32 v3, v3, v5, v4
	v_lshlrev_b64 v[2:3], 3, v[2:3]
	v_lshl_add_u64 v[18:19], s[16:17], 0, v[2:3]
	v_lshl_add_u64 v[20:21], s[18:19], 0, v[2:3]
	v_lshl_add_u64 v[2:3], v[0:1], 0, 28
	;; [unrolled: 8-line block ×28, first 2 shown]
	v_mul_lo_u32 v4, s15, v2
	v_mul_lo_u32 v5, s14, v3
	v_mad_u64_u32 v[2:3], s[36:37], s14, v2, 0
	v_add3_u32 v3, v3, v5, v4
	s_load_dword s9, s[0:1], 0x44
	v_lshlrev_b64 v[2:3], 3, v[2:3]
	v_lshl_add_u64 v[126:127], s[16:17], 0, v[2:3]
	v_lshl_add_u64 v[128:129], s[18:19], 0, v[2:3]
	v_mov_b64_e32 v[2:3], s[14:15]
	v_mad_u64_u32 v[2:3], s[36:37], s14, v0, v[2:3]
	v_mul_lo_u32 v4, s14, v1
	v_mul_lo_u32 v5, s15, v0
	v_add3_u32 v3, v5, v3, v4
	v_mad_u64_u32 v[0:1], s[36:37], s14, v0, 0
	s_add_u32 s28, s0, 64
	v_lshlrev_b64 v[2:3], 3, v[2:3]
	v_add3_u32 v1, v1, v4, v5
	s_addc_u32 s29, s1, 0
	s_waitcnt lgkmcnt(0)
	s_lshl_b32 s26, s9, 5
	v_lshl_add_u64 v[130:131], s[16:17], 0, v[2:3]
	v_lshl_add_u64 v[132:133], s[18:19], 0, v[2:3]
	v_lshlrev_b64 v[0:1], 3, v[0:1]
	v_mbcnt_lo_u32_b32 v2, -1, 0
	s_mul_i32 s9, s15, s26
	s_mul_hi_u32 s33, s14, s26
	v_lshl_add_u64 v[134:135], s[16:17], 0, v[0:1]
	v_lshl_add_u64 v[136:137], s[18:19], 0, v[0:1]
	v_mov_b64_e32 v[0:1], 0
	v_mbcnt_hi_u32_b32 v2, -1, v2
	s_add_i32 s35, s33, s9
	s_mul_i32 s34, s14, s26
	v_lshlrev_b32_e32 v2, 2, v2
	v_accvgpr_write_b32 a0, v0
	s_mov_b32 s27, 0
	s_mov_b64 s[30:31], 31
	s_lshl_b64 s[34:35], s[34:35], 3
	v_and_b32_e32 v10, 0x100, v2
	v_accvgpr_write_b32 a1, v1
	s_mov_b64 s[36:37], s[10:11]
.LBB38_3:                               ; =>This Inner Loop Header: Depth=1
	s_add_u32 s38, s10, s30
	s_addc_u32 s39, 0, s31
	v_mov_b64_e32 v[2:3], s[12:13]
	v_cmp_ge_i64_e32 vcc, s[38:39], v[2:3]
	v_lshl_add_u64 v[142:143], s[10:11], 0, v[6:7]
	s_cbranch_vccz .LBB38_73
; %bb.4:                                ;   in Loop: Header=BB38_3 Depth=1
	s_load_dword s9, s[28:29], 0xc
	v_accvgpr_read_b32 v2, a2
	v_accvgpr_read_b32 v3, a3
	v_mov_b64_e32 v[156:157], 0
	v_mov_b64_e32 v[146:147], v[156:157]
	s_waitcnt lgkmcnt(0)
	s_and_b32 s9, s9, 0xffff
	v_mad_u32_u24 v2, v3, s9, v2
	v_accvgpr_read_b32 v3, a5
	v_and_b32_e32 v2, 63, v2
	v_accvgpr_write_b32 a5, v3
	v_accvgpr_write_b32 a4, v2
	v_cmp_gt_u32_e32 vcc, 32, v2
	v_mov_b64_e32 v[144:145], v[156:157]
	s_and_saveexec_b64 s[38:39], vcc
	s_cbranch_execz .LBB38_8
; %bb.5:                                ;   in Loop: Header=BB38_3 Depth=1
	v_accvgpr_read_b32 v2, a4
	v_accvgpr_read_b32 v3, a5
	v_lshl_add_u64 v[2:3], v[142:143], 0, v[2:3]
	v_mov_b64_e32 v[144:145], 0
	v_cmp_gt_i64_e32 vcc, s[12:13], v[2:3]
	v_mov_b64_e32 v[146:147], v[144:145]
	s_and_saveexec_b64 s[40:41], vcc
	s_cbranch_execz .LBB38_7
; %bb.6:                                ;   in Loop: Header=BB38_3 Depth=1
	v_lshlrev_b64 v[2:3], 3, v[2:3]
	v_lshl_add_u64 v[4:5], s[22:23], 0, v[2:3]
	v_lshl_add_u64 v[2:3], s[20:21], 0, v[2:3]
	global_load_dwordx2 v[144:145], v[2:3], off
	global_load_dwordx2 v[146:147], v[4:5], off
.LBB38_7:                               ;   in Loop: Header=BB38_3 Depth=1
	s_or_b64 exec, exec, s[40:41]
.LBB38_8:                               ;   in Loop: Header=BB38_3 Depth=1
	s_or_b64 exec, exec, s[38:39]
	v_cmp_gt_i64_e32 vcc, s[12:13], v[142:143]
	s_and_b64 s[40:41], s[6:7], vcc
	v_mov_b64_e32 v[138:139], v[156:157]
	s_and_saveexec_b64 s[38:39], s[40:41]
	s_cbranch_execz .LBB38_10
; %bb.9:                                ;   in Loop: Header=BB38_3 Depth=1
	v_lshl_add_u64 v[2:3], v[134:135], 0, v[8:9]
	global_load_dwordx2 v[156:157], v[2:3], off
	v_lshl_add_u64 v[2:3], v[136:137], 0, v[8:9]
	global_load_dwordx2 v[138:139], v[2:3], off
.LBB38_10:                              ;   in Loop: Header=BB38_3 Depth=1
	s_or_b64 exec, exec, s[38:39]
	v_lshl_add_u64 v[2:3], v[142:143], 0, 1
	v_cmp_gt_i64_e32 vcc, s[12:13], v[2:3]
	v_mov_b64_e32 v[4:5], 0
	s_and_b64 s[40:41], s[6:7], vcc
	v_mov_b64_e32 v[164:165], v[4:5]
	v_mov_b64_e32 v[166:167], v[4:5]
	s_and_saveexec_b64 s[38:39], s[40:41]
	s_cbranch_execz .LBB38_12
; %bb.11:                               ;   in Loop: Header=BB38_3 Depth=1
	v_lshl_add_u64 v[2:3], v[130:131], 0, v[8:9]
	global_load_dwordx2 v[164:165], v[2:3], off
	v_lshl_add_u64 v[2:3], v[132:133], 0, v[8:9]
	global_load_dwordx2 v[166:167], v[2:3], off
.LBB38_12:                              ;   in Loop: Header=BB38_3 Depth=1
	s_or_b64 exec, exec, s[38:39]
	v_lshl_add_u64 v[2:3], v[142:143], 0, 2
	v_cmp_gt_i64_e32 vcc, s[12:13], v[2:3]
	s_and_b64 s[40:41], s[6:7], vcc
	v_mov_b64_e32 v[158:159], v[4:5]
	s_and_saveexec_b64 s[38:39], s[40:41]
	s_cbranch_execz .LBB38_14
; %bb.13:                               ;   in Loop: Header=BB38_3 Depth=1
	v_lshl_add_u64 v[2:3], v[126:127], 0, v[8:9]
	global_load_dwordx2 v[4:5], v[2:3], off
	v_lshl_add_u64 v[2:3], v[128:129], 0, v[8:9]
	global_load_dwordx2 v[158:159], v[2:3], off
.LBB38_14:                              ;   in Loop: Header=BB38_3 Depth=1
	s_or_b64 exec, exec, s[38:39]
	v_lshl_add_u64 v[2:3], v[142:143], 0, 3
	v_cmp_gt_i64_e32 vcc, s[12:13], v[2:3]
	v_mov_b64_e32 v[248:249], 0
	s_and_b64 s[40:41], s[6:7], vcc
	v_mov_b64_e32 v[140:141], v[248:249]
	v_mov_b64_e32 v[154:155], v[248:249]
	s_and_saveexec_b64 s[38:39], s[40:41]
	s_cbranch_execz .LBB38_16
; %bb.15:                               ;   in Loop: Header=BB38_3 Depth=1
	v_lshl_add_u64 v[2:3], v[122:123], 0, v[8:9]
	global_load_dwordx2 v[140:141], v[2:3], off
	v_lshl_add_u64 v[2:3], v[124:125], 0, v[8:9]
	global_load_dwordx2 v[154:155], v[2:3], off
.LBB38_16:                              ;   in Loop: Header=BB38_3 Depth=1
	s_or_b64 exec, exec, s[38:39]
	v_lshl_add_u64 v[2:3], v[142:143], 0, 4
	v_cmp_gt_i64_e32 vcc, s[12:13], v[2:3]
	s_and_b64 s[40:41], s[6:7], vcc
	v_mov_b64_e32 v[254:255], v[248:249]
	s_and_saveexec_b64 s[38:39], s[40:41]
	s_cbranch_execz .LBB38_18
; %bb.17:                               ;   in Loop: Header=BB38_3 Depth=1
	v_lshl_add_u64 v[2:3], v[118:119], 0, v[8:9]
	global_load_dwordx2 v[248:249], v[2:3], off
	v_lshl_add_u64 v[2:3], v[120:121], 0, v[8:9]
	global_load_dwordx2 v[254:255], v[2:3], off
.LBB38_18:                              ;   in Loop: Header=BB38_3 Depth=1
	;; [unrolled: 28-line block ×11, first 2 shown]
	s_or_b64 exec, exec, s[38:39]
	v_lshl_add_u64 v[2:3], v[142:143], 0, 23
	v_cmp_gt_i64_e32 vcc, s[12:13], v[2:3]
	v_mov_b64_e32 v[168:169], 0
	s_and_b64 s[40:41], s[6:7], vcc
	v_mov_b64_e32 v[178:179], v[168:169]
	v_mov_b64_e32 v[180:181], v[168:169]
	s_and_saveexec_b64 s[38:39], s[40:41]
	s_cbranch_execz .LBB38_56
; %bb.55:                               ;   in Loop: Header=BB38_3 Depth=1
	v_lshl_add_u64 v[2:3], v[42:43], 0, v[8:9]
	global_load_dwordx2 v[178:179], v[2:3], off
	v_lshl_add_u64 v[2:3], v[44:45], 0, v[8:9]
	global_load_dwordx2 v[180:181], v[2:3], off
.LBB38_56:                              ;   in Loop: Header=BB38_3 Depth=1
	s_or_b64 exec, exec, s[38:39]
	v_lshl_add_u64 v[2:3], v[142:143], 0, 24
	v_cmp_gt_i64_e32 vcc, s[12:13], v[2:3]
	v_accvgpr_write_b32 a22, v168
	s_and_b64 s[40:41], s[6:7], vcc
	v_accvgpr_write_b32 a23, v169
	s_and_saveexec_b64 s[38:39], s[40:41]
	s_cbranch_execz .LBB38_58
; %bb.57:                               ;   in Loop: Header=BB38_3 Depth=1
	v_lshl_add_u64 v[2:3], v[38:39], 0, v[8:9]
	global_load_dwordx2 v[168:169], v[2:3], off
	v_lshl_add_u64 v[2:3], v[40:41], 0, v[8:9]
	global_load_dwordx2 a[22:23], v[2:3], off
.LBB38_58:                              ;   in Loop: Header=BB38_3 Depth=1
	s_or_b64 exec, exec, s[38:39]
	v_lshl_add_u64 v[2:3], v[142:143], 0, 25
	v_mov_b64_e32 v[160:161], 0
	v_cmp_gt_i64_e32 vcc, s[12:13], v[2:3]
	v_accvgpr_write_b32 a20, v160
	s_and_b64 s[40:41], s[6:7], vcc
	v_mov_b64_e32 v[170:171], v[160:161]
	v_accvgpr_write_b32 a21, v161
	s_and_saveexec_b64 s[38:39], s[40:41]
	s_cbranch_execz .LBB38_60
; %bb.59:                               ;   in Loop: Header=BB38_3 Depth=1
	v_lshl_add_u64 v[2:3], v[34:35], 0, v[8:9]
	global_load_dwordx2 v[170:171], v[2:3], off
	v_lshl_add_u64 v[2:3], v[36:37], 0, v[8:9]
	global_load_dwordx2 a[20:21], v[2:3], off
.LBB38_60:                              ;   in Loop: Header=BB38_3 Depth=1
	s_or_b64 exec, exec, s[38:39]
	v_lshl_add_u64 v[2:3], v[142:143], 0, 26
	v_cmp_gt_i64_e32 vcc, s[12:13], v[2:3]
	v_accvgpr_write_b32 a18, v160
	s_and_b64 s[40:41], s[6:7], vcc
	v_accvgpr_write_b32 a19, v161
	s_and_saveexec_b64 s[38:39], s[40:41]
	s_cbranch_execz .LBB38_62
; %bb.61:                               ;   in Loop: Header=BB38_3 Depth=1
	v_lshl_add_u64 v[2:3], v[30:31], 0, v[8:9]
	global_load_dwordx2 v[160:161], v[2:3], off
	v_lshl_add_u64 v[2:3], v[32:33], 0, v[8:9]
	global_load_dwordx2 a[18:19], v[2:3], off
.LBB38_62:                              ;   in Loop: Header=BB38_3 Depth=1
	s_or_b64 exec, exec, s[38:39]
	v_lshl_add_u64 v[2:3], v[142:143], 0, 27
	v_mov_b64_e32 v[150:151], 0
	v_cmp_gt_i64_e32 vcc, s[12:13], v[2:3]
	v_accvgpr_write_b32 a16, v150
	s_and_b64 s[40:41], s[6:7], vcc
	v_mov_b64_e32 v[162:163], v[150:151]
	v_accvgpr_write_b32 a17, v151
	s_and_saveexec_b64 s[38:39], s[40:41]
	s_cbranch_execz .LBB38_64
; %bb.63:                               ;   in Loop: Header=BB38_3 Depth=1
	v_lshl_add_u64 v[2:3], v[26:27], 0, v[8:9]
	global_load_dwordx2 v[162:163], v[2:3], off
	v_lshl_add_u64 v[2:3], v[28:29], 0, v[8:9]
	global_load_dwordx2 a[16:17], v[2:3], off
.LBB38_64:                              ;   in Loop: Header=BB38_3 Depth=1
	s_or_b64 exec, exec, s[38:39]
	v_lshl_add_u64 v[2:3], v[142:143], 0, 28
	v_cmp_gt_i64_e32 vcc, s[12:13], v[2:3]
	s_and_b64 s[40:41], s[6:7], vcc
	v_mov_b64_e32 v[174:175], v[150:151]
	s_and_saveexec_b64 s[38:39], s[40:41]
	s_cbranch_execz .LBB38_66
; %bb.65:                               ;   in Loop: Header=BB38_3 Depth=1
	v_lshl_add_u64 v[2:3], v[22:23], 0, v[8:9]
	global_load_dwordx2 v[150:151], v[2:3], off
	v_lshl_add_u64 v[2:3], v[24:25], 0, v[8:9]
	global_load_dwordx2 v[174:175], v[2:3], off
.LBB38_66:                              ;   in Loop: Header=BB38_3 Depth=1
	s_or_b64 exec, exec, s[38:39]
	v_lshl_add_u64 v[2:3], v[142:143], 0, 29
	v_cmp_gt_i64_e32 vcc, s[12:13], v[2:3]
	v_mov_b64_e32 v[148:149], 0
	s_and_b64 s[40:41], s[6:7], vcc
	v_mov_b64_e32 v[152:153], v[148:149]
	v_mov_b64_e32 v[172:173], v[148:149]
	s_and_saveexec_b64 s[38:39], s[40:41]
	s_cbranch_execz .LBB38_68
; %bb.67:                               ;   in Loop: Header=BB38_3 Depth=1
	v_lshl_add_u64 v[2:3], v[18:19], 0, v[8:9]
	global_load_dwordx2 v[152:153], v[2:3], off
	v_lshl_add_u64 v[2:3], v[20:21], 0, v[8:9]
	global_load_dwordx2 v[172:173], v[2:3], off
.LBB38_68:                              ;   in Loop: Header=BB38_3 Depth=1
	s_or_b64 exec, exec, s[38:39]
	v_lshl_add_u64 v[2:3], v[142:143], 0, 30
	v_cmp_gt_i64_e32 vcc, s[12:13], v[2:3]
	s_and_b64 s[40:41], s[6:7], vcc
	v_mov_b64_e32 v[2:3], v[148:149]
	s_and_saveexec_b64 s[38:39], s[40:41]
	s_cbranch_execz .LBB38_70
; %bb.69:                               ;   in Loop: Header=BB38_3 Depth=1
	v_lshl_add_u64 v[2:3], v[14:15], 0, v[8:9]
	global_load_dwordx2 v[148:149], v[2:3], off
	v_lshl_add_u64 v[2:3], v[16:17], 0, v[8:9]
	global_load_dwordx2 v[2:3], v[2:3], off
.LBB38_70:                              ;   in Loop: Header=BB38_3 Depth=1
	s_or_b64 exec, exec, s[38:39]
	s_waitcnt vmcnt(0)
	v_accvgpr_write_b32 a13, v3
	v_accvgpr_write_b32 a12, v2
	v_lshl_add_u64 v[2:3], v[142:143], 0, 31
	v_cmp_gt_i64_e32 vcc, s[12:13], v[2:3]
	v_mov_b64_e32 v[2:3], 0
	v_accvgpr_write_b32 a14, v174
	v_accvgpr_write_b32 a10, v172
	;; [unrolled: 1-line block ×5, first 2 shown]
	s_and_b64 s[42:43], s[6:7], vcc
	s_mov_b64 s[38:39], 0
	v_accvgpr_write_b32 a8, v2
	s_and_saveexec_b64 s[40:41], s[42:43]
	s_cbranch_execz .LBB38_72
; %bb.71:                               ;   in Loop: Header=BB38_3 Depth=1
	v_accvgpr_read_b32 v2, a6
	v_accvgpr_read_b32 v3, a7
	v_lshl_add_u64 v[2:3], v[2:3], 0, v[8:9]
	v_lshl_add_u64 v[172:173], v[12:13], 0, v[8:9]
	global_load_dwordx2 v[2:3], v[2:3], off
	s_nop 0
	global_load_dwordx2 a[8:9], v[172:173], off
.LBB38_72:                              ;   in Loop: Header=BB38_3 Depth=1
	s_or_b64 exec, exec, s[40:41]
	ds_bpermute_b32 v174, v10, v144
	ds_bpermute_b32 v175, v10, v145
	;; [unrolled: 1-line block ×4, first 2 shown]
	s_waitcnt lgkmcnt(2)
	v_add_f64 v[138:139], v[138:139], -v[174:175]
	v_mul_f64 v[138:139], v[156:157], v[138:139]
	s_waitcnt lgkmcnt(0)
	v_fma_f64 v[138:139], v[138:139], v[172:173], v[0:1]
	v_accvgpr_read_b32 v173, a1
	ds_bpermute_b32 v174, v10, v144 offset:4
	ds_bpermute_b32 v175, v10, v145 offset:4
	v_accvgpr_read_b32 v172, a0
	v_add_f64 v[156:157], v[172:173], v[156:157]
	ds_bpermute_b32 v172, v10, v146 offset:4
	ds_bpermute_b32 v173, v10, v147 offset:4
	s_waitcnt lgkmcnt(2)
	v_add_f64 v[166:167], v[166:167], -v[174:175]
	v_mul_f64 v[166:167], v[164:165], v[166:167]
	v_add_f64 v[156:157], v[156:157], v[164:165]
	ds_bpermute_b32 v164, v10, v146 offset:8
	s_waitcnt lgkmcnt(1)
	v_fmac_f64_e32 v[138:139], v[166:167], v[172:173]
	ds_bpermute_b32 v166, v10, v144 offset:8
	ds_bpermute_b32 v167, v10, v145 offset:8
	;; [unrolled: 1-line block ×3, first 2 shown]
	s_waitcnt lgkmcnt(1)
	v_add_f64 v[158:159], v[158:159], -v[166:167]
	v_mul_f64 v[158:159], v[4:5], v[158:159]
	s_waitcnt lgkmcnt(0)
	v_fmac_f64_e32 v[138:139], v[158:159], v[164:165]
	ds_bpermute_b32 v158, v10, v144 offset:12
	ds_bpermute_b32 v159, v10, v145 offset:12
	v_add_f64 v[4:5], v[156:157], v[4:5]
	ds_bpermute_b32 v156, v10, v146 offset:12
	ds_bpermute_b32 v157, v10, v147 offset:12
	v_add_f64 v[4:5], v[4:5], v[140:141]
	s_waitcnt lgkmcnt(2)
	v_add_f64 v[154:155], v[154:155], -v[158:159]
	v_mul_f64 v[154:155], v[140:141], v[154:155]
	ds_bpermute_b32 v140, v10, v146 offset:16
	s_waitcnt lgkmcnt(1)
	v_fmac_f64_e32 v[138:139], v[154:155], v[156:157]
	ds_bpermute_b32 v154, v10, v144 offset:16
	ds_bpermute_b32 v155, v10, v145 offset:16
	;; [unrolled: 1-line block ×3, first 2 shown]
	v_accvgpr_read_b32 v157, a23
	v_accvgpr_read_b32 v156, a22
	v_add_f64 v[4:5], v[4:5], v[248:249]
	s_waitcnt lgkmcnt(1)
	v_add_f64 v[154:155], v[254:255], -v[154:155]
	v_mul_f64 v[154:155], v[248:249], v[154:155]
	s_waitcnt lgkmcnt(0)
	v_fmac_f64_e32 v[138:139], v[154:155], v[140:141]
	ds_bpermute_b32 v154, v10, v144 offset:20
	ds_bpermute_b32 v155, v10, v145 offset:20
	ds_bpermute_b32 v140, v10, v146 offset:20
	ds_bpermute_b32 v141, v10, v147 offset:20
	v_add_f64 v[4:5], v[4:5], v[250:251]
	v_add_f64 v[4:5], v[4:5], v[240:241]
	s_waitcnt lgkmcnt(2)
	v_add_f64 v[154:155], v[252:253], -v[154:155]
	v_mul_f64 v[154:155], v[250:251], v[154:155]
	s_waitcnt lgkmcnt(0)
	v_fmac_f64_e32 v[138:139], v[154:155], v[140:141]
	ds_bpermute_b32 v154, v10, v144 offset:24
	ds_bpermute_b32 v155, v10, v145 offset:24
	ds_bpermute_b32 v140, v10, v146 offset:24
	ds_bpermute_b32 v141, v10, v147 offset:24
	v_add_f64 v[4:5], v[4:5], v[242:243]
	;; [unrolled: 11-line block ×13, first 2 shown]
	v_add_f64 v[4:5], v[4:5], v[148:149]
	s_waitcnt lgkmcnt(2)
	v_add_f64 v[154:155], v[204:205], -v[154:155]
	v_mul_f64 v[154:155], v[202:203], v[154:155]
	s_waitcnt lgkmcnt(0)
	v_fmac_f64_e32 v[138:139], v[154:155], v[140:141]
	ds_bpermute_b32 v154, v10, v144 offset:72
	ds_bpermute_b32 v155, v10, v145 offset:72
	ds_bpermute_b32 v140, v10, v146 offset:72
	ds_bpermute_b32 v141, v10, v147 offset:72
	s_waitcnt lgkmcnt(2)
	v_add_f64 v[154:155], v[198:199], -v[154:155]
	v_mul_f64 v[154:155], v[192:193], v[154:155]
	s_waitcnt lgkmcnt(0)
	v_fmac_f64_e32 v[138:139], v[154:155], v[140:141]
	ds_bpermute_b32 v154, v10, v144 offset:76
	ds_bpermute_b32 v155, v10, v145 offset:76
	ds_bpermute_b32 v140, v10, v146 offset:76
	ds_bpermute_b32 v141, v10, v147 offset:76
	;; [unrolled: 9-line block ×8, first 2 shown]
	v_accvgpr_read_b32 v157, a21
	v_accvgpr_read_b32 v156, a20
	s_waitcnt lgkmcnt(2)
	v_add_f64 v[154:155], v[156:157], -v[154:155]
	v_mul_f64 v[154:155], v[170:171], v[154:155]
	s_waitcnt lgkmcnt(0)
	v_fmac_f64_e32 v[138:139], v[154:155], v[140:141]
	ds_bpermute_b32 v154, v10, v144 offset:104
	ds_bpermute_b32 v155, v10, v145 offset:104
	ds_bpermute_b32 v140, v10, v146 offset:104
	ds_bpermute_b32 v141, v10, v147 offset:104
	v_accvgpr_read_b32 v157, a19
	v_accvgpr_read_b32 v156, a18
	s_waitcnt lgkmcnt(2)
	v_add_f64 v[154:155], v[156:157], -v[154:155]
	v_mul_f64 v[154:155], v[160:161], v[154:155]
	s_waitcnt lgkmcnt(0)
	v_fmac_f64_e32 v[138:139], v[154:155], v[140:141]
	ds_bpermute_b32 v154, v10, v144 offset:108
	ds_bpermute_b32 v155, v10, v145 offset:108
	ds_bpermute_b32 v140, v10, v146 offset:108
	ds_bpermute_b32 v141, v10, v147 offset:108
	;; [unrolled: 11-line block ×3, first 2 shown]
	v_accvgpr_read_b32 v157, a15
	v_accvgpr_read_b32 v156, a14
	s_waitcnt lgkmcnt(2)
	v_add_f64 v[154:155], v[156:157], -v[154:155]
	v_mul_f64 v[154:155], v[150:151], v[154:155]
	ds_bpermute_b32 v150, v10, v144 offset:116
	ds_bpermute_b32 v151, v10, v145 offset:116
	s_waitcnt lgkmcnt(2)
	v_fmac_f64_e32 v[138:139], v[154:155], v[140:141]
	ds_bpermute_b32 v140, v10, v146 offset:116
	ds_bpermute_b32 v141, v10, v147 offset:116
	v_accvgpr_read_b32 v155, a11
	v_accvgpr_read_b32 v154, a10
	s_waitcnt lgkmcnt(2)
	v_add_f64 v[150:151], v[154:155], -v[150:151]
	v_mul_f64 v[150:151], v[152:153], v[150:151]
	s_waitcnt lgkmcnt(0)
	v_fmac_f64_e32 v[138:139], v[150:151], v[140:141]
	ds_bpermute_b32 v150, v10, v144 offset:120
	ds_bpermute_b32 v151, v10, v145 offset:120
	ds_bpermute_b32 v140, v10, v146 offset:120
	ds_bpermute_b32 v141, v10, v147 offset:120
	v_accvgpr_read_b32 v153, a13
	v_accvgpr_read_b32 v152, a12
	s_waitcnt lgkmcnt(2)
	v_add_f64 v[150:151], v[152:153], -v[150:151]
	v_mul_f64 v[150:151], v[148:149], v[150:151]
	s_waitcnt lgkmcnt(0)
	v_fmac_f64_e32 v[138:139], v[150:151], v[140:141]
	ds_bpermute_b32 v140, v10, v146 offset:124
	ds_bpermute_b32 v141, v10, v147 offset:124
	;; [unrolled: 1-line block ×4, first 2 shown]
	s_and_b64 vcc, exec, s[38:39]
	s_cbranch_vccnz .LBB38_74
	s_branch .LBB38_143
.LBB38_73:                              ;   in Loop: Header=BB38_3 Depth=1
                                        ; implicit-def: $vgpr140_vgpr141
                                        ; implicit-def: $vgpr2_vgpr3
                                        ; implicit-def: $agpr8_agpr9
                                        ; implicit-def: $vgpr144
                                        ; implicit-def: $vgpr4_vgpr5
                                        ; implicit-def: $vgpr138_vgpr139
	s_cbranch_execz .LBB38_143
.LBB38_74:                              ;   in Loop: Header=BB38_3 Depth=1
	s_load_dword s9, s[28:29], 0x0
	v_accvgpr_read_b32 v5, a5
	s_waitcnt vmcnt(1)
	v_accvgpr_read_b32 v3, a2
	v_accvgpr_read_b32 v4, a3
	v_mov_b64_e32 v[146:147], 0
	s_waitcnt lgkmcnt(0)
	s_cmp_lt_u32 s2, s9
	s_cselect_b32 s9, 12, 18
	s_add_u32 s38, s28, s9
	s_addc_u32 s39, s29, 0
	global_load_ushort v2, v5, s[38:39]
	v_mov_b64_e32 v[144:145], v[146:147]
	v_mov_b64_e32 v[138:139], v[146:147]
	s_waitcnt vmcnt(0)
	v_mad_u32_u24 v2, v4, v2, v3
	v_and_b32_e32 v4, 63, v2
	v_accvgpr_write_b32 a4, v4
	v_accvgpr_write_b32 a5, v5
	v_cmp_gt_u32_e32 vcc, 32, v4
	s_and_saveexec_b64 s[38:39], vcc
	s_cbranch_execz .LBB38_78
; %bb.75:                               ;   in Loop: Header=BB38_3 Depth=1
	v_accvgpr_read_b32 v2, a4
	v_accvgpr_read_b32 v3, a5
	v_lshl_add_u64 v[2:3], v[142:143], 0, v[2:3]
	v_mov_b64_e32 v[138:139], 0
	v_cmp_gt_i64_e32 vcc, s[12:13], v[2:3]
	v_mov_b64_e32 v[144:145], v[138:139]
	s_and_saveexec_b64 s[40:41], vcc
	s_cbranch_execz .LBB38_77
; %bb.76:                               ;   in Loop: Header=BB38_3 Depth=1
	v_lshlrev_b64 v[2:3], 3, v[2:3]
	v_lshl_add_u64 v[4:5], s[22:23], 0, v[2:3]
	v_lshl_add_u64 v[2:3], s[20:21], 0, v[2:3]
	global_load_dwordx2 v[138:139], v[2:3], off
	global_load_dwordx2 v[144:145], v[4:5], off
.LBB38_77:                              ;   in Loop: Header=BB38_3 Depth=1
	s_or_b64 exec, exec, s[40:41]
.LBB38_78:                              ;   in Loop: Header=BB38_3 Depth=1
	s_or_b64 exec, exec, s[38:39]
	v_mov_b64_e32 v[160:161], v[146:147]
	s_and_saveexec_b64 s[38:39], s[6:7]
	s_cbranch_execz .LBB38_80
; %bb.79:                               ;   in Loop: Header=BB38_3 Depth=1
	v_lshl_add_u64 v[2:3], v[134:135], 0, v[8:9]
	global_load_dwordx2 v[146:147], v[2:3], off
	v_lshl_add_u64 v[2:3], v[136:137], 0, v[8:9]
	global_load_dwordx2 v[160:161], v[2:3], off
.LBB38_80:                              ;   in Loop: Header=BB38_3 Depth=1
	s_or_b64 exec, exec, s[38:39]
	v_mov_b64_e32 v[248:249], 0
	v_mov_b64_e32 v[152:153], v[248:249]
	v_mov_b64_e32 v[154:155], v[248:249]
	s_and_saveexec_b64 s[38:39], s[6:7]
	s_cbranch_execz .LBB38_82
; %bb.81:                               ;   in Loop: Header=BB38_3 Depth=1
	v_lshl_add_u64 v[2:3], v[130:131], 0, v[8:9]
	global_load_dwordx2 v[152:153], v[2:3], off
	v_lshl_add_u64 v[2:3], v[132:133], 0, v[8:9]
	global_load_dwordx2 v[154:155], v[2:3], off
.LBB38_82:                              ;   in Loop: Header=BB38_3 Depth=1
	s_or_b64 exec, exec, s[38:39]
	v_mov_b64_e32 v[254:255], v[248:249]
	s_and_saveexec_b64 s[38:39], s[6:7]
	s_cbranch_execz .LBB38_84
; %bb.83:                               ;   in Loop: Header=BB38_3 Depth=1
	v_lshl_add_u64 v[2:3], v[126:127], 0, v[8:9]
	global_load_dwordx2 v[248:249], v[2:3], off
	v_lshl_add_u64 v[2:3], v[128:129], 0, v[8:9]
	global_load_dwordx2 v[254:255], v[2:3], off
.LBB38_84:                              ;   in Loop: Header=BB38_3 Depth=1
	s_or_b64 exec, exec, s[38:39]
	v_mov_b64_e32 v[240:241], 0
	v_mov_b64_e32 v[250:251], v[240:241]
	v_mov_b64_e32 v[252:253], v[240:241]
	s_and_saveexec_b64 s[38:39], s[6:7]
	s_cbranch_execz .LBB38_86
; %bb.85:                               ;   in Loop: Header=BB38_3 Depth=1
	v_lshl_add_u64 v[2:3], v[122:123], 0, v[8:9]
	global_load_dwordx2 v[250:251], v[2:3], off
	v_lshl_add_u64 v[2:3], v[124:125], 0, v[8:9]
	global_load_dwordx2 v[252:253], v[2:3], off
.LBB38_86:                              ;   in Loop: Header=BB38_3 Depth=1
	;; [unrolled: 22-line block ×5, first 2 shown]
	s_or_b64 exec, exec, s[38:39]
	v_mov_b64_e32 v[226:227], v[220:221]
	s_and_saveexec_b64 s[38:39], s[6:7]
	s_cbranch_execz .LBB38_100
; %bb.99:                               ;   in Loop: Header=BB38_3 Depth=1
	v_lshl_add_u64 v[2:3], v[94:95], 0, v[8:9]
	global_load_dwordx2 v[220:221], v[2:3], off
	v_lshl_add_u64 v[2:3], v[96:97], 0, v[8:9]
	global_load_dwordx2 v[226:227], v[2:3], off
.LBB38_100:                             ;   in Loop: Header=BB38_3 Depth=1
	s_or_b64 exec, exec, s[38:39]
	v_mov_b64_e32 v[212:213], 0
	v_mov_b64_e32 v[222:223], v[212:213]
	v_mov_b64_e32 v[224:225], v[212:213]
	s_and_saveexec_b64 s[38:39], s[6:7]
	s_cbranch_execz .LBB38_102
; %bb.101:                              ;   in Loop: Header=BB38_3 Depth=1
	v_lshl_add_u64 v[2:3], v[90:91], 0, v[8:9]
	global_load_dwordx2 v[222:223], v[2:3], off
	v_lshl_add_u64 v[2:3], v[92:93], 0, v[8:9]
	global_load_dwordx2 v[224:225], v[2:3], off
.LBB38_102:                             ;   in Loop: Header=BB38_3 Depth=1
	s_or_b64 exec, exec, s[38:39]
	v_mov_b64_e32 v[218:219], v[212:213]
	s_and_saveexec_b64 s[38:39], s[6:7]
	s_cbranch_execz .LBB38_104
; %bb.103:                              ;   in Loop: Header=BB38_3 Depth=1
	v_lshl_add_u64 v[2:3], v[86:87], 0, v[8:9]
	global_load_dwordx2 v[212:213], v[2:3], off
	v_lshl_add_u64 v[2:3], v[88:89], 0, v[8:9]
	global_load_dwordx2 v[218:219], v[2:3], off
.LBB38_104:                             ;   in Loop: Header=BB38_3 Depth=1
	s_or_b64 exec, exec, s[38:39]
	v_mov_b64_e32 v[204:205], 0
	v_mov_b64_e32 v[214:215], v[204:205]
	v_mov_b64_e32 v[216:217], v[204:205]
	s_and_saveexec_b64 s[38:39], s[6:7]
	s_cbranch_execz .LBB38_106
; %bb.105:                              ;   in Loop: Header=BB38_3 Depth=1
	v_lshl_add_u64 v[2:3], v[82:83], 0, v[8:9]
	global_load_dwordx2 v[214:215], v[2:3], off
	v_lshl_add_u64 v[2:3], v[84:85], 0, v[8:9]
	global_load_dwordx2 v[216:217], v[2:3], off
.LBB38_106:                             ;   in Loop: Header=BB38_3 Depth=1
	s_or_b64 exec, exec, s[38:39]
	v_mov_b64_e32 v[210:211], v[204:205]
	s_and_saveexec_b64 s[38:39], s[6:7]
	s_cbranch_execz .LBB38_108
; %bb.107:                              ;   in Loop: Header=BB38_3 Depth=1
	v_lshl_add_u64 v[2:3], v[78:79], 0, v[8:9]
	global_load_dwordx2 v[204:205], v[2:3], off
	v_lshl_add_u64 v[2:3], v[80:81], 0, v[8:9]
	global_load_dwordx2 v[210:211], v[2:3], off
.LBB38_108:                             ;   in Loop: Header=BB38_3 Depth=1
	;; [unrolled: 22-line block ×7, first 2 shown]
	s_or_b64 exec, exec, s[38:39]
	v_mov_b64_e32 v[156:157], 0
	v_accvgpr_write_b32 a20, v156
	v_mov_b64_e32 v[166:167], v[156:157]
	v_accvgpr_write_b32 a21, v157
	s_and_saveexec_b64 s[38:39], s[6:7]
	s_cbranch_execz .LBB38_130
; %bb.129:                              ;   in Loop: Header=BB38_3 Depth=1
	v_lshl_add_u64 v[2:3], v[34:35], 0, v[8:9]
	global_load_dwordx2 v[166:167], v[2:3], off
	v_lshl_add_u64 v[2:3], v[36:37], 0, v[8:9]
	global_load_dwordx2 a[20:21], v[2:3], off
.LBB38_130:                             ;   in Loop: Header=BB38_3 Depth=1
	s_or_b64 exec, exec, s[38:39]
	v_accvgpr_write_b32 a18, v156
	v_accvgpr_write_b32 a19, v157
	s_and_saveexec_b64 s[38:39], s[6:7]
	s_cbranch_execz .LBB38_132
; %bb.131:                              ;   in Loop: Header=BB38_3 Depth=1
	v_lshl_add_u64 v[2:3], v[30:31], 0, v[8:9]
	global_load_dwordx2 v[156:157], v[2:3], off
	v_lshl_add_u64 v[2:3], v[32:33], 0, v[8:9]
	global_load_dwordx2 a[18:19], v[2:3], off
.LBB38_132:                             ;   in Loop: Header=BB38_3 Depth=1
	s_or_b64 exec, exec, s[38:39]
	v_mov_b64_e32 v[148:149], 0
	v_accvgpr_write_b32 a16, v148
	v_mov_b64_e32 v[158:159], v[148:149]
	v_accvgpr_write_b32 a17, v149
	s_and_saveexec_b64 s[38:39], s[6:7]
	s_cbranch_execz .LBB38_134
; %bb.133:                              ;   in Loop: Header=BB38_3 Depth=1
	v_lshl_add_u64 v[2:3], v[26:27], 0, v[8:9]
	global_load_dwordx2 v[158:159], v[2:3], off
	v_lshl_add_u64 v[2:3], v[28:29], 0, v[8:9]
	global_load_dwordx2 a[16:17], v[2:3], off
.LBB38_134:                             ;   in Loop: Header=BB38_3 Depth=1
	s_or_b64 exec, exec, s[38:39]
	v_mov_b64_e32 v[168:169], v[148:149]
	s_and_saveexec_b64 s[38:39], s[6:7]
	s_cbranch_execz .LBB38_136
; %bb.135:                              ;   in Loop: Header=BB38_3 Depth=1
	v_lshl_add_u64 v[2:3], v[22:23], 0, v[8:9]
	global_load_dwordx2 v[148:149], v[2:3], off
	v_lshl_add_u64 v[2:3], v[24:25], 0, v[8:9]
	global_load_dwordx2 v[168:169], v[2:3], off
.LBB38_136:                             ;   in Loop: Header=BB38_3 Depth=1
	s_or_b64 exec, exec, s[38:39]
	v_mov_b64_e32 v[142:143], 0
	v_mov_b64_e32 v[150:151], v[142:143]
	;; [unrolled: 1-line block ×3, first 2 shown]
	s_and_saveexec_b64 s[38:39], s[6:7]
	s_cbranch_execz .LBB38_138
; %bb.137:                              ;   in Loop: Header=BB38_3 Depth=1
	v_lshl_add_u64 v[2:3], v[18:19], 0, v[8:9]
	global_load_dwordx2 v[150:151], v[2:3], off
	v_lshl_add_u64 v[2:3], v[20:21], 0, v[8:9]
	global_load_dwordx2 v[162:163], v[2:3], off
.LBB38_138:                             ;   in Loop: Header=BB38_3 Depth=1
	s_or_b64 exec, exec, s[38:39]
	v_mov_b64_e32 v[2:3], v[142:143]
	s_and_saveexec_b64 s[38:39], s[6:7]
	s_cbranch_execz .LBB38_140
; %bb.139:                              ;   in Loop: Header=BB38_3 Depth=1
	v_lshl_add_u64 v[2:3], v[14:15], 0, v[8:9]
	global_load_dwordx2 v[142:143], v[2:3], off
	v_lshl_add_u64 v[2:3], v[16:17], 0, v[8:9]
	global_load_dwordx2 v[2:3], v[2:3], off
.LBB38_140:                             ;   in Loop: Header=BB38_3 Depth=1
	s_or_b64 exec, exec, s[38:39]
	s_waitcnt vmcnt(0)
	v_accvgpr_write_b32 a11, v3
	v_accvgpr_write_b32 a10, v2
	v_mov_b64_e32 v[2:3], 0
	v_accvgpr_write_b32 a14, v168
	v_accvgpr_write_b32 a12, v162
	;; [unrolled: 1-line block ×6, first 2 shown]
	s_and_saveexec_b64 s[38:39], s[6:7]
	s_cbranch_execz .LBB38_142
; %bb.141:                              ;   in Loop: Header=BB38_3 Depth=1
	v_accvgpr_read_b32 v2, a6
	v_accvgpr_read_b32 v3, a7
	v_lshl_add_u64 v[2:3], v[2:3], 0, v[8:9]
	v_lshl_add_u64 v[162:163], v[12:13], 0, v[8:9]
	global_load_dwordx2 v[2:3], v[2:3], off
	s_nop 0
	global_load_dwordx2 a[8:9], v[162:163], off
.LBB38_142:                             ;   in Loop: Header=BB38_3 Depth=1
	s_or_b64 exec, exec, s[38:39]
	ds_bpermute_b32 v168, v10, v138
	ds_bpermute_b32 v169, v10, v139
	;; [unrolled: 1-line block ×4, first 2 shown]
	s_waitcnt lgkmcnt(2)
	v_add_f64 v[160:161], v[160:161], -v[168:169]
	v_mul_f64 v[160:161], v[146:147], v[160:161]
	s_waitcnt lgkmcnt(0)
	v_fmac_f64_e32 v[0:1], v[160:161], v[162:163]
	v_accvgpr_read_b32 v161, a1
	ds_bpermute_b32 v162, v10, v138 offset:4
	ds_bpermute_b32 v163, v10, v139 offset:4
	v_accvgpr_read_b32 v160, a0
	v_add_f64 v[146:147], v[160:161], v[146:147]
	ds_bpermute_b32 v160, v10, v144 offset:4
	ds_bpermute_b32 v161, v10, v145 offset:4
	s_waitcnt lgkmcnt(2)
	v_add_f64 v[154:155], v[154:155], -v[162:163]
	v_mul_f64 v[154:155], v[152:153], v[154:155]
	v_add_f64 v[146:147], v[146:147], v[152:153]
	ds_bpermute_b32 v152, v10, v144 offset:8
	s_waitcnt lgkmcnt(1)
	v_fmac_f64_e32 v[0:1], v[154:155], v[160:161]
	ds_bpermute_b32 v154, v10, v138 offset:8
	ds_bpermute_b32 v155, v10, v139 offset:8
	;; [unrolled: 1-line block ×3, first 2 shown]
	v_add_f64 v[146:147], v[146:147], v[248:249]
	v_add_f64 v[146:147], v[146:147], v[250:251]
	;; [unrolled: 1-line block ×3, first 2 shown]
	s_waitcnt lgkmcnt(1)
	v_add_f64 v[154:155], v[254:255], -v[154:155]
	v_mul_f64 v[154:155], v[248:249], v[154:155]
	s_waitcnt lgkmcnt(0)
	v_fmac_f64_e32 v[0:1], v[154:155], v[152:153]
	ds_bpermute_b32 v154, v10, v138 offset:12
	ds_bpermute_b32 v155, v10, v139 offset:12
	;; [unrolled: 1-line block ×4, first 2 shown]
	v_add_f64 v[146:147], v[146:147], v[242:243]
	s_waitcnt lgkmcnt(2)
	v_add_f64 v[154:155], v[252:253], -v[154:155]
	v_mul_f64 v[154:155], v[250:251], v[154:155]
	s_waitcnt lgkmcnt(0)
	v_fmac_f64_e32 v[0:1], v[154:155], v[152:153]
	ds_bpermute_b32 v154, v10, v138 offset:16
	ds_bpermute_b32 v155, v10, v139 offset:16
	ds_bpermute_b32 v152, v10, v144 offset:16
	ds_bpermute_b32 v153, v10, v145 offset:16
	s_waitcnt lgkmcnt(2)
	v_add_f64 v[154:155], v[246:247], -v[154:155]
	v_mul_f64 v[154:155], v[240:241], v[154:155]
	s_waitcnt lgkmcnt(0)
	v_fmac_f64_e32 v[0:1], v[154:155], v[152:153]
	ds_bpermute_b32 v154, v10, v138 offset:20
	ds_bpermute_b32 v155, v10, v139 offset:20
	ds_bpermute_b32 v152, v10, v144 offset:20
	ds_bpermute_b32 v153, v10, v145 offset:20
	;; [unrolled: 9-line block ×3, first 2 shown]
	s_waitcnt lgkmcnt(2)
	v_add_f64 v[154:155], v[238:239], -v[154:155]
	v_mul_f64 v[154:155], v[140:141], v[154:155]
	s_waitcnt lgkmcnt(0)
	v_fmac_f64_e32 v[0:1], v[154:155], v[152:153]
	ds_bpermute_b32 v152, v10, v138 offset:28
	ds_bpermute_b32 v153, v10, v139 offset:28
	v_add_f64 v[140:141], v[146:147], v[140:141]
	ds_bpermute_b32 v146, v10, v144 offset:28
	ds_bpermute_b32 v147, v10, v145 offset:28
	v_add_f64 v[140:141], v[140:141], v[234:235]
	s_waitcnt lgkmcnt(2)
	v_add_f64 v[152:153], v[236:237], -v[152:153]
	v_mul_f64 v[152:153], v[234:235], v[152:153]
	s_waitcnt lgkmcnt(0)
	v_fmac_f64_e32 v[0:1], v[152:153], v[146:147]
	ds_bpermute_b32 v152, v10, v138 offset:32
	ds_bpermute_b32 v153, v10, v139 offset:32
	;; [unrolled: 1-line block ×4, first 2 shown]
	s_waitcnt lgkmcnt(2)
	v_add_f64 v[4:5], v[4:5], -v[152:153]
	v_mul_f64 v[4:5], v[228:229], v[4:5]
	s_waitcnt lgkmcnt(0)
	v_fmac_f64_e32 v[0:1], v[4:5], v[146:147]
	ds_bpermute_b32 v146, v10, v138 offset:36
	ds_bpermute_b32 v147, v10, v139 offset:36
	v_add_f64 v[4:5], v[140:141], v[228:229]
	ds_bpermute_b32 v140, v10, v144 offset:36
	ds_bpermute_b32 v141, v10, v145 offset:36
	v_accvgpr_read_b32 v153, a21
	s_waitcnt lgkmcnt(2)
	v_add_f64 v[146:147], v[232:233], -v[146:147]
	v_mul_f64 v[146:147], v[230:231], v[146:147]
	v_accvgpr_read_b32 v152, a20
	s_waitcnt lgkmcnt(0)
	v_fmac_f64_e32 v[0:1], v[146:147], v[140:141]
	ds_bpermute_b32 v146, v10, v138 offset:40
	ds_bpermute_b32 v147, v10, v139 offset:40
	ds_bpermute_b32 v140, v10, v144 offset:40
	ds_bpermute_b32 v141, v10, v145 offset:40
	v_add_f64 v[4:5], v[4:5], v[230:231]
	v_add_f64 v[4:5], v[4:5], v[220:221]
	s_waitcnt lgkmcnt(2)
	v_add_f64 v[146:147], v[226:227], -v[146:147]
	v_mul_f64 v[146:147], v[220:221], v[146:147]
	s_waitcnt lgkmcnt(0)
	v_fmac_f64_e32 v[0:1], v[146:147], v[140:141]
	ds_bpermute_b32 v146, v10, v138 offset:44
	ds_bpermute_b32 v147, v10, v139 offset:44
	ds_bpermute_b32 v140, v10, v144 offset:44
	ds_bpermute_b32 v141, v10, v145 offset:44
	v_add_f64 v[4:5], v[4:5], v[222:223]
	v_add_f64 v[4:5], v[4:5], v[212:213]
	s_waitcnt lgkmcnt(2)
	v_add_f64 v[146:147], v[224:225], -v[146:147]
	v_mul_f64 v[146:147], v[222:223], v[146:147]
	;; [unrolled: 11-line block ×11, first 2 shown]
	s_waitcnt lgkmcnt(0)
	v_fmac_f64_e32 v[0:1], v[146:147], v[140:141]
	ds_bpermute_b32 v146, v10, v138 offset:84
	ds_bpermute_b32 v147, v10, v139 offset:84
	ds_bpermute_b32 v140, v10, v144 offset:84
	ds_bpermute_b32 v141, v10, v145 offset:84
	s_waitcnt lgkmcnt(2)
	v_add_f64 v[146:147], v[184:185], -v[146:147]
	v_mul_f64 v[146:147], v[182:183], v[146:147]
	s_waitcnt lgkmcnt(0)
	v_fmac_f64_e32 v[0:1], v[146:147], v[140:141]
	ds_bpermute_b32 v146, v10, v138 offset:88
	ds_bpermute_b32 v147, v10, v139 offset:88
	ds_bpermute_b32 v140, v10, v144 offset:88
	ds_bpermute_b32 v141, v10, v145 offset:88
	s_waitcnt lgkmcnt(2)
	v_add_f64 v[146:147], v[178:179], -v[146:147]
	v_mul_f64 v[146:147], v[172:173], v[146:147]
	;; [unrolled: 9-line block ×5, first 2 shown]
	s_waitcnt lgkmcnt(0)
	v_fmac_f64_e32 v[0:1], v[146:147], v[140:141]
	ds_bpermute_b32 v146, v10, v138 offset:104
	ds_bpermute_b32 v147, v10, v139 offset:104
	ds_bpermute_b32 v140, v10, v144 offset:104
	ds_bpermute_b32 v141, v10, v145 offset:104
	v_accvgpr_read_b32 v153, a19
	v_accvgpr_read_b32 v152, a18
	s_waitcnt lgkmcnt(2)
	v_add_f64 v[146:147], v[152:153], -v[146:147]
	v_mul_f64 v[146:147], v[156:157], v[146:147]
	s_waitcnt lgkmcnt(0)
	v_fmac_f64_e32 v[0:1], v[146:147], v[140:141]
	ds_bpermute_b32 v146, v10, v138 offset:108
	ds_bpermute_b32 v147, v10, v139 offset:108
	ds_bpermute_b32 v140, v10, v144 offset:108
	ds_bpermute_b32 v141, v10, v145 offset:108
	v_accvgpr_read_b32 v153, a17
	v_accvgpr_read_b32 v152, a16
	s_waitcnt lgkmcnt(2)
	v_add_f64 v[146:147], v[152:153], -v[146:147]
	v_mul_f64 v[146:147], v[158:159], v[146:147]
	;; [unrolled: 11-line block ×5, first 2 shown]
	s_waitcnt lgkmcnt(0)
	v_fmac_f64_e32 v[0:1], v[146:147], v[140:141]
	ds_bpermute_b32 v140, v10, v144 offset:124
	ds_bpermute_b32 v141, v10, v145 offset:124
	;; [unrolled: 1-line block ×4, first 2 shown]
	v_mov_b64_e32 v[138:139], v[0:1]
.LBB38_143:                             ;   in Loop: Header=BB38_3 Depth=1
	s_waitcnt vmcnt(0)
	v_accvgpr_read_b32 v0, a8
	v_accvgpr_read_b32 v1, a9
	s_waitcnt lgkmcnt(0)
	v_add_f64 v[0:1], v[0:1], -v[144:145]
	v_mul_f64 v[0:1], v[2:3], v[0:1]
	v_fmac_f64_e32 v[138:139], v[0:1], v[140:141]
	v_accvgpr_read_b32 v0, a6
	v_accvgpr_read_b32 v1, a7
	v_lshl_add_u64 v[0:1], v[0:1], 0, s[34:35]
	s_add_u32 s36, s36, s26
	v_accvgpr_write_b32 a7, v1
	s_addc_u32 s37, s37, 0
	v_accvgpr_write_b32 a6, v0
	v_mov_b64_e32 v[0:1], s[12:13]
	s_add_u32 s30, s30, s26
	v_cmp_lt_i64_e32 vcc, s[36:37], v[0:1]
	v_add_f64 v[140:141], v[4:5], v[2:3]
	v_lshl_add_u64 v[12:13], v[12:13], 0, s[34:35]
	v_lshl_add_u64 v[14:15], v[14:15], 0, s[34:35]
	;; [unrolled: 1-line block ×64, first 2 shown]
	s_addc_u32 s31, s31, 0
	s_cbranch_vccz .LBB38_146
; %bb.144:                              ;   in Loop: Header=BB38_3 Depth=1
	v_accvgpr_write_b32 a0, v140
	v_accvgpr_write_b32 a1, v141
	v_mov_b64_e32 v[0:1], v[138:139]
	s_branch .LBB38_3
.LBB38_145:
	s_mov_b64 s[24:25], -1
                                        ; implicit-def: $vgpr140_vgpr141
                                        ; implicit-def: $vgpr138_vgpr139
.LBB38_146:
	s_andn2_b64 vcc, exec, s[24:25]
	s_cbranch_vccnz .LBB38_228
; %bb.147:
	v_mov_b64_e32 v[140:141], 0
	s_and_b64 vcc, exec, s[4:5]
	v_mov_b64_e32 v[138:139], v[140:141]
	s_cbranch_vccnz .LBB38_228
; %bb.148:
	v_and_b32_e32 v0, 0x3ff, v11
	v_accvgpr_write_b32 a2, v0
	v_add_u32_e32 v0, s3, v0
	v_mov_b32_e32 v1, 0
	v_bfe_u32 v2, v11, 10, 10
	v_lshlrev_b64 v[8:9], 3, v[0:1]
	v_lshlrev_b32_e32 v0, 8, v2
	v_mov_b32_e32 v105, v1
	v_accvgpr_write_b32 a5, v1
	v_lshl_add_u64 v[0:1], s[10:11], 3, v[0:1]
	v_mov_b64_e32 v[6:7], s[16:17]
	v_lshl_add_u64 v[48:49], v[0:1], 0, 16
	v_lshl_add_u64 v[50:51], v[0:1], 0, 24
	;; [unrolled: 1-line block ×7, first 2 shown]
	v_mad_u64_u32 v[108:109], s[26:27], s14, v48, v[6:7]
	v_mad_u64_u32 v[142:143], s[26:27], s14, v50, v[6:7]
	v_mad_u64_u32 v[146:147], s[26:27], s14, v52, v[6:7]
	v_mad_u64_u32 v[148:149], s[26:27], s14, v54, v[6:7]
	v_mad_u64_u32 v[122:123], s[26:27], s14, v58, v[6:7]
	v_mad_u64_u32 v[124:125], s[26:27], s14, v62, v[6:7]
	v_mad_u64_u32 v[126:127], s[26:27], s14, v64, v[6:7]
	s_mov_b64 s[26:27], 0x48
	s_nop 0
	v_lshl_add_u64 v[66:67], v[0:1], 0, s[26:27]
	v_mad_u64_u32 v[128:129], s[26:27], s14, v66, v[6:7]
	s_mov_b64 s[26:27], 0x50
	s_nop 0
	v_lshl_add_u64 v[60:61], v[0:1], 0, s[26:27]
	v_mad_u64_u32 v[130:131], s[26:27], s14, v60, v[6:7]
	;; [unrolled: 4-line block ×18, first 2 shown]
	s_mov_b64 s[26:27], 0xd8
	s_nop 0
	v_lshl_add_u64 v[14:15], v[0:1], 0, s[26:27]
	v_lshlrev_b32_e32 v104, 5, v2
	v_accvgpr_write_b32 a3, v2
	v_mad_u64_u32 v[2:3], s[26:27], s14, v14, v[6:7]
	v_mul_lo_u32 v98, s14, v15
	v_mul_lo_u32 v99, s15, v14
	v_add3_u32 v3, v99, v3, v98
	s_mov_b64 s[26:27], 0xe0
	v_accvgpr_write_b32 a33, v3
	v_lshl_add_u64 v[12:13], v[0:1], 0, s[26:27]
	v_accvgpr_write_b32 a32, v2
	v_mad_u64_u32 v[2:3], s[26:27], s14, v12, v[6:7]
	v_mul_lo_u32 v100, s14, v13
	v_mul_lo_u32 v101, s15, v12
	v_add3_u32 v3, v101, v3, v100
	s_mov_b64 s[26:27], 0xe8
	v_mov_b32_e32 v151, v11
	v_accvgpr_write_b32 a35, v3
	v_lshl_add_u64 v[10:11], v[0:1], 0, s[26:27]
	v_mul_lo_u32 v94, s14, v19
	v_accvgpr_write_b32 a34, v2
	v_mad_u64_u32 v[2:3], s[26:27], s14, v10, v[6:7]
	v_mul_lo_u32 v19, s14, v11
	v_mul_lo_u32 v102, s15, v10
	v_add3_u32 v3, v102, v3, v19
	s_mov_b64 s[26:27], 0xf0
	v_accvgpr_write_b32 a37, v3
	v_lshl_add_u64 v[4:5], v[0:1], 0, s[26:27]
	v_mul_lo_u32 v96, s14, v17
	v_accvgpr_write_b32 a36, v2
	v_mad_u64_u32 v[2:3], s[26:27], s14, v4, v[6:7]
	v_mul_lo_u32 v15, s14, v5
	v_mul_lo_u32 v17, s15, v4
	v_add3_u32 v3, v17, v3, v15
	v_accvgpr_write_b32 a39, v3
	s_mov_b64 s[26:27], 0xf8
	v_accvgpr_write_b32 a38, v2
	v_lshl_add_u64 v[2:3], v[0:1], 0, s[26:27]
	v_lshl_add_u64 v[40:41], v[0:1], 0, 8
	v_mad_u64_u32 v[0:1], s[26:27], s14, v2, v[6:7]
	v_mul_lo_u32 v11, s14, v3
	v_mul_lo_u32 v13, s15, v2
	v_add3_u32 v1, v13, v1, v11
	v_accvgpr_write_b32 a41, v1
	v_accvgpr_write_b32 a40, v0
	v_lshl_add_u64 v[0:1], v[104:105], 0, s[10:11]
	v_mad_u64_u32 v[106:107], s[24:25], s14, v40, v[6:7]
	v_mul_lo_u32 v3, s15, v0
	v_mul_lo_u32 v5, s14, v1
	v_mad_u64_u32 v[6:7], s[26:27], s14, v0, 0
	v_add3_u32 v7, v7, v5, v3
	v_lshlrev_b64 v[6:7], 3, v[6:7]
	v_lshl_add_u64 v[68:69], s[16:17], 0, v[6:7]
	v_accvgpr_write_b32 a42, v68
	v_accvgpr_write_b32 a43, v69
	v_mov_b64_e32 v[68:69], s[18:19]
	v_mul_lo_u32 v41, s14, v41
	v_mul_lo_u32 v70, s15, v40
	v_mad_u64_u32 v[120:121], s[26:27], s14, v40, v[68:69]
	v_add3_u32 v107, v70, v107, v41
	v_mul_lo_u32 v49, s14, v49
	v_mul_lo_u32 v71, s15, v48
	v_add3_u32 v121, v70, v121, v41
	v_mad_u64_u32 v[40:41], s[26:27], s14, v48, v[68:69]
	v_add3_u32 v41, v71, v41, v49
	v_accvgpr_write_b32 a47, v41
	v_mul_lo_u32 v51, s14, v51
	v_mul_lo_u32 v72, s15, v50
	v_accvgpr_write_b32 a46, v40
	v_mad_u64_u32 v[40:41], s[26:27], s14, v50, v[68:69]
	v_add3_u32 v41, v72, v41, v51
	v_accvgpr_write_b32 a49, v41
	v_mul_lo_u32 v53, s14, v53
	v_mul_lo_u32 v73, s15, v52
	v_accvgpr_write_b32 a48, v40
	;; [unrolled: 6-line block ×13, first 2 shown]
	v_mad_u64_u32 v[40:41], s[26:27], s14, v38, v[68:69]
	v_add3_u32 v157, v84, v157, v39
	v_mul_lo_u32 v37, s14, v37
	v_mul_lo_u32 v85, s15, v36
	v_add3_u32 v41, v84, v41, v39
	v_mad_u64_u32 v[38:39], s[26:27], s14, v36, v[68:69]
	v_add3_u32 v113, v85, v113, v37
	v_mul_lo_u32 v35, s14, v35
	v_mul_lo_u32 v86, s15, v34
	v_add3_u32 v39, v85, v39, v37
	;; [unrolled: 5-line block ×6, first 2 shown]
	v_mad_u64_u32 v[28:29], s[26:27], s14, v26, v[68:69]
	v_add3_u32 v133, v90, v133, v27
	v_mul_lo_u32 v25, s14, v25
	v_mul_lo_u32 v91, s15, v24
	v_accvgpr_write_b32 a44, v120
	v_add3_u32 v29, v90, v29, v27
	v_mad_u64_u32 v[26:27], s[26:27], s14, v24, v[68:69]
	v_add3_u32 v123, v75, v123, v59
	v_add3_u32 v163, v91, v163, v25
	v_mul_lo_u32 v23, s14, v23
	v_mul_lo_u32 v92, s15, v22
	;; [unrolled: 1-line block ×4, first 2 shown]
	v_accvgpr_write_b32 a45, v121
	v_add3_u32 v27, v91, v27, v25
	v_mad_u64_u32 v[24:25], s[26:27], s14, v22, v[68:69]
	v_mad_u64_u32 v[120:121], s[26:27], s14, v20, v[68:69]
	v_add3_u32 v125, v76, v125, v63
	v_add3_u32 v165, v92, v165, v23
	;; [unrolled: 1-line block ×3, first 2 shown]
	v_mul_lo_u32 v95, s15, v18
	v_add3_u32 v25, v92, v25, v23
	v_add3_u32 v121, v93, v121, v21
	v_mov_b64_e32 v[92:93], v[122:123]
	v_mad_u64_u32 v[122:123], s[26:27], s14, v18, v[68:69]
	v_add3_u32 v127, v77, v127, v65
	v_add3_u32 v167, v95, v167, v94
	v_mul_lo_u32 v97, s15, v16
	v_add3_u32 v123, v95, v123, v94
	v_mov_b64_e32 v[94:95], v[124:125]
	v_mad_u64_u32 v[124:125], s[26:27], s14, v16, v[68:69]
	v_add3_u32 v129, v78, v129, v67
	v_add3_u32 v169, v97, v169, v96
	;; [unrolled: 1-line block ×3, first 2 shown]
	v_mov_b64_e32 v[96:97], v[126:127]
	v_mad_u64_u32 v[126:127], s[26:27], s14, v14, v[68:69]
	v_add3_u32 v131, v79, v131, v61
	v_add3_u32 v127, v99, v127, v98
	v_mov_b64_e32 v[98:99], v[128:129]
	v_mad_u64_u32 v[128:129], s[26:27], s14, v12, v[68:69]
	v_add3_u32 v129, v101, v129, v100
	v_mov_b64_e32 v[100:101], v[130:131]
	v_mad_u64_u32 v[130:131], s[26:27], s14, v10, v[68:69]
	v_lshl_add_u64 v[136:137], s[18:19], 0, v[6:7]
	v_lshl_add_u64 v[6:7], v[0:1], 0, 31
	v_add3_u32 v131, v102, v131, v19
	v_mov_b64_e32 v[102:103], v[132:133]
	v_mad_u64_u32 v[132:133], s[26:27], s14, v4, v[68:69]
	v_mad_u64_u32 v[134:135], s[26:27], s14, v2, v[68:69]
	v_mul_lo_u32 v2, s15, v6
	v_mul_lo_u32 v4, s14, v7
	v_mad_u64_u32 v[6:7], s[28:29], s14, v6, 0
	v_add3_u32 v7, v7, v4, v2
	v_lshlrev_b64 v[6:7], 3, v[6:7]
	v_add3_u32 v135, v13, v135, v11
	v_lshl_add_u64 v[10:11], s[16:17], 0, v[6:7]
	v_lshl_add_u64 v[6:7], s[18:19], 0, v[6:7]
	v_accvgpr_write_b32 a93, v7
	v_accvgpr_write_b32 a92, v6
	v_lshl_add_u64 v[6:7], v[0:1], 0, 30
	v_mul_lo_u32 v2, s15, v6
	v_mul_lo_u32 v4, s14, v7
	v_mad_u64_u32 v[6:7], s[28:29], s14, v6, 0
	v_add3_u32 v7, v7, v4, v2
	v_accvgpr_write_b32 a91, v11
	v_lshlrev_b64 v[6:7], 3, v[6:7]
	v_accvgpr_write_b32 a90, v10
	v_lshl_add_u64 v[10:11], s[16:17], 0, v[6:7]
	v_lshl_add_u64 v[6:7], s[18:19], 0, v[6:7]
	v_accvgpr_write_b32 a97, v7
	v_accvgpr_write_b32 a96, v6
	v_lshl_add_u64 v[6:7], v[0:1], 0, 29
	v_mul_lo_u32 v2, s15, v6
	v_mul_lo_u32 v4, s14, v7
	v_mad_u64_u32 v[6:7], s[28:29], s14, v6, 0
	v_add3_u32 v7, v7, v4, v2
	v_accvgpr_write_b32 a95, v11
	v_lshlrev_b64 v[6:7], 3, v[6:7]
	v_accvgpr_write_b32 a94, v10
	;; [unrolled: 12-line block ×7, first 2 shown]
	v_lshl_add_u64 v[10:11], s[16:17], 0, v[6:7]
	v_lshl_add_u64 v[6:7], s[18:19], 0, v[6:7]
	v_accvgpr_write_b32 a121, v7
	v_accvgpr_write_b32 a120, v6
	v_lshl_add_u64 v[6:7], v[0:1], 0, 23
	v_mul_lo_u32 v2, s15, v6
	v_mul_lo_u32 v4, s14, v7
	v_mad_u64_u32 v[6:7], s[28:29], s14, v6, 0
	v_add3_u32 v7, v7, v4, v2
	v_lshlrev_b64 v[6:7], 3, v[6:7]
	v_lshl_add_u64 v[170:171], s[16:17], 0, v[6:7]
	v_lshl_add_u64 v[172:173], s[18:19], 0, v[6:7]
	v_lshl_add_u64 v[6:7], v[0:1], 0, 22
	v_mul_lo_u32 v2, s15, v6
	v_mul_lo_u32 v4, s14, v7
	v_mad_u64_u32 v[6:7], s[28:29], s14, v6, 0
	v_add3_u32 v7, v7, v4, v2
	v_lshlrev_b64 v[6:7], 3, v[6:7]
	v_lshl_add_u64 v[174:175], s[16:17], 0, v[6:7]
	v_lshl_add_u64 v[176:177], s[18:19], 0, v[6:7]
	;; [unrolled: 8-line block ×15, first 2 shown]
	v_lshl_add_u64 v[6:7], v[0:1], 0, 8
	v_mul_lo_u32 v2, s15, v6
	v_mul_lo_u32 v4, s14, v7
	v_mad_u64_u32 v[6:7], s[28:29], s14, v6, 0
	v_add3_u32 v7, v7, v4, v2
	v_lshlrev_b64 v[6:7], 3, v[6:7]
	v_accvgpr_write_b32 a119, v11
	v_lshl_add_u64 v[230:231], s[16:17], 0, v[6:7]
	v_lshl_add_u64 v[232:233], s[18:19], 0, v[6:7]
	;; [unrolled: 1-line block ×3, first 2 shown]
	v_accvgpr_write_b32 a118, v10
	v_mul_lo_u32 v2, s15, v6
	v_mul_lo_u32 v4, s14, v7
	v_mad_u64_u32 v[6:7], s[28:29], s14, v6, 0
	v_lshl_add_u64 v[10:11], v[0:1], 0, 6
	v_add3_u32 v7, v7, v4, v2
	v_mul_lo_u32 v2, s15, v10
	v_mul_lo_u32 v4, s14, v11
	v_mad_u64_u32 v[10:11], s[28:29], s14, v10, 0
	v_lshl_add_u64 v[12:13], v[0:1], 0, 5
	v_add3_u32 v133, v17, v133, v15
	v_add3_u32 v11, v11, v4, v2
	v_mul_lo_u32 v2, s15, v12
	v_mul_lo_u32 v4, s14, v13
	v_mad_u64_u32 v[12:13], s[28:29], s14, v12, 0
	v_lshl_add_u64 v[14:15], v[0:1], 0, 4
	v_add3_u32 v13, v13, v4, v2
	v_mul_lo_u32 v2, s15, v14
	v_mul_lo_u32 v4, s14, v15
	v_mad_u64_u32 v[14:15], s[28:29], s14, v14, 0
	v_lshl_add_u64 v[16:17], v[0:1], 0, 3
	;; [unrolled: 5-line block ×3, first 2 shown]
	v_add3_u32 v17, v17, v4, v2
	v_mul_lo_u32 v1, s15, v18
	v_mul_lo_u32 v2, s14, v19
	v_mad_u64_u32 v[18:19], s[28:29], s14, v18, 0
	v_mov_b64_e32 v[20:21], s[14:15]
	v_add3_u32 v19, v19, v2, v1
	v_mad_u64_u32 v[0:1], s[28:29], s14, v0, v[20:21]
	v_add3_u32 v1, v3, v1, v5
	v_lshlrev_b64 v[2:3], 3, v[12:13]
	s_load_dword s3, s[0:1], 0x44
	v_lshl_add_u64 v[242:243], s[16:17], 0, v[2:3]
	v_lshl_add_u64 v[244:245], s[18:19], 0, v[2:3]
	v_lshlrev_b64 v[2:3], 3, v[14:15]
	v_lshl_add_u64 v[246:247], s[16:17], 0, v[2:3]
	v_lshl_add_u64 v[248:249], s[18:19], 0, v[2:3]
	v_lshlrev_b64 v[2:3], 3, v[16:17]
	;; [unrolled: 3-line block ×3, first 2 shown]
	v_lshlrev_b64 v[6:7], 3, v[6:7]
	v_lshl_add_u64 v[254:255], s[16:17], 0, v[2:3]
	v_lshl_add_u64 v[4:5], s[18:19], 0, v[2:3]
	v_lshlrev_b64 v[2:3], 3, v[0:1]
	s_add_u32 s6, s0, 64
	v_lshl_add_u64 v[234:235], s[16:17], 0, v[6:7]
	v_lshl_add_u64 v[236:237], s[18:19], 0, v[6:7]
	v_lshlrev_b64 v[6:7], 3, v[10:11]
	v_lshl_add_u64 v[0:1], s[16:17], 0, v[2:3]
	v_lshl_add_u64 v[10:11], s[18:19], 0, v[2:3]
	v_mbcnt_lo_u32_b32 v2, -1, 0
	s_addc_u32 s7, s1, 0
	s_waitcnt lgkmcnt(0)
	s_lshl_b32 s4, s3, 5
	v_mbcnt_hi_u32_b32 v2, -1, v2
	s_mul_i32 s3, s15, s4
	s_mul_hi_u32 s9, s14, s4
	v_lshlrev_b32_e32 v2, 2, v2
	s_add_i32 s25, s9, s3
	s_mul_i32 s24, s14, s4
	v_accvgpr_write_b32 a73, v41
	v_accvgpr_write_b32 a75, v39
	;; [unrolled: 1-line block ×9, first 2 shown]
	v_and_b32_e32 v150, 0x100, v2
	v_mov_b64_e32 v[2:3], 0
	s_mov_b32 s5, 0
	s_lshl_b64 s[24:25], s[24:25], 3
	v_add3_u32 v109, v71, v109, v49
	v_add3_u32 v143, v72, v143, v51
	;; [unrolled: 1-line block ×8, first 2 shown]
	v_accvgpr_write_b32 a72, v40
	v_accvgpr_write_b32 a74, v38
	;; [unrolled: 1-line block ×9, first 2 shown]
	s_mov_b64 s[26:27], 31
	v_lshl_add_u64 v[238:239], s[16:17], 0, v[6:7]
	v_lshl_add_u64 v[240:241], s[18:19], 0, v[6:7]
	s_mov_b64 s[16:17], s[10:11]
	v_mov_b64_e32 v[140:141], v[2:3]
.LBB38_149:                             ; =>This Inner Loop Header: Depth=1
	s_add_u32 s18, s10, s26
	s_addc_u32 s19, 0, s27
	v_mov_b64_e32 v[6:7], s[12:13]
	v_cmp_ge_i64_e32 vcc, s[18:19], v[6:7]
	v_accvgpr_write_b32 a6, v104
	v_accvgpr_write_b32 a7, v105
	v_lshl_add_u64 v[14:15], s[10:11], 0, v[104:105]
	s_cbranch_vccz .LBB38_219
; %bb.150:                              ;   in Loop: Header=BB38_149 Depth=1
	s_load_dword s3, s[6:7], 0xc
	v_accvgpr_read_b32 v6, a2
	v_accvgpr_read_b32 v7, a3
	v_mov_b64_e32 v[84:85], 0
	v_mov_b64_e32 v[18:19], v[84:85]
	s_waitcnt lgkmcnt(0)
	s_and_b32 s3, s3, 0xffff
	v_mad_u32_u24 v6, v7, s3, v6
	v_and_b32_e32 v6, 63, v6
	v_accvgpr_read_b32 v7, a5
	v_accvgpr_write_b32 a4, v6
	v_accvgpr_write_b32 a5, v7
	v_cmp_gt_u32_e32 vcc, 32, v6
	v_mov_b64_e32 v[16:17], v[84:85]
	s_and_saveexec_b64 s[18:19], vcc
	s_cbranch_execz .LBB38_154
; %bb.151:                              ;   in Loop: Header=BB38_149 Depth=1
	v_accvgpr_read_b32 v7, a5
	v_accvgpr_read_b32 v6, a4
	v_lshl_add_u64 v[6:7], v[14:15], 0, v[6:7]
	v_mov_b64_e32 v[16:17], 0
	v_cmp_gt_i64_e32 vcc, s[12:13], v[6:7]
	v_mov_b64_e32 v[18:19], v[16:17]
	s_and_saveexec_b64 s[28:29], vcc
	s_cbranch_execz .LBB38_153
; %bb.152:                              ;   in Loop: Header=BB38_149 Depth=1
	v_lshlrev_b64 v[6:7], 3, v[6:7]
	v_lshl_add_u64 v[12:13], s[22:23], 0, v[6:7]
	v_lshl_add_u64 v[6:7], s[20:21], 0, v[6:7]
	global_load_dwordx2 v[16:17], v[6:7], off
	global_load_dwordx2 v[18:19], v[12:13], off
.LBB38_153:                             ;   in Loop: Header=BB38_149 Depth=1
	s_or_b64 exec, exec, s[28:29]
.LBB38_154:                             ;   in Loop: Header=BB38_149 Depth=1
	s_or_b64 exec, exec, s[18:19]
	v_cmp_gt_i64_e32 vcc, s[12:13], v[14:15]
	v_mov_b64_e32 v[138:139], v[84:85]
	s_and_saveexec_b64 s[18:19], vcc
	s_cbranch_execz .LBB38_156
; %bb.155:                              ;   in Loop: Header=BB38_149 Depth=1
	v_accvgpr_read_b32 v6, a42
	v_accvgpr_read_b32 v7, a43
	v_lshl_add_u64 v[6:7], v[6:7], 0, v[8:9]
	global_load_dwordx2 v[84:85], v[6:7], off
	v_lshl_add_u64 v[6:7], v[136:137], 0, v[8:9]
	global_load_dwordx2 v[138:139], v[6:7], off
.LBB38_156:                             ;   in Loop: Header=BB38_149 Depth=1
	s_or_b64 exec, exec, s[18:19]
	v_lshl_add_u64 v[6:7], v[14:15], 0, 1
	v_mov_b64_e32 v[76:77], 0
	v_cmp_gt_i64_e32 vcc, s[12:13], v[6:7]
	v_mov_b64_e32 v[86:87], v[76:77]
	v_mov_b64_e32 v[88:89], v[76:77]
	s_and_saveexec_b64 s[18:19], vcc
	s_cbranch_execz .LBB38_158
; %bb.157:                              ;   in Loop: Header=BB38_149 Depth=1
	v_lshl_add_u64 v[6:7], v[0:1], 0, v[8:9]
	global_load_dwordx2 v[86:87], v[6:7], off
	v_lshl_add_u64 v[6:7], v[10:11], 0, v[8:9]
	global_load_dwordx2 v[88:89], v[6:7], off
.LBB38_158:                             ;   in Loop: Header=BB38_149 Depth=1
	s_or_b64 exec, exec, s[18:19]
	v_lshl_add_u64 v[6:7], v[14:15], 0, 2
	v_cmp_gt_i64_e32 vcc, s[12:13], v[6:7]
	v_mov_b64_e32 v[82:83], v[76:77]
	s_and_saveexec_b64 s[18:19], vcc
	s_cbranch_execz .LBB38_160
; %bb.159:                              ;   in Loop: Header=BB38_149 Depth=1
	v_lshl_add_u64 v[6:7], v[254:255], 0, v[8:9]
	global_load_dwordx2 v[76:77], v[6:7], off
	v_lshl_add_u64 v[6:7], v[4:5], 0, v[8:9]
	global_load_dwordx2 v[82:83], v[6:7], off
.LBB38_160:                             ;   in Loop: Header=BB38_149 Depth=1
	s_or_b64 exec, exec, s[18:19]
	v_lshl_add_u64 v[6:7], v[14:15], 0, 3
	v_cmp_gt_i64_e32 vcc, s[12:13], v[6:7]
	v_mov_b64_e32 v[6:7], 0
	v_mov_b64_e32 v[78:79], v[6:7]
	v_mov_b64_e32 v[80:81], v[6:7]
	s_and_saveexec_b64 s[18:19], vcc
	s_cbranch_execz .LBB38_162
; %bb.161:                              ;   in Loop: Header=BB38_149 Depth=1
	v_lshl_add_u64 v[12:13], v[250:251], 0, v[8:9]
	global_load_dwordx2 v[78:79], v[12:13], off
	v_lshl_add_u64 v[12:13], v[252:253], 0, v[8:9]
	global_load_dwordx2 v[80:81], v[12:13], off
.LBB38_162:                             ;   in Loop: Header=BB38_149 Depth=1
	s_or_b64 exec, exec, s[18:19]
	v_lshl_add_u64 v[12:13], v[14:15], 0, 4
	v_cmp_gt_i64_e32 vcc, s[12:13], v[12:13]
	v_mov_b64_e32 v[72:73], v[6:7]
	s_and_saveexec_b64 s[18:19], vcc
	s_cbranch_execz .LBB38_164
; %bb.163:                              ;   in Loop: Header=BB38_149 Depth=1
	v_lshl_add_u64 v[6:7], v[246:247], 0, v[8:9]
	v_lshl_add_u64 v[12:13], v[248:249], 0, v[8:9]
	global_load_dwordx2 v[6:7], v[6:7], off
	s_nop 0
	global_load_dwordx2 v[72:73], v[12:13], off
.LBB38_164:                             ;   in Loop: Header=BB38_149 Depth=1
	s_or_b64 exec, exec, s[18:19]
	v_lshl_add_u64 v[12:13], v[14:15], 0, 5
	v_mov_b64_e32 v[68:69], 0
	v_cmp_gt_i64_e32 vcc, s[12:13], v[12:13]
	v_mov_b64_e32 v[30:31], v[68:69]
	v_mov_b64_e32 v[74:75], v[68:69]
	s_and_saveexec_b64 s[18:19], vcc
	s_cbranch_execz .LBB38_166
; %bb.165:                              ;   in Loop: Header=BB38_149 Depth=1
	v_lshl_add_u64 v[12:13], v[242:243], 0, v[8:9]
	global_load_dwordx2 v[30:31], v[12:13], off
	v_lshl_add_u64 v[12:13], v[244:245], 0, v[8:9]
	global_load_dwordx2 v[74:75], v[12:13], off
.LBB38_166:                             ;   in Loop: Header=BB38_149 Depth=1
	s_or_b64 exec, exec, s[18:19]
	v_lshl_add_u64 v[12:13], v[14:15], 0, 6
	v_cmp_gt_i64_e32 vcc, s[12:13], v[12:13]
	v_mov_b64_e32 v[70:71], v[68:69]
	s_and_saveexec_b64 s[18:19], vcc
	s_cbranch_execz .LBB38_168
; %bb.167:                              ;   in Loop: Header=BB38_149 Depth=1
	v_lshl_add_u64 v[12:13], v[238:239], 0, v[8:9]
	global_load_dwordx2 v[68:69], v[12:13], off
	v_lshl_add_u64 v[12:13], v[240:241], 0, v[8:9]
	global_load_dwordx2 v[70:71], v[12:13], off
.LBB38_168:                             ;   in Loop: Header=BB38_149 Depth=1
	s_or_b64 exec, exec, s[18:19]
	v_mov_b64_e32 v[64:65], 0
	v_lshl_add_u64 v[12:13], v[14:15], 0, 7
	v_accvgpr_write_b32 a147, v65
	v_cmp_gt_i64_e32 vcc, s[12:13], v[12:13]
	v_mov_b64_e32 v[26:27], v[64:65]
	v_accvgpr_write_b32 a146, v64
	s_and_saveexec_b64 s[18:19], vcc
	s_cbranch_execz .LBB38_170
; %bb.169:                              ;   in Loop: Header=BB38_149 Depth=1
	v_lshl_add_u64 v[12:13], v[234:235], 0, v[8:9]
	global_load_dwordx2 v[26:27], v[12:13], off
	v_lshl_add_u64 v[12:13], v[236:237], 0, v[8:9]
	global_load_dwordx2 a[146:147], v[12:13], off
.LBB38_170:                             ;   in Loop: Header=BB38_149 Depth=1
	s_or_b64 exec, exec, s[18:19]
	v_lshl_add_u64 v[12:13], v[14:15], 0, 8
	v_accvgpr_write_b32 a145, v65
	v_cmp_gt_i64_e32 vcc, s[12:13], v[12:13]
	v_accvgpr_write_b32 a144, v64
	s_and_saveexec_b64 s[18:19], vcc
	s_cbranch_execz .LBB38_172
; %bb.171:                              ;   in Loop: Header=BB38_149 Depth=1
	v_lshl_add_u64 v[12:13], v[230:231], 0, v[8:9]
	global_load_dwordx2 v[64:65], v[12:13], off
	v_lshl_add_u64 v[12:13], v[232:233], 0, v[8:9]
	global_load_dwordx2 a[144:145], v[12:13], off
.LBB38_172:                             ;   in Loop: Header=BB38_149 Depth=1
	s_or_b64 exec, exec, s[18:19]
	v_mov_b64_e32 v[60:61], 0
	v_lshl_add_u64 v[12:13], v[14:15], 0, 9
	v_accvgpr_write_b32 a143, v61
	v_cmp_gt_i64_e32 vcc, s[12:13], v[12:13]
	v_mov_b64_e32 v[66:67], v[60:61]
	v_accvgpr_write_b32 a142, v60
	s_and_saveexec_b64 s[18:19], vcc
	s_cbranch_execz .LBB38_174
; %bb.173:                              ;   in Loop: Header=BB38_149 Depth=1
	v_lshl_add_u64 v[12:13], v[226:227], 0, v[8:9]
	global_load_dwordx2 v[66:67], v[12:13], off
	v_lshl_add_u64 v[12:13], v[228:229], 0, v[8:9]
	global_load_dwordx2 a[142:143], v[12:13], off
.LBB38_174:                             ;   in Loop: Header=BB38_149 Depth=1
	s_or_b64 exec, exec, s[18:19]
	v_lshl_add_u64 v[12:13], v[14:15], 0, 10
	v_accvgpr_write_b32 a141, v61
	v_cmp_gt_i64_e32 vcc, s[12:13], v[12:13]
	v_accvgpr_write_b32 a140, v60
	;; [unrolled: 28-line block ×9, first 2 shown]
	s_and_saveexec_b64 s[18:19], vcc
	s_cbranch_execz .LBB38_204
; %bb.203:                              ;   in Loop: Header=BB38_149 Depth=1
	v_accvgpr_read_b32 v12, a118
	v_accvgpr_read_b32 v13, a119
	v_lshl_add_u64 v[12:13], v[12:13], 0, v[8:9]
	global_load_dwordx2 v[32:33], v[12:13], off
	v_accvgpr_read_b32 v12, a120
	v_accvgpr_read_b32 v13, a121
	v_lshl_add_u64 v[12:13], v[12:13], 0, v[8:9]
	global_load_dwordx2 a[22:23], v[12:13], off
.LBB38_204:                             ;   in Loop: Header=BB38_149 Depth=1
	s_or_b64 exec, exec, s[18:19]
	v_mov_b64_e32 v[28:29], 0
	v_lshl_add_u64 v[12:13], v[14:15], 0, 25
	v_accvgpr_write_b32 a20, v28
	v_cmp_gt_i64_e32 vcc, s[12:13], v[12:13]
	v_mov_b64_e32 v[34:35], v[28:29]
	v_accvgpr_write_b32 a21, v29
	s_and_saveexec_b64 s[18:19], vcc
	s_cbranch_execz .LBB38_206
; %bb.205:                              ;   in Loop: Header=BB38_149 Depth=1
	v_accvgpr_read_b32 v12, a114
	v_accvgpr_read_b32 v13, a115
	v_lshl_add_u64 v[12:13], v[12:13], 0, v[8:9]
	global_load_dwordx2 v[34:35], v[12:13], off
	v_accvgpr_read_b32 v12, a116
	v_accvgpr_read_b32 v13, a117
	v_lshl_add_u64 v[12:13], v[12:13], 0, v[8:9]
	global_load_dwordx2 a[20:21], v[12:13], off
.LBB38_206:                             ;   in Loop: Header=BB38_149 Depth=1
	s_or_b64 exec, exec, s[18:19]
	v_lshl_add_u64 v[12:13], v[14:15], 0, 26
	v_accvgpr_write_b32 a18, v28
	v_cmp_gt_i64_e32 vcc, s[12:13], v[12:13]
	v_accvgpr_write_b32 a19, v29
	s_and_saveexec_b64 s[18:19], vcc
	s_cbranch_execz .LBB38_208
; %bb.207:                              ;   in Loop: Header=BB38_149 Depth=1
	v_accvgpr_read_b32 v12, a110
	v_accvgpr_read_b32 v13, a111
	v_lshl_add_u64 v[12:13], v[12:13], 0, v[8:9]
	global_load_dwordx2 v[28:29], v[12:13], off
	v_accvgpr_read_b32 v12, a112
	v_accvgpr_read_b32 v13, a113
	v_lshl_add_u64 v[12:13], v[12:13], 0, v[8:9]
	global_load_dwordx2 a[18:19], v[12:13], off
.LBB38_208:                             ;   in Loop: Header=BB38_149 Depth=1
	s_or_b64 exec, exec, s[18:19]
	v_mov_b64_e32 v[24:25], 0
	v_lshl_add_u64 v[12:13], v[14:15], 0, 27
	v_accvgpr_write_b32 a14, v24
	v_accvgpr_write_b32 a16, v24
	v_cmp_gt_i64_e32 vcc, s[12:13], v[12:13]
	v_accvgpr_write_b32 a15, v25
	v_accvgpr_write_b32 a17, v25
	s_and_saveexec_b64 s[18:19], vcc
	s_cbranch_execz .LBB38_210
; %bb.209:                              ;   in Loop: Header=BB38_149 Depth=1
	v_accvgpr_read_b32 v12, a106
	v_accvgpr_read_b32 v13, a107
	v_lshl_add_u64 v[12:13], v[12:13], 0, v[8:9]
	global_load_dwordx2 a[14:15], v[12:13], off
	v_accvgpr_read_b32 v12, a108
	v_accvgpr_read_b32 v13, a109
	v_lshl_add_u64 v[12:13], v[12:13], 0, v[8:9]
	global_load_dwordx2 a[16:17], v[12:13], off
.LBB38_210:                             ;   in Loop: Header=BB38_149 Depth=1
	s_or_b64 exec, exec, s[18:19]
	v_lshl_add_u64 v[12:13], v[14:15], 0, 28
	v_accvgpr_write_b32 a12, v24
	v_cmp_gt_i64_e32 vcc, s[12:13], v[12:13]
	v_accvgpr_write_b32 a13, v25
	s_and_saveexec_b64 s[18:19], vcc
	s_cbranch_execz .LBB38_212
; %bb.211:                              ;   in Loop: Header=BB38_149 Depth=1
	v_accvgpr_read_b32 v12, a102
	v_accvgpr_read_b32 v13, a103
	v_lshl_add_u64 v[12:13], v[12:13], 0, v[8:9]
	global_load_dwordx2 v[24:25], v[12:13], off
	v_accvgpr_read_b32 v12, a104
	v_accvgpr_read_b32 v13, a105
	v_lshl_add_u64 v[12:13], v[12:13], 0, v[8:9]
	global_load_dwordx2 a[12:13], v[12:13], off
.LBB38_212:                             ;   in Loop: Header=BB38_149 Depth=1
	s_or_b64 exec, exec, s[18:19]
	v_lshl_add_u64 v[12:13], v[14:15], 0, 29
	v_mov_b64_e32 v[22:23], 0
	v_cmp_gt_i64_e32 vcc, s[12:13], v[12:13]
	v_mov_b64_e32 v[20:21], v[22:23]
	v_mov_b64_e32 v[90:91], v[22:23]
	s_and_saveexec_b64 s[18:19], vcc
	s_cbranch_execz .LBB38_214
; %bb.213:                              ;   in Loop: Header=BB38_149 Depth=1
	v_accvgpr_read_b32 v12, a98
	v_accvgpr_read_b32 v13, a99
	v_lshl_add_u64 v[12:13], v[12:13], 0, v[8:9]
	global_load_dwordx2 v[20:21], v[12:13], off
	v_accvgpr_read_b32 v12, a100
	v_accvgpr_read_b32 v13, a101
	v_lshl_add_u64 v[12:13], v[12:13], 0, v[8:9]
	global_load_dwordx2 v[90:91], v[12:13], off
.LBB38_214:                             ;   in Loop: Header=BB38_149 Depth=1
	s_or_b64 exec, exec, s[18:19]
	v_lshl_add_u64 v[12:13], v[14:15], 0, 30
	v_accvgpr_write_b32 a10, v22
	v_cmp_gt_i64_e32 vcc, s[12:13], v[12:13]
	v_accvgpr_write_b32 a11, v23
	s_and_saveexec_b64 s[18:19], vcc
	s_cbranch_execz .LBB38_216
; %bb.215:                              ;   in Loop: Header=BB38_149 Depth=1
	v_accvgpr_read_b32 v12, a94
	v_accvgpr_read_b32 v13, a95
	v_lshl_add_u64 v[12:13], v[12:13], 0, v[8:9]
	global_load_dwordx2 v[22:23], v[12:13], off
	v_accvgpr_read_b32 v12, a96
	v_accvgpr_read_b32 v13, a97
	v_lshl_add_u64 v[12:13], v[12:13], 0, v[8:9]
	global_load_dwordx2 a[10:11], v[12:13], off
.LBB38_216:                             ;   in Loop: Header=BB38_149 Depth=1
	s_or_b64 exec, exec, s[18:19]
	s_waitcnt vmcnt(1)
	v_accvgpr_write_b32 a0, v20
	s_waitcnt vmcnt(0)
	v_accvgpr_write_b32 a8, v90
	v_accvgpr_write_b32 a1, v21
	v_lshl_add_u64 v[12:13], v[14:15], 0, 31
	v_mov_b64_e32 v[20:21], 0
	v_accvgpr_write_b32 a9, v91
	v_cmp_gt_i64_e32 vcc, s[12:13], v[12:13]
	s_mov_b64 s[18:19], 0
	v_mov_b64_e32 v[104:105], v[20:21]
	s_and_saveexec_b64 s[28:29], vcc
	s_cbranch_execz .LBB38_218
; %bb.217:                              ;   in Loop: Header=BB38_149 Depth=1
	v_accvgpr_read_b32 v12, a90
	v_accvgpr_read_b32 v13, a91
	v_lshl_add_u64 v[12:13], v[12:13], 0, v[8:9]
	global_load_dwordx2 v[20:21], v[12:13], off
	v_accvgpr_read_b32 v12, a92
	v_accvgpr_read_b32 v13, a93
	v_lshl_add_u64 v[12:13], v[12:13], 0, v[8:9]
	global_load_dwordx2 v[104:105], v[12:13], off
.LBB38_218:                             ;   in Loop: Header=BB38_149 Depth=1
	s_or_b64 exec, exec, s[28:29]
	ds_bpermute_b32 v90, v150, v16
	ds_bpermute_b32 v91, v150, v17
	;; [unrolled: 1-line block ×4, first 2 shown]
	s_waitcnt lgkmcnt(2)
	v_add_f64 v[90:91], v[138:139], -v[90:91]
	v_mul_f64 v[90:91], v[84:85], v[90:91]
	s_waitcnt lgkmcnt(0)
	v_fma_f64 v[138:139], v[90:91], v[12:13], v[2:3]
	ds_bpermute_b32 v90, v150, v16 offset:4
	ds_bpermute_b32 v91, v150, v17 offset:4
	v_add_f64 v[12:13], v[140:141], v[84:85]
	ds_bpermute_b32 v84, v150, v18 offset:4
	ds_bpermute_b32 v85, v150, v19 offset:4
	v_add_f64 v[12:13], v[12:13], v[86:87]
	s_waitcnt lgkmcnt(2)
	v_add_f64 v[88:89], v[88:89], -v[90:91]
	v_mul_f64 v[88:89], v[86:87], v[88:89]
	ds_bpermute_b32 v86, v150, v16 offset:8
	ds_bpermute_b32 v87, v150, v17 offset:8
	s_waitcnt lgkmcnt(2)
	v_fmac_f64_e32 v[138:139], v[88:89], v[84:85]
	ds_bpermute_b32 v84, v150, v18 offset:8
	ds_bpermute_b32 v85, v150, v19 offset:8
	v_add_f64 v[12:13], v[12:13], v[76:77]
	s_waitcnt lgkmcnt(2)
	v_add_f64 v[82:83], v[82:83], -v[86:87]
	v_mul_f64 v[82:83], v[76:77], v[82:83]
	ds_bpermute_b32 v76, v150, v18 offset:12
	s_waitcnt lgkmcnt(1)
	v_fmac_f64_e32 v[138:139], v[82:83], v[84:85]
	ds_bpermute_b32 v82, v150, v16 offset:12
	ds_bpermute_b32 v83, v150, v17 offset:12
	;; [unrolled: 1-line block ×3, first 2 shown]
	v_add_f64 v[12:13], v[12:13], v[78:79]
	s_waitcnt lgkmcnt(1)
	v_add_f64 v[80:81], v[80:81], -v[82:83]
	v_mul_f64 v[80:81], v[78:79], v[80:81]
	ds_bpermute_b32 v78, v150, v16 offset:16
	ds_bpermute_b32 v79, v150, v17 offset:16
	s_waitcnt lgkmcnt(2)
	v_fmac_f64_e32 v[138:139], v[80:81], v[76:77]
	ds_bpermute_b32 v76, v150, v18 offset:16
	ds_bpermute_b32 v77, v150, v19 offset:16
	s_waitcnt lgkmcnt(2)
	v_add_f64 v[72:73], v[72:73], -v[78:79]
	v_mul_f64 v[72:73], v[6:7], v[72:73]
	v_add_f64 v[6:7], v[12:13], v[6:7]
	s_waitcnt lgkmcnt(0)
	v_fmac_f64_e32 v[138:139], v[72:73], v[76:77]
	ds_bpermute_b32 v72, v150, v16 offset:20
	ds_bpermute_b32 v73, v150, v17 offset:20
	;; [unrolled: 1-line block ×4, first 2 shown]
	v_add_f64 v[6:7], v[6:7], v[30:31]
	v_add_f64 v[6:7], v[6:7], v[68:69]
	s_waitcnt lgkmcnt(2)
	v_add_f64 v[72:73], v[74:75], -v[72:73]
	v_mul_f64 v[72:73], v[30:31], v[72:73]
	ds_bpermute_b32 v30, v150, v16 offset:24
	ds_bpermute_b32 v31, v150, v17 offset:24
	s_waitcnt lgkmcnt(2)
	v_fmac_f64_e32 v[138:139], v[72:73], v[12:13]
	ds_bpermute_b32 v12, v150, v18 offset:24
	ds_bpermute_b32 v13, v150, v19 offset:24
	v_add_f64 v[6:7], v[6:7], v[26:27]
	s_waitcnt lgkmcnt(2)
	v_add_f64 v[30:31], v[70:71], -v[30:31]
	v_mul_f64 v[30:31], v[68:69], v[30:31]
	v_accvgpr_read_b32 v68, a146
	s_waitcnt lgkmcnt(0)
	v_fmac_f64_e32 v[138:139], v[30:31], v[12:13]
	ds_bpermute_b32 v30, v150, v16 offset:28
	ds_bpermute_b32 v31, v150, v17 offset:28
	;; [unrolled: 1-line block ×4, first 2 shown]
	v_accvgpr_read_b32 v69, a147
	v_add_f64 v[6:7], v[6:7], v[64:65]
	s_waitcnt lgkmcnt(2)
	v_add_f64 v[30:31], v[68:69], -v[30:31]
	v_mul_f64 v[30:31], v[26:27], v[30:31]
	ds_bpermute_b32 v26, v150, v16 offset:32
	ds_bpermute_b32 v27, v150, v17 offset:32
	s_waitcnt lgkmcnt(2)
	v_fmac_f64_e32 v[138:139], v[30:31], v[12:13]
	ds_bpermute_b32 v12, v150, v18 offset:32
	ds_bpermute_b32 v13, v150, v19 offset:32
	v_accvgpr_read_b32 v30, a144
	v_accvgpr_read_b32 v31, a145
	s_waitcnt lgkmcnt(2)
	v_add_f64 v[26:27], v[30:31], -v[26:27]
	v_mul_f64 v[26:27], v[64:65], v[26:27]
	s_waitcnt lgkmcnt(0)
	v_fmac_f64_e32 v[138:139], v[26:27], v[12:13]
	ds_bpermute_b32 v26, v150, v16 offset:36
	ds_bpermute_b32 v27, v150, v17 offset:36
	ds_bpermute_b32 v12, v150, v18 offset:36
	ds_bpermute_b32 v13, v150, v19 offset:36
	v_accvgpr_read_b32 v30, a142
	v_accvgpr_read_b32 v31, a143
	s_waitcnt lgkmcnt(2)
	v_add_f64 v[26:27], v[30:31], -v[26:27]
	v_mul_f64 v[26:27], v[66:67], v[26:27]
	s_waitcnt lgkmcnt(0)
	v_fmac_f64_e32 v[138:139], v[26:27], v[12:13]
	ds_bpermute_b32 v26, v150, v16 offset:40
	ds_bpermute_b32 v27, v150, v17 offset:40
	;; [unrolled: 11-line block ×16, first 2 shown]
	ds_bpermute_b32 v12, v150, v18 offset:96
	ds_bpermute_b32 v13, v150, v19 offset:96
	v_accvgpr_read_b32 v31, a23
	v_accvgpr_read_b32 v30, a22
	s_waitcnt lgkmcnt(2)
	v_add_f64 v[26:27], v[30:31], -v[26:27]
	v_mul_f64 v[26:27], v[32:33], v[26:27]
	v_add_f64 v[6:7], v[6:7], v[66:67]
	s_waitcnt lgkmcnt(0)
	v_fmac_f64_e32 v[138:139], v[26:27], v[12:13]
	ds_bpermute_b32 v26, v150, v16 offset:100
	ds_bpermute_b32 v27, v150, v17 offset:100
	v_add_f64 v[6:7], v[6:7], v[60:61]
	v_add_f64 v[6:7], v[6:7], v[62:63]
	ds_bpermute_b32 v12, v150, v18 offset:100
	ds_bpermute_b32 v13, v150, v19 offset:100
	v_add_f64 v[6:7], v[6:7], v[56:57]
	v_accvgpr_read_b32 v31, a21
	v_add_f64 v[6:7], v[6:7], v[58:59]
	v_accvgpr_read_b32 v30, a20
	v_add_f64 v[6:7], v[6:7], v[52:53]
	s_waitcnt lgkmcnt(2)
	v_add_f64 v[26:27], v[30:31], -v[26:27]
	v_add_f64 v[6:7], v[6:7], v[54:55]
	v_mul_f64 v[26:27], v[34:35], v[26:27]
	v_add_f64 v[6:7], v[6:7], v[48:49]
	s_waitcnt lgkmcnt(0)
	v_fmac_f64_e32 v[138:139], v[26:27], v[12:13]
	ds_bpermute_b32 v26, v150, v16 offset:104
	ds_bpermute_b32 v27, v150, v17 offset:104
	v_add_f64 v[6:7], v[6:7], v[50:51]
	v_add_f64 v[6:7], v[6:7], v[44:45]
	ds_bpermute_b32 v12, v150, v18 offset:104
	ds_bpermute_b32 v13, v150, v19 offset:104
	v_add_f64 v[6:7], v[6:7], v[46:47]
	v_accvgpr_read_b32 v31, a19
	v_add_f64 v[6:7], v[6:7], v[40:41]
	v_accvgpr_read_b32 v30, a18
	v_add_f64 v[6:7], v[6:7], v[42:43]
	s_waitcnt lgkmcnt(2)
	v_add_f64 v[26:27], v[30:31], -v[26:27]
	v_add_f64 v[6:7], v[6:7], v[36:37]
	v_mul_f64 v[26:27], v[28:29], v[26:27]
	v_add_f64 v[6:7], v[6:7], v[38:39]
	s_waitcnt lgkmcnt(0)
	v_fmac_f64_e32 v[138:139], v[26:27], v[12:13]
	ds_bpermute_b32 v26, v150, v16 offset:108
	ds_bpermute_b32 v27, v150, v17 offset:108
	v_add_f64 v[6:7], v[6:7], v[32:33]
	v_add_f64 v[6:7], v[6:7], v[34:35]
	;; [unrolled: 1-line block ×3, first 2 shown]
	ds_bpermute_b32 v12, v150, v18 offset:108
	ds_bpermute_b32 v13, v150, v19 offset:108
	v_accvgpr_read_b32 v29, a17
	v_accvgpr_read_b32 v28, a16
	s_waitcnt lgkmcnt(2)
	v_add_f64 v[26:27], v[28:29], -v[26:27]
	v_accvgpr_read_b32 v29, a15
	v_accvgpr_read_b32 v28, a14
	v_mul_f64 v[26:27], v[28:29], v[26:27]
	s_waitcnt lgkmcnt(0)
	v_fmac_f64_e32 v[138:139], v[26:27], v[12:13]
	ds_bpermute_b32 v26, v150, v16 offset:112
	ds_bpermute_b32 v27, v150, v17 offset:112
	v_add_f64 v[6:7], v[6:7], v[28:29]
	v_accvgpr_read_b32 v29, a13
	ds_bpermute_b32 v12, v150, v18 offset:112
	ds_bpermute_b32 v13, v150, v19 offset:112
	v_accvgpr_read_b32 v28, a12
	s_waitcnt lgkmcnt(2)
	v_add_f64 v[26:27], v[28:29], -v[26:27]
	v_mul_f64 v[26:27], v[24:25], v[26:27]
	v_add_f64 v[6:7], v[6:7], v[24:25]
	ds_bpermute_b32 v24, v150, v16 offset:116
	ds_bpermute_b32 v25, v150, v17 offset:116
	s_waitcnt lgkmcnt(2)
	v_fmac_f64_e32 v[138:139], v[26:27], v[12:13]
	ds_bpermute_b32 v12, v150, v18 offset:116
	ds_bpermute_b32 v13, v150, v19 offset:116
	v_accvgpr_read_b32 v27, a9
	v_accvgpr_read_b32 v26, a8
	s_waitcnt lgkmcnt(2)
	v_add_f64 v[24:25], v[26:27], -v[24:25]
	v_accvgpr_read_b32 v27, a1
	v_accvgpr_read_b32 v26, a0
	v_mul_f64 v[24:25], v[26:27], v[24:25]
	s_waitcnt lgkmcnt(0)
	v_fmac_f64_e32 v[138:139], v[24:25], v[12:13]
	ds_bpermute_b32 v24, v150, v16 offset:120
	ds_bpermute_b32 v25, v150, v17 offset:120
	;; [unrolled: 1-line block ×4, first 2 shown]
	v_add_f64 v[6:7], v[6:7], v[26:27]
	v_accvgpr_read_b32 v27, a11
	v_accvgpr_read_b32 v26, a10
	s_waitcnt lgkmcnt(2)
	v_add_f64 v[24:25], v[26:27], -v[24:25]
	v_mul_f64 v[24:25], v[22:23], v[24:25]
	s_waitcnt lgkmcnt(0)
	v_fmac_f64_e32 v[138:139], v[24:25], v[12:13]
	ds_bpermute_b32 v12, v150, v18 offset:124
	ds_bpermute_b32 v13, v150, v19 offset:124
	;; [unrolled: 1-line block ×4, first 2 shown]
	v_add_f64 v[6:7], v[6:7], v[22:23]
	s_and_b64 vcc, exec, s[18:19]
	s_cbranch_vccnz .LBB38_220
	s_branch .LBB38_225
.LBB38_219:                             ;   in Loop: Header=BB38_149 Depth=1
                                        ; implicit-def: $vgpr12_vgpr13
                                        ; implicit-def: $vgpr20_vgpr21
                                        ; implicit-def: $vgpr104_vgpr105
                                        ; implicit-def: $vgpr16
                                        ; implicit-def: $vgpr6_vgpr7
                                        ; implicit-def: $vgpr138_vgpr139
	s_cbranch_execz .LBB38_225
.LBB38_220:                             ;   in Loop: Header=BB38_149 Depth=1
	s_load_dword s3, s[6:7], 0x0
	s_waitcnt lgkmcnt(0)
	v_accvgpr_read_b32 v13, a5
	v_accvgpr_read_b32 v7, a2
	;; [unrolled: 1-line block ×3, first 2 shown]
	v_accvgpr_write_b32 a0, v140
	s_cmp_lt_u32 s2, s3
	s_cselect_b32 s3, 12, 18
	s_add_u32 s18, s6, s3
	s_addc_u32 s19, s7, 0
	global_load_ushort v6, v13, s[18:19]
	v_mov_b64_e32 v[16:17], 0
	v_mov_b64_e32 v[78:79], v[166:167]
	;; [unrolled: 1-line block ×5, first 2 shown]
	v_accvgpr_write_b32 a1, v141
	s_waitcnt vmcnt(0)
	v_mad_u32_u24 v6, v12, v6, v7
	v_and_b32_e32 v12, 63, v6
	v_accvgpr_write_b32 a4, v12
	v_accvgpr_write_b32 a5, v13
	v_cmp_gt_u32_e32 vcc, 32, v12
	v_mov_b64_e32 v[6:7], v[16:17]
	s_and_saveexec_b64 s[18:19], vcc
	s_cbranch_execz .LBB38_224
; %bb.221:                              ;   in Loop: Header=BB38_149 Depth=1
	v_accvgpr_read_b32 v7, a5
	v_accvgpr_read_b32 v6, a4
	v_lshl_add_u64 v[12:13], v[14:15], 0, v[6:7]
	v_mov_b64_e32 v[6:7], 0
	v_cmp_gt_i64_e32 vcc, s[12:13], v[12:13]
	v_mov_b64_e32 v[16:17], v[6:7]
	s_and_saveexec_b64 s[28:29], vcc
	s_cbranch_execz .LBB38_223
; %bb.222:                              ;   in Loop: Header=BB38_149 Depth=1
	v_lshlrev_b64 v[6:7], 3, v[12:13]
	v_lshl_add_u64 v[12:13], s[22:23], 0, v[6:7]
	v_lshl_add_u64 v[6:7], s[20:21], 0, v[6:7]
	global_load_dwordx2 v[6:7], v[6:7], off
	s_nop 0
	global_load_dwordx2 v[16:17], v[12:13], off
.LBB38_223:                             ;   in Loop: Header=BB38_149 Depth=1
	s_or_b64 exec, exec, s[28:29]
.LBB38_224:                             ;   in Loop: Header=BB38_149 Depth=1
	s_or_b64 exec, exec, s[18:19]
	v_accvgpr_read_b32 v12, a42
	v_accvgpr_read_b32 v13, a43
	v_lshl_add_u64 v[12:13], v[12:13], 0, v[8:9]
	global_load_dwordx2 v[20:21], v[12:13], off
	v_lshl_add_u64 v[12:13], v[136:137], 0, v[8:9]
	global_load_dwordx2 v[34:35], v[12:13], off
	;; [unrolled: 2-line block ×3, first 2 shown]
	v_accvgpr_read_b32 v12, a44
	v_accvgpr_read_b32 v13, a45
	v_lshl_add_u64 v[12:13], v[12:13], 0, v[8:9]
	global_load_dwordx2 v[46:47], v[12:13], off
	v_lshl_add_u64 v[12:13], v[108:109], 0, v[8:9]
	global_load_dwordx2 v[144:145], v[12:13], off
	v_accvgpr_read_b32 v12, a46
	v_accvgpr_read_b32 v13, a47
	v_lshl_add_u64 v[12:13], v[12:13], 0, v[8:9]
	global_load_dwordx2 v[48:49], v[12:13], off
	v_lshl_add_u64 v[12:13], v[142:143], 0, v[8:9]
	global_load_dwordx2 v[104:105], v[12:13], off
	v_accvgpr_read_b32 v12, a48
	v_accvgpr_read_b32 v13, a49
	v_lshl_add_u64 v[12:13], v[12:13], 0, v[8:9]
	global_load_dwordx2 v[54:55], v[12:13], off
	v_lshl_add_u64 v[12:13], v[146:147], 0, v[8:9]
	v_accvgpr_write_b32 a8, v106
	v_accvgpr_write_b32 a9, v107
	global_load_dwordx2 v[106:107], v[12:13], off
	v_accvgpr_read_b32 v12, a50
	v_accvgpr_read_b32 v13, a51
	v_lshl_add_u64 v[12:13], v[12:13], 0, v[8:9]
	global_load_dwordx2 v[60:61], v[12:13], off
	v_lshl_add_u64 v[12:13], v[148:149], 0, v[8:9]
	v_accvgpr_write_b32 a14, v146
	v_accvgpr_write_b32 a15, v147
	;; [unrolled: 8-line block ×3, first 2 shown]
	global_load_dwordx2 v[148:149], v[12:13], off
	v_accvgpr_read_b32 v12, a54
	v_accvgpr_read_b32 v13, a55
	v_lshl_add_u64 v[12:13], v[12:13], 0, v[8:9]
	global_load_dwordx2 v[76:77], v[12:13], off
	v_lshl_add_u64 v[12:13], v[94:95], 0, v[8:9]
	global_load_dwordx2 v[102:103], v[12:13], off
	v_accvgpr_read_b32 v12, a56
	v_accvgpr_read_b32 v13, a57
	v_lshl_add_u64 v[12:13], v[12:13], 0, v[8:9]
	v_accvgpr_write_b32 a10, v108
	v_accvgpr_read_b32 v14, a58
	v_accvgpr_write_b32 a11, v109
	global_load_dwordx2 v[108:109], v[12:13], off
	v_accvgpr_read_b32 v15, a59
	v_lshl_add_u64 v[14:15], v[14:15], 0, v[8:9]
	v_accvgpr_write_b32 a12, v142
	v_accvgpr_write_b32 a13, v143
	global_load_dwordx2 v[142:143], v[14:15], off
	v_lshl_add_u64 v[14:15], v[98:99], 0, v[8:9]
	v_accvgpr_write_b32 a24, v98
	v_accvgpr_write_b32 a25, v99
	global_load_dwordx2 v[98:99], v[14:15], off
	v_accvgpr_read_b32 v14, a60
	v_accvgpr_read_b32 v15, a61
	v_lshl_add_u64 v[14:15], v[14:15], 0, v[8:9]
	global_load_dwordx2 v[140:141], v[14:15], off
	v_lshl_add_u64 v[14:15], v[100:101], 0, v[8:9]
	v_accvgpr_write_b32 a20, v94
	v_lshl_add_u64 v[12:13], v[96:97], 0, v[8:9]
	v_accvgpr_write_b32 a21, v95
	global_load_dwordx2 v[94:95], v[14:15], off
	v_accvgpr_read_b32 v14, a62
	global_load_dwordx2 v[12:13], v[12:13], off
	v_accvgpr_read_b32 v15, a63
	v_lshl_add_u64 v[14:15], v[14:15], 0, v[8:9]
	v_accvgpr_write_b32 a26, v100
	v_accvgpr_write_b32 a27, v101
	global_load_dwordx2 v[100:101], v[14:15], off
	v_lshl_add_u64 v[14:15], v[114:115], 0, v[8:9]
	global_load_dwordx2 v[90:91], v[14:15], off
	v_accvgpr_read_b32 v14, a64
	v_accvgpr_read_b32 v15, a65
	v_lshl_add_u64 v[14:15], v[14:15], 0, v[8:9]
	v_accvgpr_write_b32 a22, v96
	v_accvgpr_write_b32 a23, v97
	global_load_dwordx2 v[96:97], v[14:15], off
	v_lshl_add_u64 v[14:15], v[152:153], 0, v[8:9]
	global_load_dwordx2 v[88:89], v[14:15], off
	v_accvgpr_read_b32 v14, a66
	;; [unrolled: 8-line block ×3, first 2 shown]
	s_waitcnt vmcnt(28)
	ds_bpermute_b32 v40, v150, v6
	ds_bpermute_b32 v41, v150, v7
	v_accvgpr_read_b32 v15, a69
	v_lshl_add_u64 v[14:15], v[14:15], 0, v[8:9]
	s_waitcnt vmcnt(27)
	ds_bpermute_b32 v70, v150, v16
	ds_bpermute_b32 v71, v150, v17
	global_load_dwordx2 v[138:139], v[14:15], off
	v_lshl_add_u64 v[14:15], v[154:155], 0, v[8:9]
	global_load_dwordx2 v[80:81], v[14:15], off
	v_accvgpr_read_b32 v14, a70
	v_accvgpr_read_b32 v15, a71
	s_waitcnt vmcnt(27) lgkmcnt(2)
	v_add_f64 v[34:35], v[34:35], -v[40:41]
	v_lshl_add_u64 v[14:15], v[14:15], 0, v[8:9]
	v_mul_f64 v[34:35], v[20:21], v[34:35]
	global_load_dwordx2 v[86:87], v[14:15], off
	v_lshl_add_u64 v[14:15], v[156:157], 0, v[8:9]
	s_waitcnt lgkmcnt(0)
	v_fmac_f64_e32 v[2:3], v[34:35], v[70:71]
	ds_bpermute_b32 v34, v150, v6 offset:4
	ds_bpermute_b32 v35, v150, v7 offset:4
	global_load_dwordx2 v[72:73], v[14:15], off
	v_accvgpr_read_b32 v14, a72
	v_accvgpr_read_b32 v15, a73
	ds_bpermute_b32 v70, v150, v16 offset:4
	ds_bpermute_b32 v71, v150, v17 offset:4
	v_lshl_add_u64 v[14:15], v[14:15], 0, v[8:9]
	global_load_dwordx2 v[82:83], v[14:15], off
	v_lshl_add_u64 v[14:15], v[112:113], 0, v[8:9]
	global_load_dwordx2 v[62:63], v[14:15], off
	v_accvgpr_read_b32 v14, a74
	s_waitcnt vmcnt(29) lgkmcnt(2)
	v_add_f64 v[34:35], v[46:47], -v[34:35]
	ds_bpermute_b32 v46, v150, v6 offset:8
	ds_bpermute_b32 v47, v150, v7 offset:8
	v_accvgpr_read_b32 v15, a75
	v_mul_f64 v[34:35], v[68:69], v[34:35]
	v_lshl_add_u64 v[14:15], v[14:15], 0, v[8:9]
	s_waitcnt lgkmcnt(2)
	v_fmac_f64_e32 v[2:3], v[34:35], v[70:71]
	ds_bpermute_b32 v70, v150, v16 offset:8
	ds_bpermute_b32 v71, v150, v17 offset:8
	global_load_dwordx2 v[74:75], v[14:15], off
	v_lshl_add_u64 v[14:15], v[158:159], 0, v[8:9]
	global_load_dwordx2 v[56:57], v[14:15], off
	v_accvgpr_read_b32 v14, a76
	v_accvgpr_read_b32 v15, a77
	s_waitcnt vmcnt(29) lgkmcnt(2)
	v_add_f64 v[46:47], v[48:49], -v[46:47]
	v_lshl_add_u64 v[14:15], v[14:15], 0, v[8:9]
	v_mul_f64 v[46:47], v[144:145], v[46:47]
	global_load_dwordx2 v[66:67], v[14:15], off
	v_lshl_add_u64 v[14:15], v[160:161], 0, v[8:9]
	s_waitcnt lgkmcnt(0)
	v_fmac_f64_e32 v[2:3], v[46:47], v[70:71]
	ds_bpermute_b32 v46, v150, v6 offset:12
	ds_bpermute_b32 v47, v150, v7 offset:12
	global_load_dwordx2 v[50:51], v[14:15], off
	v_accvgpr_read_b32 v14, a78
	v_accvgpr_read_b32 v15, a79
	ds_bpermute_b32 v70, v150, v16 offset:12
	ds_bpermute_b32 v71, v150, v17 offset:12
	v_lshl_add_u64 v[14:15], v[14:15], 0, v[8:9]
	global_load_dwordx2 v[58:59], v[14:15], off
	v_lshl_add_u64 v[14:15], v[26:27], 0, v[8:9]
	global_load_dwordx2 v[42:43], v[14:15], off
	v_accvgpr_read_b32 v14, a80
	s_waitcnt vmcnt(31) lgkmcnt(2)
	v_add_f64 v[46:47], v[54:55], -v[46:47]
	ds_bpermute_b32 v54, v150, v6 offset:16
	ds_bpermute_b32 v55, v150, v7 offset:16
	v_accvgpr_read_b32 v15, a81
	v_mul_f64 v[46:47], v[104:105], v[46:47]
	v_lshl_add_u64 v[14:15], v[14:15], 0, v[8:9]
	s_waitcnt lgkmcnt(2)
	v_fmac_f64_e32 v[2:3], v[46:47], v[70:71]
	ds_bpermute_b32 v70, v150, v16 offset:16
	ds_bpermute_b32 v71, v150, v17 offset:16
	global_load_dwordx2 v[52:53], v[14:15], off
	v_lshl_add_u64 v[14:15], v[116:117], 0, v[8:9]
	global_load_dwordx2 v[36:37], v[14:15], off
	v_accvgpr_read_b32 v14, a82
	v_accvgpr_read_b32 v15, a83
	s_waitcnt vmcnt(31) lgkmcnt(2)
	v_add_f64 v[54:55], v[60:61], -v[54:55]
	v_lshl_add_u64 v[14:15], v[14:15], 0, v[8:9]
	v_mul_f64 v[54:55], v[106:107], v[54:55]
	global_load_dwordx2 v[44:45], v[14:15], off
	v_lshl_add_u64 v[14:15], v[166:167], 0, v[8:9]
	s_waitcnt lgkmcnt(0)
	v_fmac_f64_e32 v[2:3], v[54:55], v[70:71]
	ds_bpermute_b32 v54, v150, v6 offset:20
	ds_bpermute_b32 v55, v150, v7 offset:20
	global_load_dwordx2 v[30:31], v[14:15], off
	v_accvgpr_read_b32 v14, a84
	v_lshl_add_u64 v[60:61], v[126:127], 0, v[8:9]
	v_accvgpr_read_b32 v15, a85
	global_load_dwordx2 v[70:71], v[60:61], off
	ds_bpermute_b32 v60, v150, v16 offset:20
	ds_bpermute_b32 v61, v150, v17 offset:20
	v_lshl_add_u64 v[14:15], v[14:15], 0, v[8:9]
	global_load_dwordx2 v[38:39], v[14:15], off
	v_lshl_add_u64 v[14:15], v[162:163], 0, v[8:9]
	v_accvgpr_write_b32 a28, v116
	v_accvgpr_write_b32 a29, v117
	global_load_dwordx2 v[116:117], v[14:15], off
	v_accvgpr_read_b32 v14, a86
	s_waitcnt vmcnt(34) lgkmcnt(2)
	v_add_f64 v[54:55], v[64:65], -v[54:55]
	v_accvgpr_read_b32 v15, a87
	v_mul_f64 v[54:55], v[146:147], v[54:55]
	v_lshl_add_u64 v[14:15], v[14:15], 0, v[8:9]
	s_waitcnt lgkmcnt(0)
	v_fmac_f64_e32 v[2:3], v[54:55], v[60:61]
	v_accvgpr_read_b32 v55, a35
	global_load_dwordx2 v[32:33], v[14:15], off
	v_lshl_add_u64 v[14:15], v[164:165], 0, v[8:9]
	ds_bpermute_b32 v64, v150, v6 offset:24
	ds_bpermute_b32 v65, v150, v7 offset:24
	v_accvgpr_read_b32 v54, a34
	global_load_dwordx2 v[18:19], v[14:15], off
	v_accvgpr_read_b32 v14, a88
	v_lshl_add_u64 v[54:55], v[54:55], 0, v[8:9]
	v_accvgpr_read_b32 v15, a89
	global_load_dwordx2 v[60:61], v[54:55], off
	ds_bpermute_b32 v54, v150, v16 offset:24
	ds_bpermute_b32 v55, v150, v17 offset:24
	v_lshl_add_u64 v[14:15], v[14:15], 0, v[8:9]
	global_load_dwordx2 v[28:29], v[14:15], off
	s_waitcnt vmcnt(36) lgkmcnt(2)
	v_add_f64 v[64:65], v[76:77], -v[64:65]
	v_lshl_add_u64 v[22:23], v[120:121], 0, v[8:9]
	v_mul_f64 v[64:65], v[148:149], v[64:65]
	v_lshl_add_u64 v[14:15], v[118:119], 0, v[8:9]
	global_load_dwordx2 v[22:23], v[22:23], off
	s_waitcnt lgkmcnt(0)
	v_fmac_f64_e32 v[2:3], v[64:65], v[54:55]
	v_accvgpr_read_b32 v55, a37
	global_load_dwordx2 v[14:15], v[14:15], off
	v_accvgpr_read_b32 v54, a36
	v_lshl_add_u64 v[54:55], v[54:55], 0, v[8:9]
	v_lshl_add_u64 v[40:41], v[122:123], 0, v[8:9]
	;; [unrolled: 1-line block ×3, first 2 shown]
	v_accvgpr_write_b32 a30, v168
	global_load_dwordx2 v[64:65], v[54:55], off
	v_lshl_add_u64 v[54:55], v[130:131], 0, v[8:9]
	v_lshl_add_u64 v[24:25], v[78:79], 0, v[8:9]
	global_load_dwordx2 v[40:41], v[40:41], off
	v_lshl_add_u64 v[34:35], v[168:169], 0, v[8:9]
	v_accvgpr_write_b32 a31, v169
	global_load_dwordx2 v[168:169], v[76:77], off
	v_lshl_add_u64 v[48:49], v[124:125], 0, v[8:9]
	global_load_dwordx2 v[76:77], v[54:55], off
	v_accvgpr_read_b32 v55, a1
	global_load_dwordx2 v[24:25], v[24:25], off
	v_accvgpr_read_b32 v54, a0
	v_add_f64 v[20:21], v[54:55], v[20:21]
	v_add_f64 v[20:21], v[20:21], v[68:69]
	;; [unrolled: 1-line block ×3, first 2 shown]
	global_load_dwordx2 v[48:49], v[48:49], off
	v_add_f64 v[104:105], v[144:145], v[104:105]
	global_load_dwordx2 v[34:35], v[34:35], off
	v_add_f64 v[104:105], v[104:105], v[106:107]
	ds_bpermute_b32 v106, v150, v6 offset:28
	ds_bpermute_b32 v107, v150, v7 offset:28
	v_accvgpr_read_b32 v47, a33
	v_accvgpr_read_b32 v46, a32
	v_lshl_add_u64 v[46:47], v[46:47], 0, v[8:9]
	v_lshl_add_u64 v[144:145], v[134:135], 0, v[8:9]
	global_load_dwordx2 v[46:47], v[46:47], off
	s_waitcnt vmcnt(44) lgkmcnt(0)
	v_add_f64 v[106:107], v[108:109], -v[106:107]
	global_load_dwordx2 a[0:1], v[144:145], off
	ds_bpermute_b32 v144, v150, v16 offset:28
	ds_bpermute_b32 v145, v150, v17 offset:28
	;; [unrolled: 1-line block ×4, first 2 shown]
	v_add_f64 v[104:105], v[104:105], v[146:147]
	v_add_f64 v[104:105], v[104:105], v[148:149]
	v_mul_f64 v[106:107], v[102:103], v[106:107]
	v_add_f64 v[102:103], v[104:105], v[102:103]
	ds_bpermute_b32 v104, v150, v16 offset:32
	ds_bpermute_b32 v105, v150, v17 offset:32
	s_waitcnt lgkmcnt(4)
	v_fmac_f64_e32 v[2:3], v[106:107], v[144:145]
	s_waitcnt vmcnt(44) lgkmcnt(2)
	v_add_f64 v[106:107], v[142:143], -v[108:109]
	ds_bpermute_b32 v108, v150, v6 offset:36
	ds_bpermute_b32 v109, v150, v7 offset:36
	s_waitcnt vmcnt(40)
	v_mul_f64 v[106:107], v[12:13], v[106:107]
	v_add_f64 v[12:13], v[102:103], v[12:13]
	ds_bpermute_b32 v102, v150, v16 offset:36
	ds_bpermute_b32 v103, v150, v17 offset:36
	s_waitcnt lgkmcnt(4)
	v_fmac_f64_e32 v[2:3], v[106:107], v[104:105]
	ds_bpermute_b32 v106, v150, v6 offset:40
	ds_bpermute_b32 v107, v150, v7 offset:40
	s_waitcnt lgkmcnt(4)
	v_add_f64 v[104:105], v[140:141], -v[108:109]
	v_mul_f64 v[104:105], v[98:99], v[104:105]
	v_add_f64 v[12:13], v[12:13], v[98:99]
	ds_bpermute_b32 v98, v150, v16 offset:40
	ds_bpermute_b32 v99, v150, v17 offset:40
	v_accvgpr_read_b32 v55, a39
	v_accvgpr_read_b32 v54, a38
	v_lshl_add_u64 v[68:69], v[132:133], 0, v[8:9]
	s_waitcnt lgkmcnt(4)
	v_fmac_f64_e32 v[2:3], v[104:105], v[102:103]
	ds_bpermute_b32 v102, v150, v6 offset:44
	ds_bpermute_b32 v103, v150, v7 offset:44
	v_lshl_add_u64 v[54:55], v[54:55], 0, v[8:9]
	global_load_dwordx2 v[68:69], v[68:69], off
	s_waitcnt vmcnt(40) lgkmcnt(4)
	v_add_f64 v[100:101], v[100:101], -v[106:107]
	global_load_dwordx2 v[54:55], v[54:55], off
	v_accvgpr_read_b32 v20, a40
	v_mul_f64 v[100:101], v[94:95], v[100:101]
	v_add_f64 v[12:13], v[12:13], v[94:95]
	ds_bpermute_b32 v94, v150, v16 offset:44
	ds_bpermute_b32 v95, v150, v17 offset:44
	v_accvgpr_read_b32 v21, a41
	s_waitcnt lgkmcnt(4)
	v_fmac_f64_e32 v[2:3], v[100:101], v[98:99]
	ds_bpermute_b32 v98, v150, v6 offset:48
	ds_bpermute_b32 v99, v150, v7 offset:48
	v_lshl_add_u64 v[20:21], v[20:21], 0, v[8:9]
	global_load_dwordx2 v[20:21], v[20:21], off
	s_waitcnt vmcnt(40) lgkmcnt(4)
	v_add_f64 v[96:97], v[96:97], -v[102:103]
	v_mul_f64 v[96:97], v[90:91], v[96:97]
	v_add_f64 v[12:13], v[12:13], v[90:91]
	ds_bpermute_b32 v90, v150, v16 offset:48
	ds_bpermute_b32 v91, v150, v17 offset:48
	s_waitcnt lgkmcnt(4)
	v_fmac_f64_e32 v[2:3], v[96:97], v[94:95]
	ds_bpermute_b32 v94, v150, v6 offset:52
	ds_bpermute_b32 v95, v150, v7 offset:52
	s_waitcnt vmcnt(38) lgkmcnt(4)
	v_add_f64 v[92:93], v[92:93], -v[98:99]
	v_mul_f64 v[92:93], v[88:89], v[92:93]
	v_add_f64 v[12:13], v[12:13], v[88:89]
	ds_bpermute_b32 v88, v150, v16 offset:52
	ds_bpermute_b32 v89, v150, v17 offset:52
	s_waitcnt lgkmcnt(4)
	v_fmac_f64_e32 v[2:3], v[92:93], v[90:91]
	ds_bpermute_b32 v92, v150, v6 offset:56
	ds_bpermute_b32 v93, v150, v7 offset:56
	;; [unrolled: 10-line block ×11, first 2 shown]
	s_waitcnt vmcnt(17) lgkmcnt(4)
	v_add_f64 v[32:33], v[32:33], -v[42:43]
	v_mov_b64_e32 v[144:145], v[114:115]
	v_mov_b64_e32 v[114:115], v[26:27]
	v_mul_f64 v[32:33], v[116:117], v[32:33]
	ds_bpermute_b32 v26, v150, v16 offset:92
	ds_bpermute_b32 v27, v150, v17 offset:92
	s_waitcnt lgkmcnt(4)
	v_fmac_f64_e32 v[2:3], v[32:33], v[30:31]
	ds_bpermute_b32 v30, v150, v6 offset:96
	ds_bpermute_b32 v31, v150, v7 offset:96
	s_waitcnt vmcnt(14) lgkmcnt(4)
	v_add_f64 v[28:29], v[28:29], -v[36:37]
	v_add_f64 v[12:13], v[12:13], v[116:117]
	v_mul_f64 v[28:29], v[18:19], v[28:29]
	s_waitcnt lgkmcnt(2)
	v_fmac_f64_e32 v[2:3], v[28:29], v[26:27]
	v_add_f64 v[12:13], v[12:13], v[18:19]
	ds_bpermute_b32 v18, v150, v16 offset:96
	ds_bpermute_b32 v19, v150, v17 offset:96
	;; [unrolled: 1-line block ×4, first 2 shown]
	s_waitcnt vmcnt(13) lgkmcnt(4)
	v_add_f64 v[22:23], v[22:23], -v[30:31]
	s_waitcnt vmcnt(12)
	v_mul_f64 v[22:23], v[14:15], v[22:23]
	v_add_f64 v[12:13], v[12:13], v[14:15]
	ds_bpermute_b32 v14, v150, v16 offset:100
	ds_bpermute_b32 v15, v150, v17 offset:100
	s_waitcnt lgkmcnt(4)
	v_fmac_f64_e32 v[2:3], v[22:23], v[18:19]
	s_waitcnt vmcnt(10) lgkmcnt(2)
	v_add_f64 v[18:19], v[40:41], -v[26:27]
	ds_bpermute_b32 v22, v150, v6 offset:104
	ds_bpermute_b32 v23, v150, v7 offset:104
	s_waitcnt vmcnt(7)
	v_mul_f64 v[18:19], v[24:25], v[18:19]
	s_waitcnt lgkmcnt(2)
	v_fmac_f64_e32 v[2:3], v[18:19], v[14:15]
	ds_bpermute_b32 v14, v150, v16 offset:104
	ds_bpermute_b32 v15, v150, v17 offset:104
	s_waitcnt vmcnt(6) lgkmcnt(2)
	v_add_f64 v[18:19], v[48:49], -v[22:23]
	ds_bpermute_b32 v22, v150, v6 offset:108
	ds_bpermute_b32 v23, v150, v7 offset:108
	s_waitcnt vmcnt(5)
	v_mul_f64 v[18:19], v[34:35], v[18:19]
	s_waitcnt lgkmcnt(2)
	v_fmac_f64_e32 v[2:3], v[18:19], v[14:15]
	ds_bpermute_b32 v14, v150, v16 offset:108
	ds_bpermute_b32 v15, v150, v17 offset:108
	s_waitcnt lgkmcnt(2)
	v_add_f64 v[18:19], v[70:71], -v[22:23]
	ds_bpermute_b32 v22, v150, v6 offset:112
	ds_bpermute_b32 v23, v150, v7 offset:112
	s_waitcnt vmcnt(4)
	v_mul_f64 v[18:19], v[46:47], v[18:19]
	s_waitcnt lgkmcnt(2)
	v_fmac_f64_e32 v[2:3], v[18:19], v[14:15]
	ds_bpermute_b32 v14, v150, v16 offset:112
	ds_bpermute_b32 v15, v150, v17 offset:112
	s_waitcnt lgkmcnt(2)
	v_add_f64 v[18:19], v[168:169], -v[22:23]
	ds_bpermute_b32 v22, v150, v6 offset:116
	ds_bpermute_b32 v23, v150, v7 offset:116
	v_mul_f64 v[18:19], v[60:61], v[18:19]
	s_waitcnt lgkmcnt(2)
	v_fmac_f64_e32 v[2:3], v[18:19], v[14:15]
	ds_bpermute_b32 v14, v150, v16 offset:116
	ds_bpermute_b32 v15, v150, v17 offset:116
	s_waitcnt lgkmcnt(2)
	v_add_f64 v[18:19], v[76:77], -v[22:23]
	ds_bpermute_b32 v22, v150, v6 offset:120
	ds_bpermute_b32 v23, v150, v7 offset:120
	v_mul_f64 v[18:19], v[64:65], v[18:19]
	v_add_f64 v[12:13], v[12:13], v[24:25]
	s_waitcnt lgkmcnt(2)
	v_fmac_f64_e32 v[2:3], v[18:19], v[14:15]
	ds_bpermute_b32 v18, v150, v16 offset:120
	ds_bpermute_b32 v19, v150, v17 offset:120
	v_add_f64 v[12:13], v[12:13], v[34:35]
	v_add_f64 v[12:13], v[12:13], v[46:47]
	;; [unrolled: 1-line block ×3, first 2 shown]
	s_waitcnt vmcnt(2) lgkmcnt(2)
	v_add_f64 v[22:23], v[68:69], -v[22:23]
	v_add_f64 v[14:15], v[12:13], v[64:65]
	ds_bpermute_b32 v12, v150, v16 offset:124
	ds_bpermute_b32 v13, v150, v17 offset:124
	;; [unrolled: 1-line block ×4, first 2 shown]
	s_waitcnt vmcnt(1)
	v_mul_f64 v[6:7], v[54:55], v[22:23]
	v_accvgpr_read_b32 v147, a15
	v_accvgpr_read_b32 v149, a17
	;; [unrolled: 1-line block ×13, first 2 shown]
	s_waitcnt lgkmcnt(4)
	v_fmac_f64_e32 v[2:3], v[6:7], v[18:19]
	v_accvgpr_read_b32 v146, a14
	v_accvgpr_read_b32 v148, a16
	;; [unrolled: 1-line block ×7, first 2 shown]
	v_mov_b64_e32 v[102:103], v[166:167]
	v_mov_b64_e32 v[166:167], v[78:79]
	v_accvgpr_read_b32 v96, a22
	v_accvgpr_read_b32 v98, a24
	;; [unrolled: 1-line block ×6, first 2 shown]
	v_add_f64 v[6:7], v[14:15], v[54:55]
	v_mov_b64_e32 v[138:139], v[2:3]
.LBB38_225:                             ;   in Loop: Header=BB38_149 Depth=1
	s_waitcnt vmcnt(0) lgkmcnt(0)
	v_add_f64 v[2:3], v[104:105], -v[16:17]
	v_mul_f64 v[2:3], v[20:21], v[2:3]
	s_add_u32 s16, s16, s4
	v_fmac_f64_e32 v[138:139], v[2:3], v[12:13]
	s_addc_u32 s17, s17, 0
	v_mov_b64_e32 v[2:3], s[12:13]
	v_cmp_ge_i64_e32 vcc, s[16:17], v[2:3]
	v_accvgpr_read_b32 v2, a32
	v_accvgpr_read_b32 v3, a33
	v_lshl_add_u64 v[2:3], v[2:3], 0, s[24:25]
	v_accvgpr_write_b32 a33, v3
	v_accvgpr_write_b32 a32, v2
	v_accvgpr_read_b32 v2, a34
	v_accvgpr_read_b32 v3, a35
	v_lshl_add_u64 v[2:3], v[2:3], 0, s[24:25]
	v_accvgpr_write_b32 a35, v3
	v_accvgpr_write_b32 a34, v2
	v_accvgpr_read_b32 v2, a36
	v_accvgpr_read_b32 v3, a37
	v_lshl_add_u64 v[2:3], v[2:3], 0, s[24:25]
	v_accvgpr_write_b32 a37, v3
	v_accvgpr_write_b32 a36, v2
	v_accvgpr_read_b32 v2, a38
	v_accvgpr_read_b32 v3, a39
	v_lshl_add_u64 v[2:3], v[2:3], 0, s[24:25]
	v_accvgpr_write_b32 a39, v3
	v_accvgpr_write_b32 a38, v2
	v_accvgpr_read_b32 v2, a40
	v_accvgpr_read_b32 v3, a41
	v_lshl_add_u64 v[2:3], v[2:3], 0, s[24:25]
	v_accvgpr_write_b32 a41, v3
	v_accvgpr_write_b32 a40, v2
	v_accvgpr_read_b32 v2, a42
	v_accvgpr_read_b32 v3, a43
	v_lshl_add_u64 v[2:3], v[2:3], 0, s[24:25]
	v_accvgpr_write_b32 a43, v3
	v_accvgpr_write_b32 a42, v2
	v_accvgpr_read_b32 v2, a44
	v_accvgpr_read_b32 v3, a45
	v_lshl_add_u64 v[2:3], v[2:3], 0, s[24:25]
	v_accvgpr_write_b32 a45, v3
	v_accvgpr_write_b32 a44, v2
	v_accvgpr_read_b32 v2, a46
	v_accvgpr_read_b32 v3, a47
	v_lshl_add_u64 v[2:3], v[2:3], 0, s[24:25]
	v_accvgpr_write_b32 a47, v3
	v_accvgpr_write_b32 a46, v2
	v_accvgpr_read_b32 v2, a48
	v_accvgpr_read_b32 v3, a49
	v_lshl_add_u64 v[2:3], v[2:3], 0, s[24:25]
	v_accvgpr_write_b32 a49, v3
	v_accvgpr_write_b32 a48, v2
	v_accvgpr_read_b32 v2, a50
	v_accvgpr_read_b32 v3, a51
	v_lshl_add_u64 v[2:3], v[2:3], 0, s[24:25]
	v_accvgpr_write_b32 a51, v3
	v_accvgpr_write_b32 a50, v2
	v_accvgpr_read_b32 v2, a52
	v_accvgpr_read_b32 v3, a53
	v_lshl_add_u64 v[2:3], v[2:3], 0, s[24:25]
	v_accvgpr_write_b32 a53, v3
	v_accvgpr_write_b32 a52, v2
	v_accvgpr_read_b32 v2, a54
	v_accvgpr_read_b32 v3, a55
	v_lshl_add_u64 v[2:3], v[2:3], 0, s[24:25]
	v_accvgpr_write_b32 a55, v3
	v_accvgpr_write_b32 a54, v2
	v_accvgpr_read_b32 v2, a56
	v_accvgpr_read_b32 v3, a57
	v_lshl_add_u64 v[2:3], v[2:3], 0, s[24:25]
	v_accvgpr_write_b32 a57, v3
	v_accvgpr_write_b32 a56, v2
	v_accvgpr_read_b32 v2, a58
	v_accvgpr_read_b32 v3, a59
	v_lshl_add_u64 v[2:3], v[2:3], 0, s[24:25]
	v_accvgpr_write_b32 a59, v3
	v_accvgpr_write_b32 a58, v2
	v_accvgpr_read_b32 v2, a60
	v_accvgpr_read_b32 v3, a61
	v_lshl_add_u64 v[2:3], v[2:3], 0, s[24:25]
	v_accvgpr_write_b32 a61, v3
	v_accvgpr_write_b32 a60, v2
	v_accvgpr_read_b32 v2, a62
	v_accvgpr_read_b32 v3, a63
	v_lshl_add_u64 v[2:3], v[2:3], 0, s[24:25]
	v_accvgpr_write_b32 a63, v3
	v_accvgpr_write_b32 a62, v2
	v_accvgpr_read_b32 v2, a64
	v_accvgpr_read_b32 v3, a65
	v_lshl_add_u64 v[2:3], v[2:3], 0, s[24:25]
	v_accvgpr_write_b32 a65, v3
	v_accvgpr_write_b32 a64, v2
	v_accvgpr_read_b32 v2, a66
	v_accvgpr_read_b32 v3, a67
	v_lshl_add_u64 v[2:3], v[2:3], 0, s[24:25]
	v_accvgpr_write_b32 a67, v3
	v_accvgpr_write_b32 a66, v2
	v_accvgpr_read_b32 v2, a68
	v_accvgpr_read_b32 v3, a69
	v_lshl_add_u64 v[2:3], v[2:3], 0, s[24:25]
	v_accvgpr_write_b32 a69, v3
	v_accvgpr_write_b32 a68, v2
	v_accvgpr_read_b32 v2, a70
	v_accvgpr_read_b32 v3, a71
	v_lshl_add_u64 v[2:3], v[2:3], 0, s[24:25]
	v_accvgpr_write_b32 a71, v3
	v_accvgpr_write_b32 a70, v2
	v_accvgpr_read_b32 v2, a72
	v_accvgpr_read_b32 v3, a73
	v_lshl_add_u64 v[2:3], v[2:3], 0, s[24:25]
	v_accvgpr_write_b32 a73, v3
	v_accvgpr_write_b32 a72, v2
	v_accvgpr_read_b32 v2, a74
	v_accvgpr_read_b32 v3, a75
	v_lshl_add_u64 v[2:3], v[2:3], 0, s[24:25]
	v_accvgpr_write_b32 a75, v3
	v_accvgpr_write_b32 a74, v2
	v_accvgpr_read_b32 v2, a76
	v_accvgpr_read_b32 v3, a77
	v_lshl_add_u64 v[2:3], v[2:3], 0, s[24:25]
	v_accvgpr_write_b32 a77, v3
	v_accvgpr_write_b32 a76, v2
	v_accvgpr_read_b32 v2, a78
	v_accvgpr_read_b32 v3, a79
	v_lshl_add_u64 v[2:3], v[2:3], 0, s[24:25]
	v_accvgpr_write_b32 a79, v3
	v_accvgpr_write_b32 a78, v2
	v_accvgpr_read_b32 v2, a80
	v_accvgpr_read_b32 v3, a81
	v_lshl_add_u64 v[2:3], v[2:3], 0, s[24:25]
	v_accvgpr_write_b32 a81, v3
	v_accvgpr_write_b32 a80, v2
	v_accvgpr_read_b32 v2, a82
	v_accvgpr_read_b32 v3, a83
	v_lshl_add_u64 v[2:3], v[2:3], 0, s[24:25]
	v_accvgpr_write_b32 a83, v3
	v_accvgpr_write_b32 a82, v2
	v_accvgpr_read_b32 v2, a84
	v_accvgpr_read_b32 v3, a85
	v_lshl_add_u64 v[2:3], v[2:3], 0, s[24:25]
	v_accvgpr_write_b32 a85, v3
	v_accvgpr_write_b32 a84, v2
	v_accvgpr_read_b32 v2, a86
	v_accvgpr_read_b32 v3, a87
	v_lshl_add_u64 v[2:3], v[2:3], 0, s[24:25]
	v_accvgpr_write_b32 a87, v3
	v_accvgpr_write_b32 a86, v2
	v_accvgpr_read_b32 v2, a88
	v_accvgpr_read_b32 v3, a89
	v_lshl_add_u64 v[2:3], v[2:3], 0, s[24:25]
	v_accvgpr_write_b32 a89, v3
	v_accvgpr_write_b32 a88, v2
	v_accvgpr_read_b32 v2, a90
	v_accvgpr_read_b32 v3, a91
	v_lshl_add_u64 v[2:3], v[2:3], 0, s[24:25]
	v_accvgpr_write_b32 a91, v3
	v_accvgpr_write_b32 a90, v2
	v_accvgpr_read_b32 v2, a92
	v_accvgpr_read_b32 v3, a93
	v_lshl_add_u64 v[2:3], v[2:3], 0, s[24:25]
	v_accvgpr_write_b32 a93, v3
	v_accvgpr_write_b32 a92, v2
	v_accvgpr_read_b32 v2, a94
	v_accvgpr_read_b32 v3, a95
	v_lshl_add_u64 v[2:3], v[2:3], 0, s[24:25]
	v_accvgpr_write_b32 a95, v3
	v_accvgpr_write_b32 a94, v2
	v_accvgpr_read_b32 v2, a96
	v_accvgpr_read_b32 v3, a97
	v_lshl_add_u64 v[2:3], v[2:3], 0, s[24:25]
	v_accvgpr_write_b32 a97, v3
	v_accvgpr_write_b32 a96, v2
	v_accvgpr_read_b32 v2, a98
	v_accvgpr_read_b32 v3, a99
	v_lshl_add_u64 v[2:3], v[2:3], 0, s[24:25]
	v_accvgpr_write_b32 a99, v3
	v_accvgpr_write_b32 a98, v2
	v_accvgpr_read_b32 v2, a100
	v_accvgpr_read_b32 v3, a101
	v_lshl_add_u64 v[2:3], v[2:3], 0, s[24:25]
	v_accvgpr_write_b32 a101, v3
	v_accvgpr_write_b32 a100, v2
	v_accvgpr_read_b32 v2, a102
	v_accvgpr_read_b32 v3, a103
	v_lshl_add_u64 v[2:3], v[2:3], 0, s[24:25]
	v_accvgpr_write_b32 a103, v3
	v_accvgpr_write_b32 a102, v2
	v_accvgpr_read_b32 v2, a104
	v_accvgpr_read_b32 v3, a105
	v_lshl_add_u64 v[2:3], v[2:3], 0, s[24:25]
	v_accvgpr_write_b32 a105, v3
	v_accvgpr_write_b32 a104, v2
	v_accvgpr_read_b32 v2, a106
	v_accvgpr_read_b32 v3, a107
	v_lshl_add_u64 v[2:3], v[2:3], 0, s[24:25]
	v_accvgpr_write_b32 a107, v3
	v_accvgpr_write_b32 a106, v2
	v_accvgpr_read_b32 v2, a108
	v_accvgpr_read_b32 v3, a109
	v_lshl_add_u64 v[2:3], v[2:3], 0, s[24:25]
	v_accvgpr_write_b32 a109, v3
	v_accvgpr_write_b32 a108, v2
	v_accvgpr_read_b32 v2, a110
	v_accvgpr_read_b32 v3, a111
	v_lshl_add_u64 v[2:3], v[2:3], 0, s[24:25]
	v_accvgpr_write_b32 a111, v3
	v_accvgpr_write_b32 a110, v2
	v_accvgpr_read_b32 v2, a112
	v_accvgpr_read_b32 v3, a113
	v_lshl_add_u64 v[2:3], v[2:3], 0, s[24:25]
	v_accvgpr_write_b32 a113, v3
	v_accvgpr_write_b32 a112, v2
	v_accvgpr_read_b32 v2, a114
	v_accvgpr_read_b32 v3, a115
	v_lshl_add_u64 v[2:3], v[2:3], 0, s[24:25]
	v_accvgpr_write_b32 a115, v3
	v_accvgpr_write_b32 a114, v2
	v_accvgpr_read_b32 v2, a116
	v_accvgpr_read_b32 v3, a117
	v_lshl_add_u64 v[2:3], v[2:3], 0, s[24:25]
	v_accvgpr_write_b32 a117, v3
	v_accvgpr_write_b32 a116, v2
	v_accvgpr_read_b32 v2, a118
	v_accvgpr_read_b32 v3, a119
	v_lshl_add_u64 v[2:3], v[2:3], 0, s[24:25]
	v_accvgpr_write_b32 a119, v3
	v_accvgpr_read_b32 v105, a7
	v_accvgpr_write_b32 a118, v2
	v_accvgpr_read_b32 v2, a120
	v_accvgpr_read_b32 v104, a6
	;; [unrolled: 1-line block ×3, first 2 shown]
	s_add_u32 s26, s26, s4
	v_add_f64 v[140:141], v[6:7], v[20:21]
	v_lshl_add_u64 v[104:105], v[104:105], 0, s[4:5]
	v_lshl_add_u64 v[106:107], v[106:107], 0, s[24:25]
	v_lshl_add_u64 v[108:109], v[108:109], 0, s[24:25]
	v_lshl_add_u64 v[142:143], v[142:143], 0, s[24:25]
	v_lshl_add_u64 v[146:147], v[146:147], 0, s[24:25]
	v_lshl_add_u64 v[148:149], v[148:149], 0, s[24:25]
	v_lshl_add_u64 v[92:93], v[92:93], 0, s[24:25]
	v_lshl_add_u64 v[94:95], v[94:95], 0, s[24:25]
	v_lshl_add_u64 v[96:97], v[96:97], 0, s[24:25]
	v_lshl_add_u64 v[98:99], v[98:99], 0, s[24:25]
	v_lshl_add_u64 v[100:101], v[100:101], 0, s[24:25]
	v_lshl_add_u64 v[144:145], v[144:145], 0, s[24:25]
	v_lshl_add_u64 v[152:153], v[152:153], 0, s[24:25]
	v_lshl_add_u64 v[110:111], v[110:111], 0, s[24:25]
	v_lshl_add_u64 v[154:155], v[154:155], 0, s[24:25]
	v_lshl_add_u64 v[156:157], v[156:157], 0, s[24:25]
	v_lshl_add_u64 v[112:113], v[112:113], 0, s[24:25]
	v_lshl_add_u64 v[158:159], v[158:159], 0, s[24:25]
	v_lshl_add_u64 v[160:161], v[160:161], 0, s[24:25]
	v_lshl_add_u64 v[114:115], v[114:115], 0, s[24:25]
	v_lshl_add_u64 v[116:117], v[116:117], 0, s[24:25]
	v_lshl_add_u64 v[102:103], v[102:103], 0, s[24:25]
	v_lshl_add_u64 v[162:163], v[162:163], 0, s[24:25]
	v_lshl_add_u64 v[164:165], v[164:165], 0, s[24:25]
	v_lshl_add_u64 v[118:119], v[118:119], 0, s[24:25]
	v_lshl_add_u64 v[166:167], v[166:167], 0, s[24:25]
	v_lshl_add_u64 v[168:169], v[168:169], 0, s[24:25]
	v_lshl_add_u64 v[120:121], v[120:121], 0, s[24:25]
	v_lshl_add_u64 v[122:123], v[122:123], 0, s[24:25]
	v_lshl_add_u64 v[124:125], v[124:125], 0, s[24:25]
	v_lshl_add_u64 v[126:127], v[126:127], 0, s[24:25]
	v_lshl_add_u64 v[128:129], v[128:129], 0, s[24:25]
	v_lshl_add_u64 v[130:131], v[130:131], 0, s[24:25]
	v_lshl_add_u64 v[132:133], v[132:133], 0, s[24:25]
	v_lshl_add_u64 v[134:135], v[134:135], 0, s[24:25]
	v_lshl_add_u64 v[136:137], v[136:137], 0, s[24:25]
	v_lshl_add_u64 v[2:3], v[2:3], 0, s[24:25]
	v_lshl_add_u64 v[170:171], v[170:171], 0, s[24:25]
	v_lshl_add_u64 v[172:173], v[172:173], 0, s[24:25]
	v_lshl_add_u64 v[174:175], v[174:175], 0, s[24:25]
	v_lshl_add_u64 v[176:177], v[176:177], 0, s[24:25]
	v_lshl_add_u64 v[178:179], v[178:179], 0, s[24:25]
	v_lshl_add_u64 v[180:181], v[180:181], 0, s[24:25]
	v_lshl_add_u64 v[182:183], v[182:183], 0, s[24:25]
	v_lshl_add_u64 v[184:185], v[184:185], 0, s[24:25]
	v_lshl_add_u64 v[186:187], v[186:187], 0, s[24:25]
	v_lshl_add_u64 v[188:189], v[188:189], 0, s[24:25]
	v_lshl_add_u64 v[190:191], v[190:191], 0, s[24:25]
	v_lshl_add_u64 v[192:193], v[192:193], 0, s[24:25]
	v_lshl_add_u64 v[194:195], v[194:195], 0, s[24:25]
	v_lshl_add_u64 v[196:197], v[196:197], 0, s[24:25]
	v_lshl_add_u64 v[198:199], v[198:199], 0, s[24:25]
	v_lshl_add_u64 v[200:201], v[200:201], 0, s[24:25]
	v_lshl_add_u64 v[202:203], v[202:203], 0, s[24:25]
	v_lshl_add_u64 v[204:205], v[204:205], 0, s[24:25]
	v_lshl_add_u64 v[206:207], v[206:207], 0, s[24:25]
	v_lshl_add_u64 v[208:209], v[208:209], 0, s[24:25]
	v_lshl_add_u64 v[210:211], v[210:211], 0, s[24:25]
	v_lshl_add_u64 v[212:213], v[212:213], 0, s[24:25]
	v_lshl_add_u64 v[214:215], v[214:215], 0, s[24:25]
	v_lshl_add_u64 v[216:217], v[216:217], 0, s[24:25]
	v_lshl_add_u64 v[218:219], v[218:219], 0, s[24:25]
	v_lshl_add_u64 v[220:221], v[220:221], 0, s[24:25]
	v_lshl_add_u64 v[222:223], v[222:223], 0, s[24:25]
	v_lshl_add_u64 v[224:225], v[224:225], 0, s[24:25]
	v_lshl_add_u64 v[226:227], v[226:227], 0, s[24:25]
	v_lshl_add_u64 v[228:229], v[228:229], 0, s[24:25]
	v_lshl_add_u64 v[230:231], v[230:231], 0, s[24:25]
	v_lshl_add_u64 v[232:233], v[232:233], 0, s[24:25]
	v_lshl_add_u64 v[234:235], v[234:235], 0, s[24:25]
	v_lshl_add_u64 v[236:237], v[236:237], 0, s[24:25]
	v_lshl_add_u64 v[238:239], v[238:239], 0, s[24:25]
	v_lshl_add_u64 v[240:241], v[240:241], 0, s[24:25]
	v_lshl_add_u64 v[242:243], v[242:243], 0, s[24:25]
	v_lshl_add_u64 v[244:245], v[244:245], 0, s[24:25]
	v_lshl_add_u64 v[246:247], v[246:247], 0, s[24:25]
	v_lshl_add_u64 v[248:249], v[248:249], 0, s[24:25]
	v_lshl_add_u64 v[250:251], v[250:251], 0, s[24:25]
	v_lshl_add_u64 v[252:253], v[252:253], 0, s[24:25]
	v_lshl_add_u64 v[254:255], v[254:255], 0, s[24:25]
	v_lshl_add_u64 v[4:5], v[4:5], 0, s[24:25]
	v_lshl_add_u64 v[0:1], v[0:1], 0, s[24:25]
	v_lshl_add_u64 v[10:11], v[10:11], 0, s[24:25]
	s_addc_u32 s27, s27, 0
	s_cbranch_vccnz .LBB38_227
; %bb.226:                              ;   in Loop: Header=BB38_149 Depth=1
	v_accvgpr_write_b32 a121, v3
	v_accvgpr_write_b32 a120, v2
	v_mov_b64_e32 v[2:3], v[138:139]
	s_branch .LBB38_149
.LBB38_227:
	v_mov_b32_e32 v11, v151
.LBB38_228:
	s_mov_b32 s3, 0
	s_lshl_b64 s[2:3], s[2:3], 5
	v_and_b32_e32 v0, 0x3ff, v11
	v_or_b32_e32 v0, s2, v0
	v_mov_b32_e32 v1, s3
	v_cmp_gt_i64_e32 vcc, s[14:15], v[0:1]
	s_and_saveexec_b64 s[2:3], vcc
	s_cbranch_execz .LBB38_233
; %bb.229:
	s_load_dword s2, s[0:1], 0x4c
	s_load_dwordx4 s[4:7], s[0:1], 0x30
	v_bfe_u32 v2, v11, 10, 10
	v_mov_b32_e32 v3, 0
	v_mov_b32_e32 v4, s8
	s_waitcnt lgkmcnt(0)
	s_lshr_b32 s0, s2, 16
	v_mad_u64_u32 v[2:3], s[0:1], s0, v4, v[2:3]
	s_cmp_eq_u64 s[4:5], 0
	v_mul_lo_u32 v3, v3, s14
	v_mul_lo_u32 v4, v2, s15
	s_cbranch_scc1 .LBB38_231
; %bb.230:
	v_mad_u64_u32 v[6:7], s[0:1], v2, s14, 0
	v_add3_u32 v7, v7, v4, v3
	v_lshl_add_u64 v[6:7], v[6:7], 3, s[4:5]
	v_lshl_add_u64 v[6:7], v[0:1], 3, v[6:7]
	global_store_dwordx2 v[6:7], v[138:139], off
.LBB38_231:
	s_cmp_eq_u64 s[6:7], 0
	s_cbranch_scc1 .LBB38_233
; %bb.232:
	v_mad_u64_u32 v[6:7], s[0:1], v2, s14, 0
	v_add3_u32 v7, v7, v4, v3
	v_lshl_add_u64 v[2:3], v[6:7], 3, s[6:7]
	v_lshl_add_u64 v[0:1], v[0:1], 3, v[2:3]
	global_store_dwordx2 v[0:1], v[140:141], off
.LBB38_233:
	s_endpgm
	.section	.rodata,"a",@progbits
	.p2align	6, 0x0
	.amdhsa_kernel _ZN2at6native12_GLOBAL__N_135GammaBetaBackwardCUDAKernelTemplateIddLj32ELj1ELj32ELb1ELb0ELb0EEEvllPKT_S5_PKT0_S8_PS3_S9_
		.amdhsa_group_segment_fixed_size 0
		.amdhsa_private_segment_fixed_size 0
		.amdhsa_kernarg_size 320
		.amdhsa_user_sgpr_count 2
		.amdhsa_user_sgpr_dispatch_ptr 0
		.amdhsa_user_sgpr_queue_ptr 0
		.amdhsa_user_sgpr_kernarg_segment_ptr 1
		.amdhsa_user_sgpr_dispatch_id 0
		.amdhsa_user_sgpr_kernarg_preload_length 0
		.amdhsa_user_sgpr_kernarg_preload_offset 0
		.amdhsa_user_sgpr_private_segment_size 0
		.amdhsa_uses_dynamic_stack 0
		.amdhsa_enable_private_segment 0
		.amdhsa_system_sgpr_workgroup_id_x 1
		.amdhsa_system_sgpr_workgroup_id_y 1
		.amdhsa_system_sgpr_workgroup_id_z 0
		.amdhsa_system_sgpr_workgroup_info 0
		.amdhsa_system_vgpr_workitem_id 1
		.amdhsa_next_free_vgpr 404
		.amdhsa_next_free_sgpr 44
		.amdhsa_accum_offset 256
		.amdhsa_reserve_vcc 1
		.amdhsa_float_round_mode_32 0
		.amdhsa_float_round_mode_16_64 0
		.amdhsa_float_denorm_mode_32 3
		.amdhsa_float_denorm_mode_16_64 3
		.amdhsa_dx10_clamp 1
		.amdhsa_ieee_mode 1
		.amdhsa_fp16_overflow 0
		.amdhsa_tg_split 0
		.amdhsa_exception_fp_ieee_invalid_op 0
		.amdhsa_exception_fp_denorm_src 0
		.amdhsa_exception_fp_ieee_div_zero 0
		.amdhsa_exception_fp_ieee_overflow 0
		.amdhsa_exception_fp_ieee_underflow 0
		.amdhsa_exception_fp_ieee_inexact 0
		.amdhsa_exception_int_div_zero 0
	.end_amdhsa_kernel
	.section	.text._ZN2at6native12_GLOBAL__N_135GammaBetaBackwardCUDAKernelTemplateIddLj32ELj1ELj32ELb1ELb0ELb0EEEvllPKT_S5_PKT0_S8_PS3_S9_,"axG",@progbits,_ZN2at6native12_GLOBAL__N_135GammaBetaBackwardCUDAKernelTemplateIddLj32ELj1ELj32ELb1ELb0ELb0EEEvllPKT_S5_PKT0_S8_PS3_S9_,comdat
.Lfunc_end38:
	.size	_ZN2at6native12_GLOBAL__N_135GammaBetaBackwardCUDAKernelTemplateIddLj32ELj1ELj32ELb1ELb0ELb0EEEvllPKT_S5_PKT0_S8_PS3_S9_, .Lfunc_end38-_ZN2at6native12_GLOBAL__N_135GammaBetaBackwardCUDAKernelTemplateIddLj32ELj1ELj32ELb1ELb0ELb0EEEvllPKT_S5_PKT0_S8_PS3_S9_
                                        ; -- End function
	.section	.AMDGPU.csdata,"",@progbits
; Kernel info:
; codeLenInByte = 29544
; NumSgprs: 50
; NumVgprs: 256
; NumAgprs: 148
; TotalNumVgprs: 404
; ScratchSize: 0
; MemoryBound: 0
; FloatMode: 240
; IeeeMode: 1
; LDSByteSize: 0 bytes/workgroup (compile time only)
; SGPRBlocks: 6
; VGPRBlocks: 50
; NumSGPRsForWavesPerEU: 50
; NumVGPRsForWavesPerEU: 404
; AccumOffset: 256
; Occupancy: 1
; WaveLimiterHint : 0
; COMPUTE_PGM_RSRC2:SCRATCH_EN: 0
; COMPUTE_PGM_RSRC2:USER_SGPR: 2
; COMPUTE_PGM_RSRC2:TRAP_HANDLER: 0
; COMPUTE_PGM_RSRC2:TGID_X_EN: 1
; COMPUTE_PGM_RSRC2:TGID_Y_EN: 1
; COMPUTE_PGM_RSRC2:TGID_Z_EN: 0
; COMPUTE_PGM_RSRC2:TIDIG_COMP_CNT: 1
; COMPUTE_PGM_RSRC3_GFX90A:ACCUM_OFFSET: 63
; COMPUTE_PGM_RSRC3_GFX90A:TG_SPLIT: 0
	.section	.text._ZN2at6native12_GLOBAL__N_135GammaBetaBackwardCUDAKernelTemplateIddLj32ELj1ELj8ELb1ELb1ELb0EEEvllPKT_S5_PKT0_S8_PS3_S9_,"axG",@progbits,_ZN2at6native12_GLOBAL__N_135GammaBetaBackwardCUDAKernelTemplateIddLj32ELj1ELj8ELb1ELb1ELb0EEEvllPKT_S5_PKT0_S8_PS3_S9_,comdat
	.globl	_ZN2at6native12_GLOBAL__N_135GammaBetaBackwardCUDAKernelTemplateIddLj32ELj1ELj8ELb1ELb1ELb0EEEvllPKT_S5_PKT0_S8_PS3_S9_ ; -- Begin function _ZN2at6native12_GLOBAL__N_135GammaBetaBackwardCUDAKernelTemplateIddLj32ELj1ELj8ELb1ELb1ELb0EEEvllPKT_S5_PKT0_S8_PS3_S9_
	.p2align	8
	.type	_ZN2at6native12_GLOBAL__N_135GammaBetaBackwardCUDAKernelTemplateIddLj32ELj1ELj8ELb1ELb1ELb0EEEvllPKT_S5_PKT0_S8_PS3_S9_,@function
_ZN2at6native12_GLOBAL__N_135GammaBetaBackwardCUDAKernelTemplateIddLj32ELj1ELj8ELb1ELb1ELb0EEEvllPKT_S5_PKT0_S8_PS3_S9_: ; @_ZN2at6native12_GLOBAL__N_135GammaBetaBackwardCUDAKernelTemplateIddLj32ELj1ELj8ELb1ELb1ELb0EEEvllPKT_S5_PKT0_S8_PS3_S9_
; %bb.0:
	s_load_dwordx4 s[16:19], s[0:1], 0x0
	s_lshl_b32 s6, s3, 3
	s_mov_b32 s7, 0
	s_mov_b32 s4, s3
	v_bfe_u32 v1, v0, 10, 10
	s_waitcnt lgkmcnt(0)
	v_mov_b64_e32 v[2:3], s[16:17]
	v_cmp_lt_i64_e32 vcc, s[6:7], v[2:3]
	s_cbranch_vccnz .LBB39_2
; %bb.1:
	s_add_u32 s24, s0, 64
	s_addc_u32 s25, s1, 0
	s_mov_b64 s[8:9], 0
	s_mov_b64 s[10:11], 0
	v_bfe_u32 v4, v0, 10, 10
	s_branch .LBB39_3
.LBB39_2:
	s_mov_b64 s[8:9], -1
                                        ; implicit-def: $sgpr10_sgpr11
                                        ; implicit-def: $sgpr24_sgpr25
                                        ; implicit-def: $vgpr4
.LBB39_3:
	s_load_dwordx4 s[20:23], s[0:1], 0x30
	v_and_b32_e32 v0, 0x3ff, v0
	s_andn2_b64 vcc, exec, s[8:9]
	v_mov_b64_e32 v[14:15], s[10:11]
	v_mov_b64_e32 v[2:3], s[10:11]
	s_cbranch_vccnz .LBB39_11
; %bb.4:
	s_load_dword s3, s[0:1], 0x4c
	s_load_dword s5, s[0:1], 0x44
	s_load_dwordx8 s[8:15], s[0:1], 0x10
	s_add_u32 s24, s0, 64
	s_addc_u32 s25, s1, 0
	s_waitcnt lgkmcnt(0)
	s_and_b32 s0, s3, 0xffff
	v_mad_u32_u24 v2, v1, s0, v0
	v_lshlrev_b32_e32 v4, 3, v1
	v_mov_b32_e32 v5, 0
	v_mbcnt_lo_u32_b32 v6, -1, 0
	v_and_b32_e32 v2, 63, v2
	v_mov_b32_e32 v3, v5
	v_mbcnt_hi_u32_b32 v6, -1, v6
	s_lshl_b32 s26, s5, 3
	v_lshl_add_u64 v[10:11], v[4:5], 0, s[6:7]
	v_cmp_gt_u32_e64 s[0:1], 8, v2
	v_lshl_add_u32 v8, s2, 5, v0
	v_mov_b32_e32 v9, v5
	v_lshlrev_b32_e32 v6, 2, v6
	v_lshl_add_u64 v[4:5], v[10:11], 0, v[2:3]
	v_mul_lo_u32 v12, s19, v10
	v_mul_lo_u32 v11, s18, v11
	v_mad_u64_u32 v[2:3], s[30:31], s18, v10, 0
	s_mul_i32 s3, s19, s26
	s_mul_hi_u32 s5, s18, s26
	s_mov_b32 s27, 0
	v_and_b32_e32 v20, 0x100, v6
	v_add3_u32 v3, v3, v11, v12
	v_lshlrev_b64 v[8:9], 3, v[8:9]
	s_add_i32 s31, s5, s3
	s_mul_i32 s30, s18, s26
	v_mov_b64_e32 v[10:11], 0
	v_or_b32_e32 v21, 4, v20
	v_or_b32_e32 v22, 8, v20
	;; [unrolled: 1-line block ×7, first 2 shown]
	v_lshlrev_b64 v[6:7], 3, v[4:5]
	s_lshl_b64 s[28:29], s[26:27], 3
	v_lshl_add_u64 v[8:9], v[2:3], 3, v[8:9]
	s_lshl_b64 s[30:31], s[30:31], 3
	s_lshl_b64 s[34:35], s[18:19], 3
	v_mov_b64_e32 v[12:13], s[16:17]
	v_mov_b64_e32 v[2:3], v[10:11]
	;; [unrolled: 1-line block ×3, first 2 shown]
	s_branch .LBB39_7
.LBB39_5:                               ;   in Loop: Header=BB39_7 Depth=1
	s_or_b64 exec, exec, s[38:39]
.LBB39_6:                               ;   in Loop: Header=BB39_7 Depth=1
	s_or_b64 exec, exec, s[36:37]
	v_lshl_add_u64 v[28:29], s[10:11], 0, v[8:9]
	global_load_dwordx2 v[30:31], v[28:29], off
	v_lshl_add_u64 v[32:33], s[8:9], 0, v[8:9]
	global_load_dwordx2 v[34:35], v[32:33], off
	;; [unrolled: 2-line block ×6, first 2 shown]
	v_lshl_add_u64 v[28:29], v[28:29], 0, s[34:35]
	v_lshl_add_u64 v[32:33], v[32:33], 0, s[34:35]
	global_load_dwordx2 v[44:45], v[28:29], off
	global_load_dwordx2 v[46:47], v[32:33], off
	v_lshl_add_u64 v[28:29], v[28:29], 0, s[34:35]
	v_lshl_add_u64 v[32:33], v[32:33], 0, s[34:35]
	global_load_dwordx2 v[48:49], v[28:29], off
	global_load_dwordx2 v[50:51], v[32:33], off
	;; [unrolled: 4-line block ×3, first 2 shown]
	v_lshl_add_u64 v[28:29], v[28:29], 0, s[34:35]
	global_load_dwordx2 v[56:57], v[28:29], off
	v_lshl_add_u64 v[32:33], v[32:33], 0, s[34:35]
	global_load_dwordx2 v[58:59], v[32:33], off
	v_lshl_add_u64 v[28:29], v[28:29], 0, s[34:35]
	v_lshl_add_u64 v[32:33], v[32:33], 0, s[34:35]
	global_load_dwordx2 v[60:61], v[28:29], off
	global_load_dwordx2 v[62:63], v[32:33], off
	s_waitcnt vmcnt(17)
	ds_bpermute_b32 v28, v20, v18
	ds_bpermute_b32 v29, v20, v19
	s_waitcnt vmcnt(16)
	ds_bpermute_b32 v32, v20, v16
	ds_bpermute_b32 v33, v20, v17
	s_add_u32 s6, s6, s26
	s_addc_u32 s7, s7, 0
	v_cmp_lt_i64_e32 vcc, s[6:7], v[12:13]
	v_lshl_add_u64 v[6:7], v[6:7], 0, s[28:29]
	v_lshl_add_u64 v[4:5], v[4:5], 0, s[26:27]
	;; [unrolled: 1-line block ×3, first 2 shown]
	s_and_b64 vcc, exec, vcc
	s_waitcnt vmcnt(15) lgkmcnt(2)
	v_add_f64 v[28:29], v[30:31], -v[28:29]
	ds_bpermute_b32 v30, v21, v18
	ds_bpermute_b32 v31, v21, v19
	s_waitcnt vmcnt(14)
	v_mul_f64 v[28:29], v[34:35], v[28:29]
	s_waitcnt lgkmcnt(2)
	v_fmac_f64_e32 v[2:3], v[28:29], v[32:33]
	ds_bpermute_b32 v28, v21, v16
	ds_bpermute_b32 v29, v21, v17
	s_waitcnt vmcnt(13) lgkmcnt(2)
	v_add_f64 v[30:31], v[36:37], -v[30:31]
	ds_bpermute_b32 v36, v22, v18
	ds_bpermute_b32 v37, v22, v19
	;; [unrolled: 1-line block ×4, first 2 shown]
	s_waitcnt vmcnt(12)
	v_mul_f64 v[30:31], v[38:39], v[30:31]
	s_waitcnt lgkmcnt(4)
	v_fmac_f64_e32 v[2:3], v[30:31], v[28:29]
	ds_bpermute_b32 v28, v23, v18
	ds_bpermute_b32 v29, v23, v19
	s_waitcnt vmcnt(11) lgkmcnt(4)
	v_add_f64 v[36:37], v[40:41], -v[36:37]
	ds_bpermute_b32 v30, v24, v18
	ds_bpermute_b32 v31, v24, v19
	s_waitcnt vmcnt(10)
	v_mul_f64 v[36:37], v[42:43], v[36:37]
	ds_bpermute_b32 v40, v25, v18
	ds_bpermute_b32 v41, v25, v19
	s_waitcnt lgkmcnt(6)
	v_fmac_f64_e32 v[2:3], v[36:37], v[32:33]
	ds_bpermute_b32 v36, v23, v16
	ds_bpermute_b32 v37, v23, v17
	;; [unrolled: 1-line block ×4, first 2 shown]
	v_add_f64 v[14:15], v[14:15], v[34:35]
	ds_bpermute_b32 v34, v24, v16
	ds_bpermute_b32 v35, v24, v17
	;; [unrolled: 1-line block ×4, first 2 shown]
	v_add_f64 v[14:15], v[14:15], v[38:39]
	ds_bpermute_b32 v38, v25, v16
	ds_bpermute_b32 v39, v25, v17
	v_add_f64 v[14:15], v[14:15], v[42:43]
	ds_bpermute_b32 v42, v26, v16
	ds_bpermute_b32 v43, v26, v17
	s_waitcnt vmcnt(9) lgkmcnt(14)
	v_add_f64 v[28:29], v[44:45], -v[28:29]
	ds_bpermute_b32 v16, v27, v16
	s_waitcnt vmcnt(8)
	v_mul_f64 v[28:29], v[46:47], v[28:29]
	s_waitcnt vmcnt(7)
	v_add_f64 v[30:31], v[48:49], -v[30:31]
	ds_bpermute_b32 v17, v27, v17
	v_add_f64 v[14:15], v[14:15], v[46:47]
	s_waitcnt lgkmcnt(12)
	v_fmac_f64_e32 v[2:3], v[28:29], v[36:37]
	s_waitcnt vmcnt(6)
	v_mul_f64 v[28:29], v[50:51], v[30:31]
	s_waitcnt vmcnt(5)
	v_add_f64 v[30:31], v[52:53], -v[40:41]
	v_add_f64 v[14:15], v[14:15], v[50:51]
	s_waitcnt lgkmcnt(8)
	v_fmac_f64_e32 v[2:3], v[28:29], v[34:35]
	s_waitcnt vmcnt(4)
	v_mul_f64 v[28:29], v[54:55], v[30:31]
	s_waitcnt vmcnt(3)
	v_add_f64 v[30:31], v[56:57], -v[32:33]
	;; [unrolled: 7-line block ×3, first 2 shown]
	s_waitcnt lgkmcnt(2)
	v_fmac_f64_e32 v[2:3], v[28:29], v[42:43]
	v_add_f64 v[14:15], v[14:15], v[58:59]
	s_waitcnt vmcnt(0)
	v_mul_f64 v[18:19], v[62:63], v[18:19]
	s_waitcnt lgkmcnt(0)
	v_fmac_f64_e32 v[2:3], v[18:19], v[16:17]
	v_add_f64 v[14:15], v[14:15], v[62:63]
	s_cbranch_vccz .LBB39_10
.LBB39_7:                               ; =>This Inner Loop Header: Depth=1
	v_mov_b64_e32 v[16:17], v[10:11]
	v_mov_b64_e32 v[18:19], v[10:11]
	s_and_saveexec_b64 s[36:37], s[0:1]
	s_cbranch_execz .LBB39_6
; %bb.8:                                ;   in Loop: Header=BB39_7 Depth=1
	v_mov_b64_e32 v[18:19], 0
	v_cmp_gt_i64_e32 vcc, s[16:17], v[4:5]
	v_mov_b64_e32 v[16:17], v[18:19]
	s_and_saveexec_b64 s[38:39], vcc
	s_cbranch_execz .LBB39_5
; %bb.9:                                ;   in Loop: Header=BB39_7 Depth=1
	v_lshl_add_u64 v[30:31], s[12:13], 0, v[6:7]
	v_lshl_add_u64 v[28:29], s[14:15], 0, v[6:7]
	global_load_dwordx2 v[18:19], v[30:31], off
	global_load_dwordx2 v[16:17], v[28:29], off
	s_branch .LBB39_5
.LBB39_10:
	v_mov_b32_e32 v4, v1
.LBB39_11:
	s_load_dword s5, s[24:25], 0xc
	s_mov_b32 s3, 0
	v_mov_b32_e32 v1, 0
	s_lshl_b64 s[0:1], s[2:3], 5
	v_lshl_add_u64 v[6:7], s[0:1], 0, v[0:1]
	s_waitcnt lgkmcnt(0)
	s_lshr_b32 s0, s5, 16
	v_mov_b32_e32 v5, v1
	v_mov_b32_e32 v0, s4
	v_mad_u64_u32 v[0:1], s[0:1], s0, v0, v[4:5]
	s_cmp_eq_u64 s[20:21], 0
	v_mul_lo_u32 v1, v1, s18
	v_mul_lo_u32 v4, v0, s19
	s_cbranch_scc1 .LBB39_13
; %bb.12:
	v_mad_u64_u32 v[8:9], s[0:1], v0, s18, 0
	v_add3_u32 v9, v9, v4, v1
	v_lshl_add_u64 v[8:9], v[8:9], 3, s[20:21]
	v_lshl_add_u64 v[8:9], v[6:7], 3, v[8:9]
	global_store_dwordx2 v[8:9], v[2:3], off
.LBB39_13:
	s_cmp_eq_u64 s[22:23], 0
	s_cbranch_scc1 .LBB39_15
; %bb.14:
	v_mad_u64_u32 v[2:3], s[0:1], v0, s18, 0
	v_add3_u32 v3, v3, v4, v1
	v_lshl_add_u64 v[0:1], v[2:3], 3, s[22:23]
	v_lshl_add_u64 v[0:1], v[6:7], 3, v[0:1]
	global_store_dwordx2 v[0:1], v[14:15], off
.LBB39_15:
	s_endpgm
	.section	.rodata,"a",@progbits
	.p2align	6, 0x0
	.amdhsa_kernel _ZN2at6native12_GLOBAL__N_135GammaBetaBackwardCUDAKernelTemplateIddLj32ELj1ELj8ELb1ELb1ELb0EEEvllPKT_S5_PKT0_S8_PS3_S9_
		.amdhsa_group_segment_fixed_size 0
		.amdhsa_private_segment_fixed_size 0
		.amdhsa_kernarg_size 320
		.amdhsa_user_sgpr_count 2
		.amdhsa_user_sgpr_dispatch_ptr 0
		.amdhsa_user_sgpr_queue_ptr 0
		.amdhsa_user_sgpr_kernarg_segment_ptr 1
		.amdhsa_user_sgpr_dispatch_id 0
		.amdhsa_user_sgpr_kernarg_preload_length 0
		.amdhsa_user_sgpr_kernarg_preload_offset 0
		.amdhsa_user_sgpr_private_segment_size 0
		.amdhsa_uses_dynamic_stack 0
		.amdhsa_enable_private_segment 0
		.amdhsa_system_sgpr_workgroup_id_x 1
		.amdhsa_system_sgpr_workgroup_id_y 1
		.amdhsa_system_sgpr_workgroup_id_z 0
		.amdhsa_system_sgpr_workgroup_info 0
		.amdhsa_system_vgpr_workitem_id 1
		.amdhsa_next_free_vgpr 64
		.amdhsa_next_free_sgpr 40
		.amdhsa_accum_offset 64
		.amdhsa_reserve_vcc 1
		.amdhsa_float_round_mode_32 0
		.amdhsa_float_round_mode_16_64 0
		.amdhsa_float_denorm_mode_32 3
		.amdhsa_float_denorm_mode_16_64 3
		.amdhsa_dx10_clamp 1
		.amdhsa_ieee_mode 1
		.amdhsa_fp16_overflow 0
		.amdhsa_tg_split 0
		.amdhsa_exception_fp_ieee_invalid_op 0
		.amdhsa_exception_fp_denorm_src 0
		.amdhsa_exception_fp_ieee_div_zero 0
		.amdhsa_exception_fp_ieee_overflow 0
		.amdhsa_exception_fp_ieee_underflow 0
		.amdhsa_exception_fp_ieee_inexact 0
		.amdhsa_exception_int_div_zero 0
	.end_amdhsa_kernel
	.section	.text._ZN2at6native12_GLOBAL__N_135GammaBetaBackwardCUDAKernelTemplateIddLj32ELj1ELj8ELb1ELb1ELb0EEEvllPKT_S5_PKT0_S8_PS3_S9_,"axG",@progbits,_ZN2at6native12_GLOBAL__N_135GammaBetaBackwardCUDAKernelTemplateIddLj32ELj1ELj8ELb1ELb1ELb0EEEvllPKT_S5_PKT0_S8_PS3_S9_,comdat
.Lfunc_end39:
	.size	_ZN2at6native12_GLOBAL__N_135GammaBetaBackwardCUDAKernelTemplateIddLj32ELj1ELj8ELb1ELb1ELb0EEEvllPKT_S5_PKT0_S8_PS3_S9_, .Lfunc_end39-_ZN2at6native12_GLOBAL__N_135GammaBetaBackwardCUDAKernelTemplateIddLj32ELj1ELj8ELb1ELb1ELb0EEEvllPKT_S5_PKT0_S8_PS3_S9_
                                        ; -- End function
	.section	.AMDGPU.csdata,"",@progbits
; Kernel info:
; codeLenInByte = 1516
; NumSgprs: 46
; NumVgprs: 64
; NumAgprs: 0
; TotalNumVgprs: 64
; ScratchSize: 0
; MemoryBound: 0
; FloatMode: 240
; IeeeMode: 1
; LDSByteSize: 0 bytes/workgroup (compile time only)
; SGPRBlocks: 5
; VGPRBlocks: 7
; NumSGPRsForWavesPerEU: 46
; NumVGPRsForWavesPerEU: 64
; AccumOffset: 64
; Occupancy: 8
; WaveLimiterHint : 0
; COMPUTE_PGM_RSRC2:SCRATCH_EN: 0
; COMPUTE_PGM_RSRC2:USER_SGPR: 2
; COMPUTE_PGM_RSRC2:TRAP_HANDLER: 0
; COMPUTE_PGM_RSRC2:TGID_X_EN: 1
; COMPUTE_PGM_RSRC2:TGID_Y_EN: 1
; COMPUTE_PGM_RSRC2:TGID_Z_EN: 0
; COMPUTE_PGM_RSRC2:TIDIG_COMP_CNT: 1
; COMPUTE_PGM_RSRC3_GFX90A:ACCUM_OFFSET: 15
; COMPUTE_PGM_RSRC3_GFX90A:TG_SPLIT: 0
	.section	.text._ZN2at6native12_GLOBAL__N_135GammaBetaBackwardCUDAKernelTemplateIddLj32ELj1ELj8ELb1ELb0ELb0EEEvllPKT_S5_PKT0_S8_PS3_S9_,"axG",@progbits,_ZN2at6native12_GLOBAL__N_135GammaBetaBackwardCUDAKernelTemplateIddLj32ELj1ELj8ELb1ELb0ELb0EEEvllPKT_S5_PKT0_S8_PS3_S9_,comdat
	.globl	_ZN2at6native12_GLOBAL__N_135GammaBetaBackwardCUDAKernelTemplateIddLj32ELj1ELj8ELb1ELb0ELb0EEEvllPKT_S5_PKT0_S8_PS3_S9_ ; -- Begin function _ZN2at6native12_GLOBAL__N_135GammaBetaBackwardCUDAKernelTemplateIddLj32ELj1ELj8ELb1ELb0ELb0EEEvllPKT_S5_PKT0_S8_PS3_S9_
	.p2align	8
	.type	_ZN2at6native12_GLOBAL__N_135GammaBetaBackwardCUDAKernelTemplateIddLj32ELj1ELj8ELb1ELb0ELb0EEEvllPKT_S5_PKT0_S8_PS3_S9_,@function
_ZN2at6native12_GLOBAL__N_135GammaBetaBackwardCUDAKernelTemplateIddLj32ELj1ELj8ELb1ELb0ELb0EEEvllPKT_S5_PKT0_S8_PS3_S9_: ; @_ZN2at6native12_GLOBAL__N_135GammaBetaBackwardCUDAKernelTemplateIddLj32ELj1ELj8ELb1ELb0ELb0EEEvllPKT_S5_PKT0_S8_PS3_S9_
; %bb.0:
	s_load_dwordx8 s[36:43], s[0:1], 0x0
	s_load_dwordx4 s[28:31], s[0:1], 0x20
	s_mov_b32 s8, s3
	s_lshl_b32 s3, s2, 5
	s_or_b32 s10, s3, 31
	s_mov_b32 s11, 0
	s_waitcnt lgkmcnt(0)
	v_mov_b64_e32 v[2:3], s[38:39]
	v_cmp_ge_i64_e32 vcc, s[10:11], v[2:3]
	s_lshl_b32 s10, s8, 3
	v_mov_b64_e32 v[2:3], s[36:37]
	v_cmp_lt_i64_e64 s[4:5], s[10:11], v[2:3]
	s_nop 1
	v_cndmask_b32_e64 v1, 0, 1, s[4:5]
	v_cmp_ne_u32_e64 s[4:5], 1, v1
	s_cbranch_vccz .LBB40_49
; %bb.1:
	v_mov_b64_e32 v[50:51], 0
	s_mov_b64 s[34:35], 0
	s_and_b64 vcc, exec, s[4:5]
	v_mov_b64_e32 v[52:53], v[50:51]
	s_cbranch_vccnz .LBB40_50
; %bb.2:
	v_mov_b32_e32 v5, 0
	v_bfe_u32 v98, v0, 10, 10
	s_load_dword s9, s[0:1], 0x44
	v_lshlrev_b32_e32 v54, 3, v98
	v_mov_b32_e32 v55, v5
	v_and_b32_e32 v1, 0x3ff, v0
	v_lshl_add_u64 v[2:3], v[54:55], 0, s[10:11]
	v_add_u32_e32 v4, s3, v1
	v_lshl_add_u64 v[6:7], v[2:3], 0, 7
	s_add_u32 s44, s0, 64
	v_cmp_gt_i64_e64 s[6:7], s[38:39], v[4:5]
	v_lshlrev_b64 v[56:57], 3, v[4:5]
	v_mul_lo_u32 v4, s39, v6
	v_mul_lo_u32 v8, s38, v7
	v_mad_u64_u32 v[6:7], s[14:15], s38, v6, 0
	s_addc_u32 s45, s1, 0
	s_waitcnt lgkmcnt(0)
	s_lshl_b32 s46, s9, 3
	v_add3_u32 v7, v7, v8, v4
	v_lshlrev_b64 v[6:7], 3, v[6:7]
	s_mul_i32 s9, s39, s46
	s_mul_hi_u32 s13, s38, s46
	v_lshl_add_u64 v[58:59], s[40:41], 0, v[6:7]
	s_add_i32 s15, s13, s9
	s_mul_i32 s14, s38, s46
	v_lshl_add_u64 v[60:61], s[42:43], 0, v[6:7]
	v_lshl_add_u64 v[6:7], v[2:3], 0, 6
	s_lshl_b64 s[50:51], s[14:15], 3
	v_mul_lo_u32 v4, s39, v6
	v_mul_lo_u32 v8, s38, v7
	v_mad_u64_u32 v[6:7], s[14:15], s38, v6, 0
	v_add3_u32 v7, v7, v8, v4
	v_lshlrev_b64 v[6:7], 3, v[6:7]
	v_lshl_add_u64 v[62:63], s[40:41], 0, v[6:7]
	v_lshl_add_u64 v[64:65], s[42:43], 0, v[6:7]
	v_lshl_add_u64 v[6:7], v[2:3], 0, 5
	v_mul_lo_u32 v4, s39, v6
	v_mul_lo_u32 v8, s38, v7
	v_mad_u64_u32 v[6:7], s[14:15], s38, v6, 0
	v_add3_u32 v7, v7, v8, v4
	v_lshlrev_b64 v[6:7], 3, v[6:7]
	v_lshl_add_u64 v[66:67], s[40:41], 0, v[6:7]
	v_lshl_add_u64 v[68:69], s[42:43], 0, v[6:7]
	v_lshl_add_u64 v[6:7], v[2:3], 0, 4
	v_mul_lo_u32 v4, s39, v6
	v_mul_lo_u32 v8, s38, v7
	v_mad_u64_u32 v[6:7], s[14:15], s38, v6, 0
	v_add3_u32 v7, v7, v8, v4
	v_lshlrev_b64 v[6:7], 3, v[6:7]
	v_lshl_add_u64 v[70:71], s[40:41], 0, v[6:7]
	v_lshl_add_u64 v[72:73], s[42:43], 0, v[6:7]
	v_lshl_add_u64 v[6:7], v[2:3], 0, 3
	v_mul_lo_u32 v4, s39, v6
	v_mul_lo_u32 v8, s38, v7
	v_mad_u64_u32 v[6:7], s[14:15], s38, v6, 0
	v_add3_u32 v7, v7, v8, v4
	v_lshlrev_b64 v[6:7], 3, v[6:7]
	v_lshl_add_u64 v[74:75], s[40:41], 0, v[6:7]
	v_lshl_add_u64 v[76:77], s[42:43], 0, v[6:7]
	v_lshl_add_u64 v[6:7], v[2:3], 0, 2
	v_mul_lo_u32 v4, s39, v6
	v_mul_lo_u32 v8, s38, v7
	v_mad_u64_u32 v[6:7], s[14:15], s38, v6, 0
	v_add3_u32 v7, v7, v8, v4
	v_lshlrev_b64 v[6:7], 3, v[6:7]
	v_lshl_add_u64 v[78:79], s[40:41], 0, v[6:7]
	v_lshl_add_u64 v[80:81], s[42:43], 0, v[6:7]
	v_mov_b64_e32 v[6:7], s[38:39]
	v_mad_u64_u32 v[6:7], s[14:15], s38, v2, v[6:7]
	v_mul_lo_u32 v4, s38, v3
	v_mul_lo_u32 v8, s39, v2
	v_mad_u64_u32 v[2:3], s[14:15], s38, v2, 0
	v_add3_u32 v3, v3, v4, v8
	v_lshlrev_b64 v[2:3], 3, v[2:3]
	v_lshl_add_u64 v[86:87], s[40:41], 0, v[2:3]
	v_lshl_add_u64 v[88:89], s[42:43], 0, v[2:3]
	v_mbcnt_lo_u32_b32 v2, -1, 0
	v_add3_u32 v7, v8, v7, v4
	v_mbcnt_hi_u32_b32 v2, -1, v2
	s_mov_b32 s12, 0
	v_lshlrev_b64 v[6:7], 3, v[6:7]
	v_mov_b64_e32 v[90:91], 0
	v_lshlrev_b32_e32 v2, 2, v2
	s_mov_b32 s47, s12
	s_mov_b64 s[48:49], 7
	v_lshl_add_u64 v[82:83], s[40:41], 0, v[6:7]
	v_lshl_add_u64 v[84:85], s[42:43], 0, v[6:7]
	v_and_b32_e32 v99, 0x100, v2
	v_mov_b64_e32 v[50:51], v[90:91]
	s_mov_b64 s[52:53], s[10:11]
.LBB40_3:                               ; =>This Inner Loop Header: Depth=1
	s_add_u32 s14, s10, s48
	s_addc_u32 s15, 0, s49
	v_mov_b64_e32 v[2:3], s[36:37]
	v_cmp_ge_i64_e32 vcc, s[14:15], v[2:3]
	v_lshl_add_u64 v[92:93], s[10:11], 0, v[54:55]
	s_cbranch_vccz .LBB40_25
; %bb.4:                                ;   in Loop: Header=BB40_3 Depth=1
	s_load_dword s9, s[44:45], 0xc
	v_mov_b64_e32 v[96:97], 0
	v_mov_b64_e32 v[94:95], v[96:97]
	s_waitcnt lgkmcnt(0)
	s_and_b32 s9, s9, 0xffff
	v_mad_u32_u24 v2, v98, s9, v1
	v_and_b32_e32 v4, 63, v2
	v_cmp_gt_u32_e32 vcc, 8, v4
	s_and_saveexec_b64 s[14:15], vcc
	s_cbranch_execz .LBB40_8
; %bb.5:                                ;   in Loop: Header=BB40_3 Depth=1
	v_lshl_add_u64 v[2:3], v[92:93], 0, v[4:5]
	v_mov_b64_e32 v[94:95], 0
	v_cmp_gt_i64_e32 vcc, s[36:37], v[2:3]
	v_mov_b64_e32 v[96:97], v[94:95]
	s_and_saveexec_b64 s[16:17], vcc
	s_cbranch_execz .LBB40_7
; %bb.6:                                ;   in Loop: Header=BB40_3 Depth=1
	v_lshlrev_b64 v[2:3], 3, v[2:3]
	v_lshl_add_u64 v[6:7], s[30:31], 0, v[2:3]
	v_lshl_add_u64 v[2:3], s[28:29], 0, v[2:3]
	global_load_dwordx2 v[94:95], v[2:3], off
	global_load_dwordx2 v[96:97], v[6:7], off
.LBB40_7:                               ;   in Loop: Header=BB40_3 Depth=1
	s_or_b64 exec, exec, s[16:17]
.LBB40_8:                               ;   in Loop: Header=BB40_3 Depth=1
	s_or_b64 exec, exec, s[14:15]
	s_mov_b32 s26, s12
	s_mov_b32 s27, s12
	;; [unrolled: 1-line block ×15, first 2 shown]
	v_mov_b64_e32 v[32:33], s[26:27]
	v_cmp_gt_i64_e32 vcc, s[36:37], v[92:93]
	v_mov_b64_e32 v[30:31], s[24:25]
	v_mov_b64_e32 v[28:29], s[22:23]
	;; [unrolled: 1-line block ×8, first 2 shown]
	s_and_b64 s[54:55], s[6:7], vcc
	v_mov_b64_e32 v[46:47], v[30:31]
	v_mov_b64_e32 v[44:45], v[28:29]
	;; [unrolled: 1-line block ×7, first 2 shown]
	s_and_saveexec_b64 s[14:15], s[54:55]
	s_cbranch_execz .LBB40_10
; %bb.9:                                ;   in Loop: Header=BB40_3 Depth=1
	v_lshl_add_u64 v[2:3], v[86:87], 0, v[56:57]
	global_load_dwordx2 v[2:3], v[2:3], off
	v_lshl_add_u64 v[6:7], v[88:89], 0, v[56:57]
	global_load_dwordx2 v[18:19], v[6:7], off
	v_mov_b32_e32 v16, v5
	v_mov_b32_e32 v17, v5
	;; [unrolled: 1-line block ×13, first 2 shown]
	s_waitcnt vmcnt(1)
	v_mov_b64_e32 v[48:49], v[16:17]
	v_mov_b32_e32 v20, v5
	v_mov_b32_e32 v21, v5
	;; [unrolled: 1-line block ×14, first 2 shown]
	v_mov_b64_e32 v[46:47], v[14:15]
	v_mov_b64_e32 v[44:45], v[12:13]
	v_mov_b64_e32 v[42:43], v[10:11]
	v_mov_b64_e32 v[40:41], v[8:9]
	v_mov_b64_e32 v[38:39], v[6:7]
	v_mov_b64_e32 v[36:37], v[4:5]
	v_mov_b64_e32 v[34:35], v[2:3]
.LBB40_10:                              ;   in Loop: Header=BB40_3 Depth=1
	s_or_b64 exec, exec, s[14:15]
	v_lshl_add_u64 v[2:3], v[92:93], 0, 1
	v_cmp_gt_i64_e32 vcc, s[36:37], v[2:3]
	s_and_b64 s[16:17], s[6:7], vcc
	s_and_saveexec_b64 s[14:15], s[16:17]
	s_cbranch_execz .LBB40_12
; %bb.11:                               ;   in Loop: Header=BB40_3 Depth=1
	v_lshl_add_u64 v[2:3], v[82:83], 0, v[56:57]
	global_load_dwordx2 v[36:37], v[2:3], off
	v_lshl_add_u64 v[2:3], v[84:85], 0, v[56:57]
	global_load_dwordx2 v[20:21], v[2:3], off
.LBB40_12:                              ;   in Loop: Header=BB40_3 Depth=1
	s_or_b64 exec, exec, s[14:15]
	v_lshl_add_u64 v[2:3], v[92:93], 0, 2
	v_cmp_gt_i64_e32 vcc, s[36:37], v[2:3]
	s_and_b64 s[16:17], s[6:7], vcc
	s_and_saveexec_b64 s[14:15], s[16:17]
	s_cbranch_execz .LBB40_14
; %bb.13:                               ;   in Loop: Header=BB40_3 Depth=1
	v_lshl_add_u64 v[2:3], v[78:79], 0, v[56:57]
	global_load_dwordx2 v[38:39], v[2:3], off
	v_lshl_add_u64 v[2:3], v[80:81], 0, v[56:57]
	global_load_dwordx2 v[22:23], v[2:3], off
.LBB40_14:                              ;   in Loop: Header=BB40_3 Depth=1
	;; [unrolled: 12-line block ×7, first 2 shown]
	s_or_b64 exec, exec, s[14:15]
	s_waitcnt vmcnt(1)
	ds_bpermute_b32 v2, v99, v94
	ds_bpermute_b32 v3, v99, v95
	s_waitcnt vmcnt(0)
	ds_bpermute_b32 v6, v99, v96
	ds_bpermute_b32 v7, v99, v97
	ds_bpermute_b32 v8, v99, v94 offset:4
	ds_bpermute_b32 v9, v99, v95 offset:4
	s_waitcnt lgkmcnt(4)
	v_add_f64 v[2:3], v[18:19], -v[2:3]
	v_mul_f64 v[2:3], v[34:35], v[2:3]
	s_waitcnt lgkmcnt(2)
	v_fma_f64 v[52:53], v[2:3], v[6:7], v[90:91]
	ds_bpermute_b32 v6, v99, v96 offset:4
	ds_bpermute_b32 v7, v99, v97 offset:4
	;; [unrolled: 1-line block ×4, first 2 shown]
	s_waitcnt lgkmcnt(4)
	v_add_f64 v[8:9], v[20:21], -v[8:9]
	v_mul_f64 v[8:9], v[36:37], v[8:9]
	s_waitcnt lgkmcnt(2)
	v_fmac_f64_e32 v[52:53], v[8:9], v[6:7]
	ds_bpermute_b32 v6, v99, v96 offset:8
	ds_bpermute_b32 v7, v99, v97 offset:8
	s_waitcnt lgkmcnt(2)
	v_add_f64 v[8:9], v[22:23], -v[10:11]
	ds_bpermute_b32 v10, v99, v94 offset:12
	ds_bpermute_b32 v11, v99, v95 offset:12
	v_mul_f64 v[8:9], v[38:39], v[8:9]
	s_waitcnt lgkmcnt(2)
	v_fmac_f64_e32 v[52:53], v[8:9], v[6:7]
	ds_bpermute_b32 v6, v99, v96 offset:12
	ds_bpermute_b32 v7, v99, v97 offset:12
	s_waitcnt lgkmcnt(2)
	v_add_f64 v[8:9], v[24:25], -v[10:11]
	ds_bpermute_b32 v10, v99, v94 offset:16
	ds_bpermute_b32 v11, v99, v95 offset:16
	;; [unrolled: 9-line block ×3, first 2 shown]
	v_mul_f64 v[8:9], v[42:43], v[8:9]
	v_add_f64 v[2:3], v[50:51], v[34:35]
	s_waitcnt lgkmcnt(2)
	v_fmac_f64_e32 v[52:53], v[8:9], v[6:7]
	ds_bpermute_b32 v6, v99, v96 offset:20
	ds_bpermute_b32 v7, v99, v97 offset:20
	v_add_f64 v[2:3], v[36:37], v[2:3]
	v_add_f64 v[2:3], v[38:39], v[2:3]
	s_waitcnt lgkmcnt(2)
	v_add_f64 v[8:9], v[28:29], -v[10:11]
	ds_bpermute_b32 v10, v99, v94 offset:24
	ds_bpermute_b32 v11, v99, v95 offset:24
	v_add_f64 v[2:3], v[40:41], v[2:3]
	v_add_f64 v[2:3], v[42:43], v[2:3]
	v_mul_f64 v[8:9], v[44:45], v[8:9]
	ds_bpermute_b32 v12, v99, v96 offset:24
	ds_bpermute_b32 v13, v99, v97 offset:24
	s_waitcnt lgkmcnt(4)
	v_fmac_f64_e32 v[52:53], v[8:9], v[6:7]
	v_add_f64 v[8:9], v[44:45], v[2:3]
	ds_bpermute_b32 v2, v99, v96 offset:28
	ds_bpermute_b32 v3, v99, v97 offset:28
	;; [unrolled: 1-line block ×4, first 2 shown]
	s_waitcnt lgkmcnt(6)
	v_add_f64 v[10:11], v[30:31], -v[10:11]
	v_mul_f64 v[10:11], v[46:47], v[10:11]
	s_waitcnt lgkmcnt(4)
	v_fmac_f64_e32 v[52:53], v[10:11], v[12:13]
	v_add_f64 v[8:9], v[46:47], v[8:9]
	s_branch .LBB40_40
.LBB40_25:                              ;   in Loop: Header=BB40_3 Depth=1
                                        ; implicit-def: $vgpr2_vgpr3
                                        ; implicit-def: $vgpr18_vgpr19_vgpr20_vgpr21_vgpr22_vgpr23_vgpr24_vgpr25_vgpr26_vgpr27_vgpr28_vgpr29_vgpr30_vgpr31_vgpr32_vgpr33
                                        ; implicit-def: $vgpr34_vgpr35_vgpr36_vgpr37_vgpr38_vgpr39_vgpr40_vgpr41_vgpr42_vgpr43_vgpr44_vgpr45_vgpr46_vgpr47_vgpr48_vgpr49
                                        ; implicit-def: $vgpr6
                                        ; implicit-def: $vgpr8_vgpr9
                                        ; implicit-def: $vgpr52_vgpr53
	s_cbranch_execz .LBB40_40
; %bb.26:                               ;   in Loop: Header=BB40_3 Depth=1
	s_load_dword s9, s[44:45], 0x0
	v_mov_b64_e32 v[94:95], 0
	v_mov_b64_e32 v[52:53], v[94:95]
	s_waitcnt lgkmcnt(0)
	s_cmp_lt_u32 s2, s9
	s_cselect_b32 s9, 12, 18
	s_add_u32 s14, s44, s9
	s_addc_u32 s15, s45, 0
	global_load_ushort v2, v5, s[14:15]
	s_waitcnt vmcnt(0)
	v_mad_u32_u24 v2, v98, v2, v1
	v_and_b32_e32 v4, 63, v2
	v_cmp_gt_u32_e32 vcc, 8, v4
	s_and_saveexec_b64 s[14:15], vcc
	s_cbranch_execz .LBB40_30
; %bb.27:                               ;   in Loop: Header=BB40_3 Depth=1
	v_lshl_add_u64 v[2:3], v[92:93], 0, v[4:5]
	v_mov_b64_e32 v[52:53], 0
	v_cmp_gt_i64_e32 vcc, s[36:37], v[2:3]
	v_mov_b64_e32 v[94:95], v[52:53]
	s_and_saveexec_b64 s[16:17], vcc
	s_cbranch_execz .LBB40_29
; %bb.28:                               ;   in Loop: Header=BB40_3 Depth=1
	v_lshlrev_b64 v[2:3], 3, v[2:3]
	v_lshl_add_u64 v[6:7], s[30:31], 0, v[2:3]
	v_lshl_add_u64 v[2:3], s[28:29], 0, v[2:3]
	global_load_dwordx2 v[52:53], v[2:3], off
	global_load_dwordx2 v[94:95], v[6:7], off
.LBB40_29:                              ;   in Loop: Header=BB40_3 Depth=1
	s_or_b64 exec, exec, s[16:17]
.LBB40_30:                              ;   in Loop: Header=BB40_3 Depth=1
	s_or_b64 exec, exec, s[14:15]
	s_mov_b32 s26, s12
	s_mov_b32 s27, s12
	;; [unrolled: 1-line block ×15, first 2 shown]
	v_mov_b64_e32 v[32:33], s[26:27]
	v_mov_b64_e32 v[30:31], s[24:25]
	v_mov_b64_e32 v[28:29], s[22:23]
	v_mov_b64_e32 v[26:27], s[20:21]
	v_mov_b64_e32 v[24:25], s[18:19]
	v_mov_b64_e32 v[22:23], s[16:17]
	v_mov_b64_e32 v[20:21], s[14:15]
	v_mov_b64_e32 v[18:19], s[12:13]
	v_mov_b64_e32 v[48:49], v[32:33]
	v_mov_b64_e32 v[46:47], v[30:31]
	v_mov_b64_e32 v[44:45], v[28:29]
	v_mov_b64_e32 v[42:43], v[26:27]
	v_mov_b64_e32 v[40:41], v[24:25]
	v_mov_b64_e32 v[38:39], v[22:23]
	v_mov_b64_e32 v[36:37], v[20:21]
	v_mov_b64_e32 v[34:35], v[18:19]
	s_and_saveexec_b64 s[14:15], s[6:7]
	s_cbranch_execnz .LBB40_42
; %bb.31:                               ;   in Loop: Header=BB40_3 Depth=1
	s_or_b64 exec, exec, s[14:15]
	s_and_saveexec_b64 s[14:15], s[6:7]
	s_cbranch_execnz .LBB40_43
.LBB40_32:                              ;   in Loop: Header=BB40_3 Depth=1
	s_or_b64 exec, exec, s[14:15]
	s_and_saveexec_b64 s[14:15], s[6:7]
	s_cbranch_execnz .LBB40_44
.LBB40_33:                              ;   in Loop: Header=BB40_3 Depth=1
	s_or_b64 exec, exec, s[14:15]
	s_and_saveexec_b64 s[14:15], s[6:7]
	s_cbranch_execnz .LBB40_45
.LBB40_34:                              ;   in Loop: Header=BB40_3 Depth=1
	s_or_b64 exec, exec, s[14:15]
	s_and_saveexec_b64 s[14:15], s[6:7]
	s_cbranch_execnz .LBB40_46
.LBB40_35:                              ;   in Loop: Header=BB40_3 Depth=1
	s_or_b64 exec, exec, s[14:15]
	s_and_saveexec_b64 s[14:15], s[6:7]
	s_cbranch_execnz .LBB40_47
.LBB40_36:                              ;   in Loop: Header=BB40_3 Depth=1
	s_or_b64 exec, exec, s[14:15]
	s_and_saveexec_b64 s[14:15], s[6:7]
	s_cbranch_execnz .LBB40_48
.LBB40_37:                              ;   in Loop: Header=BB40_3 Depth=1
	s_or_b64 exec, exec, s[14:15]
	s_and_saveexec_b64 s[14:15], s[6:7]
	s_cbranch_execz .LBB40_39
.LBB40_38:                              ;   in Loop: Header=BB40_3 Depth=1
	v_lshl_add_u64 v[2:3], v[58:59], 0, v[56:57]
	global_load_dwordx2 v[48:49], v[2:3], off
	v_lshl_add_u64 v[2:3], v[60:61], 0, v[56:57]
	global_load_dwordx2 v[32:33], v[2:3], off
.LBB40_39:                              ;   in Loop: Header=BB40_3 Depth=1
	s_or_b64 exec, exec, s[14:15]
	s_waitcnt vmcnt(1)
	ds_bpermute_b32 v2, v99, v52
	ds_bpermute_b32 v3, v99, v53
	s_waitcnt vmcnt(0)
	ds_bpermute_b32 v6, v99, v94
	ds_bpermute_b32 v7, v99, v95
	ds_bpermute_b32 v8, v99, v52 offset:4
	ds_bpermute_b32 v9, v99, v53 offset:4
	s_waitcnt lgkmcnt(4)
	v_add_f64 v[2:3], v[18:19], -v[2:3]
	v_mul_f64 v[2:3], v[34:35], v[2:3]
	s_waitcnt lgkmcnt(2)
	v_fmac_f64_e32 v[90:91], v[2:3], v[6:7]
	ds_bpermute_b32 v6, v99, v94 offset:4
	ds_bpermute_b32 v7, v99, v95 offset:4
	;; [unrolled: 1-line block ×4, first 2 shown]
	s_waitcnt lgkmcnt(4)
	v_add_f64 v[8:9], v[20:21], -v[8:9]
	v_mul_f64 v[8:9], v[36:37], v[8:9]
	s_waitcnt lgkmcnt(2)
	v_fmac_f64_e32 v[90:91], v[8:9], v[6:7]
	ds_bpermute_b32 v6, v99, v94 offset:8
	ds_bpermute_b32 v7, v99, v95 offset:8
	s_waitcnt lgkmcnt(2)
	v_add_f64 v[8:9], v[22:23], -v[10:11]
	ds_bpermute_b32 v10, v99, v52 offset:12
	ds_bpermute_b32 v11, v99, v53 offset:12
	v_mul_f64 v[8:9], v[38:39], v[8:9]
	s_waitcnt lgkmcnt(2)
	v_fmac_f64_e32 v[90:91], v[8:9], v[6:7]
	ds_bpermute_b32 v6, v99, v94 offset:12
	ds_bpermute_b32 v7, v99, v95 offset:12
	s_waitcnt lgkmcnt(2)
	v_add_f64 v[8:9], v[24:25], -v[10:11]
	ds_bpermute_b32 v10, v99, v52 offset:16
	ds_bpermute_b32 v11, v99, v53 offset:16
	;; [unrolled: 9-line block ×4, first 2 shown]
	v_add_f64 v[2:3], v[50:51], v[34:35]
	ds_bpermute_b32 v12, v99, v94 offset:24
	ds_bpermute_b32 v13, v99, v95 offset:24
	v_add_f64 v[2:3], v[36:37], v[2:3]
	v_add_f64 v[2:3], v[38:39], v[2:3]
	;; [unrolled: 1-line block ×3, first 2 shown]
	v_mul_f64 v[8:9], v[44:45], v[8:9]
	s_waitcnt lgkmcnt(2)
	v_add_f64 v[10:11], v[30:31], -v[10:11]
	v_add_f64 v[2:3], v[42:43], v[2:3]
	v_fmac_f64_e32 v[90:91], v[8:9], v[6:7]
	v_mul_f64 v[10:11], v[46:47], v[10:11]
	v_add_f64 v[8:9], v[44:45], v[2:3]
	s_waitcnt lgkmcnt(0)
	v_fmac_f64_e32 v[90:91], v[10:11], v[12:13]
	ds_bpermute_b32 v2, v99, v94 offset:28
	ds_bpermute_b32 v3, v99, v95 offset:28
	;; [unrolled: 1-line block ×4, first 2 shown]
	v_add_f64 v[8:9], v[46:47], v[8:9]
	v_mov_b64_e32 v[52:53], v[90:91]
.LBB40_40:                              ;   in Loop: Header=BB40_3 Depth=1
	s_waitcnt lgkmcnt(0)
	v_add_f64 v[6:7], v[32:33], -v[6:7]
	v_mul_f64 v[6:7], v[48:49], v[6:7]
	s_add_u32 s52, s52, s46
	v_fmac_f64_e32 v[52:53], v[6:7], v[2:3]
	s_addc_u32 s53, s53, 0
	v_mov_b64_e32 v[2:3], s[36:37]
	s_add_u32 s48, s48, s46
	v_cmp_lt_i64_e32 vcc, s[52:53], v[2:3]
	v_add_f64 v[50:51], v[8:9], v[48:49]
	v_lshl_add_u64 v[58:59], v[58:59], 0, s[50:51]
	v_lshl_add_u64 v[60:61], v[60:61], 0, s[50:51]
	;; [unrolled: 1-line block ×17, first 2 shown]
	s_addc_u32 s49, s49, 0
	s_cbranch_vccz .LBB40_50
; %bb.41:                               ;   in Loop: Header=BB40_3 Depth=1
	v_mov_b64_e32 v[90:91], v[52:53]
	s_branch .LBB40_3
.LBB40_42:                              ;   in Loop: Header=BB40_3 Depth=1
	v_lshl_add_u64 v[2:3], v[86:87], 0, v[56:57]
	global_load_dwordx2 v[2:3], v[2:3], off
	v_lshl_add_u64 v[6:7], v[88:89], 0, v[56:57]
	global_load_dwordx2 v[18:19], v[6:7], off
	v_mov_b32_e32 v16, v5
	v_mov_b32_e32 v17, v5
	v_mov_b32_e32 v4, v5
	v_mov_b32_e32 v6, v5
	v_mov_b32_e32 v7, v5
	v_mov_b32_e32 v8, v5
	v_mov_b32_e32 v9, v5
	v_mov_b32_e32 v10, v5
	v_mov_b32_e32 v11, v5
	v_mov_b32_e32 v12, v5
	v_mov_b32_e32 v13, v5
	v_mov_b32_e32 v14, v5
	v_mov_b32_e32 v15, v5
	s_waitcnt vmcnt(1)
	v_mov_b64_e32 v[48:49], v[16:17]
	v_mov_b32_e32 v20, v5
	v_mov_b32_e32 v21, v5
	;; [unrolled: 1-line block ×14, first 2 shown]
	v_mov_b64_e32 v[46:47], v[14:15]
	v_mov_b64_e32 v[44:45], v[12:13]
	v_mov_b64_e32 v[42:43], v[10:11]
	v_mov_b64_e32 v[40:41], v[8:9]
	v_mov_b64_e32 v[38:39], v[6:7]
	v_mov_b64_e32 v[36:37], v[4:5]
	v_mov_b64_e32 v[34:35], v[2:3]
	s_or_b64 exec, exec, s[14:15]
	s_and_saveexec_b64 s[14:15], s[6:7]
	s_cbranch_execz .LBB40_32
.LBB40_43:                              ;   in Loop: Header=BB40_3 Depth=1
	v_lshl_add_u64 v[2:3], v[82:83], 0, v[56:57]
	global_load_dwordx2 v[36:37], v[2:3], off
	v_lshl_add_u64 v[2:3], v[84:85], 0, v[56:57]
	global_load_dwordx2 v[20:21], v[2:3], off
	s_or_b64 exec, exec, s[14:15]
	s_and_saveexec_b64 s[14:15], s[6:7]
	s_cbranch_execz .LBB40_33
.LBB40_44:                              ;   in Loop: Header=BB40_3 Depth=1
	v_lshl_add_u64 v[2:3], v[78:79], 0, v[56:57]
	global_load_dwordx2 v[38:39], v[2:3], off
	v_lshl_add_u64 v[2:3], v[80:81], 0, v[56:57]
	global_load_dwordx2 v[22:23], v[2:3], off
	s_or_b64 exec, exec, s[14:15]
	s_and_saveexec_b64 s[14:15], s[6:7]
	s_cbranch_execz .LBB40_34
.LBB40_45:                              ;   in Loop: Header=BB40_3 Depth=1
	v_lshl_add_u64 v[2:3], v[74:75], 0, v[56:57]
	global_load_dwordx2 v[40:41], v[2:3], off
	v_lshl_add_u64 v[2:3], v[76:77], 0, v[56:57]
	global_load_dwordx2 v[24:25], v[2:3], off
	s_or_b64 exec, exec, s[14:15]
	s_and_saveexec_b64 s[14:15], s[6:7]
	s_cbranch_execz .LBB40_35
.LBB40_46:                              ;   in Loop: Header=BB40_3 Depth=1
	v_lshl_add_u64 v[2:3], v[70:71], 0, v[56:57]
	global_load_dwordx2 v[42:43], v[2:3], off
	v_lshl_add_u64 v[2:3], v[72:73], 0, v[56:57]
	global_load_dwordx2 v[26:27], v[2:3], off
	s_or_b64 exec, exec, s[14:15]
	s_and_saveexec_b64 s[14:15], s[6:7]
	s_cbranch_execz .LBB40_36
.LBB40_47:                              ;   in Loop: Header=BB40_3 Depth=1
	v_lshl_add_u64 v[2:3], v[66:67], 0, v[56:57]
	global_load_dwordx2 v[44:45], v[2:3], off
	v_lshl_add_u64 v[2:3], v[68:69], 0, v[56:57]
	global_load_dwordx2 v[28:29], v[2:3], off
	s_or_b64 exec, exec, s[14:15]
	s_and_saveexec_b64 s[14:15], s[6:7]
	s_cbranch_execz .LBB40_37
.LBB40_48:                              ;   in Loop: Header=BB40_3 Depth=1
	v_lshl_add_u64 v[2:3], v[62:63], 0, v[56:57]
	global_load_dwordx2 v[46:47], v[2:3], off
	v_lshl_add_u64 v[2:3], v[64:65], 0, v[56:57]
	global_load_dwordx2 v[30:31], v[2:3], off
	s_or_b64 exec, exec, s[14:15]
	s_and_saveexec_b64 s[14:15], s[6:7]
	s_cbranch_execnz .LBB40_38
	s_branch .LBB40_39
.LBB40_49:
	s_mov_b64 s[34:35], -1
                                        ; implicit-def: $vgpr50_vgpr51
                                        ; implicit-def: $vgpr52_vgpr53
.LBB40_50:
	s_andn2_b64 vcc, exec, s[34:35]
	s_cbranch_vccnz .LBB40_82
; %bb.51:
	v_mov_b64_e32 v[50:51], 0
	s_and_b64 vcc, exec, s[4:5]
	v_mov_b64_e32 v[52:53], v[50:51]
	s_cbranch_vccnz .LBB40_82
; %bb.52:
	v_and_b32_e32 v1, 0x3ff, v0
	v_add_u32_e32 v4, s3, v1
	v_mov_b32_e32 v5, 0
	v_bfe_u32 v112, v0, 10, 10
	v_lshlrev_b64 v[40:41], 3, v[4:5]
	v_lshlrev_b32_e32 v4, 6, v112
	v_lshl_add_u64 v[2:3], s[10:11], 3, v[4:5]
	v_lshl_add_u64 v[6:7], v[2:3], 0, 8
	v_mov_b64_e32 v[8:9], s[40:41]
	v_mov_b64_e32 v[18:19], s[42:43]
	v_mad_u64_u32 v[42:43], s[4:5], s38, v6, v[8:9]
	v_mul_lo_u32 v4, s38, v7
	v_mul_lo_u32 v7, s39, v6
	v_mad_u64_u32 v[56:57], s[4:5], s38, v6, v[18:19]
	v_lshlrev_b32_e32 v38, 3, v112
	v_mov_b32_e32 v39, v5
	v_add3_u32 v43, v7, v43, v4
	v_lshl_add_u64 v[10:11], v[2:3], 0, 16
	v_lshl_add_u64 v[12:13], v[2:3], 0, 24
	;; [unrolled: 1-line block ×4, first 2 shown]
	v_add3_u32 v57, v7, v57, v4
	v_lshl_add_u64 v[6:7], v[2:3], 0, 48
	v_lshl_add_u64 v[2:3], v[2:3], 0, 56
	v_mad_u64_u32 v[44:45], s[4:5], s38, v10, v[8:9]
	v_mul_lo_u32 v20, s39, v10
	v_mad_u64_u32 v[46:47], s[4:5], s38, v12, v[8:9]
	v_mad_u64_u32 v[48:49], s[4:5], s38, v14, v[8:9]
	;; [unrolled: 1-line block ×6, first 2 shown]
	v_mul_lo_u32 v3, s38, v3
	v_mul_lo_u32 v10, s39, v2
	v_lshl_add_u64 v[8:9], v[38:39], 0, s[10:11]
	v_mad_u64_u32 v[72:73], s[4:5], s38, v2, v[18:19]
	v_mul_lo_u32 v4, s38, v7
	v_mul_lo_u32 v7, s39, v6
	v_add3_u32 v65, v10, v65, v3
	v_mad_u64_u32 v[70:71], s[4:5], s38, v6, v[18:19]
	v_add3_u32 v73, v10, v73, v3
	v_lshl_add_u64 v[2:3], v[8:9], 0, 7
	v_add3_u32 v61, v7, v61, v4
	v_add3_u32 v71, v7, v71, v4
	v_mul_lo_u32 v4, s39, v2
	v_mul_lo_u32 v6, s38, v3
	v_mad_u64_u32 v[2:3], s[4:5], s38, v2, 0
	v_add3_u32 v3, v3, v6, v4
	v_lshl_add_u64 v[6:7], v[8:9], 0, 6
	v_mul_lo_u32 v11, s38, v11
	v_mul_lo_u32 v4, s39, v6
	;; [unrolled: 1-line block ×3, first 2 shown]
	v_mad_u64_u32 v[6:7], s[4:5], s38, v6, 0
	v_add3_u32 v45, v20, v45, v11
	v_add3_u32 v59, v20, v59, v11
	v_add3_u32 v7, v7, v10, v4
	v_lshl_add_u64 v[10:11], v[8:9], 0, 5
	v_mul_lo_u32 v13, s38, v13
	v_mul_lo_u32 v21, s39, v12
	v_mad_u64_u32 v[62:63], s[4:5], s38, v12, v[18:19]
	v_mul_lo_u32 v4, s39, v10
	v_mul_lo_u32 v12, s38, v11
	v_mad_u64_u32 v[10:11], s[4:5], s38, v10, 0
	v_add3_u32 v47, v21, v47, v13
	v_add3_u32 v63, v21, v63, v13
	v_add3_u32 v11, v11, v12, v4
	v_lshl_add_u64 v[12:13], v[8:9], 0, 4
	v_mul_lo_u32 v15, s38, v15
	v_mul_lo_u32 v22, s39, v14
	v_mad_u64_u32 v[66:67], s[4:5], s38, v14, v[18:19]
	v_mul_lo_u32 v4, s39, v12
	v_mul_lo_u32 v14, s38, v13
	;; [unrolled: 10-line block ×3, first 2 shown]
	v_mad_u64_u32 v[14:15], s[4:5], s38, v14, 0
	v_lshlrev_b64 v[2:3], 3, v[2:3]
	v_add3_u32 v55, v23, v55, v17
	v_add3_u32 v69, v23, v69, v17
	;; [unrolled: 1-line block ×3, first 2 shown]
	v_lshl_add_u64 v[16:17], v[8:9], 0, 2
	v_lshl_add_u64 v[78:79], s[40:41], 0, v[2:3]
	;; [unrolled: 1-line block ×3, first 2 shown]
	v_lshlrev_b64 v[2:3], 3, v[6:7]
	v_mul_lo_u32 v4, s39, v16
	v_mul_lo_u32 v18, s38, v17
	v_mad_u64_u32 v[16:17], s[4:5], s38, v16, 0
	s_load_dword s3, s[0:1], 0x44
	v_lshl_add_u64 v[82:83], s[40:41], 0, v[2:3]
	v_lshl_add_u64 v[84:85], s[42:43], 0, v[2:3]
	v_lshlrev_b64 v[2:3], 3, v[10:11]
	v_add3_u32 v17, v17, v18, v4
	v_mov_b64_e32 v[18:19], s[38:39]
	v_lshl_add_u64 v[86:87], s[40:41], 0, v[2:3]
	v_lshl_add_u64 v[88:89], s[42:43], 0, v[2:3]
	v_lshlrev_b64 v[2:3], 3, v[12:13]
	v_mad_u64_u32 v[18:19], s[4:5], s38, v8, v[18:19]
	v_mul_lo_u32 v4, s39, v8
	v_mul_lo_u32 v20, s38, v9
	v_lshl_add_u64 v[90:91], s[40:41], 0, v[2:3]
	v_lshl_add_u64 v[92:93], s[42:43], 0, v[2:3]
	v_lshlrev_b64 v[2:3], 3, v[14:15]
	v_mad_u64_u32 v[8:9], s[4:5], s38, v8, 0
	v_add3_u32 v19, v4, v19, v20
	v_lshl_add_u64 v[94:95], s[40:41], 0, v[2:3]
	v_lshl_add_u64 v[96:97], s[42:43], 0, v[2:3]
	v_lshlrev_b64 v[2:3], 3, v[16:17]
	s_add_u32 s4, s0, 64
	v_lshl_add_u64 v[98:99], s[40:41], 0, v[2:3]
	v_lshl_add_u64 v[100:101], s[42:43], 0, v[2:3]
	v_lshlrev_b64 v[2:3], 3, v[18:19]
	s_addc_u32 s5, s1, 0
	s_waitcnt lgkmcnt(0)
	s_lshl_b32 s6, s3, 3
	v_lshl_add_u64 v[102:103], s[40:41], 0, v[2:3]
	v_lshl_add_u64 v[104:105], s[42:43], 0, v[2:3]
	v_mbcnt_lo_u32_b32 v2, -1, 0
	v_add3_u32 v9, v9, v20, v4
	s_mul_i32 s3, s39, s6
	s_mul_hi_u32 s9, s38, s6
	v_mbcnt_hi_u32_b32 v2, -1, v2
	s_mov_b32 s12, 0
	s_add_i32 s15, s9, s3
	s_mul_i32 s14, s38, s6
	v_lshlrev_b64 v[8:9], 3, v[8:9]
	v_lshlrev_b32_e32 v2, 2, v2
	v_mov_b64_e32 v[52:53], 0
	s_mov_b32 s7, s12
	s_lshl_b64 s[34:35], s[14:15], 3
	v_lshl_add_u64 v[74:75], s[40:41], 0, v[8:9]
	v_lshl_add_u64 v[76:77], s[42:43], 0, v[8:9]
	s_mov_b64 s[44:45], 7
	v_and_b32_e32 v113, 0x100, v2
	s_mov_b64 s[40:41], s[10:11]
	v_mov_b64_e32 v[50:51], v[52:53]
	s_branch .LBB40_56
.LBB40_53:                              ;   in Loop: Header=BB40_56 Depth=1
	s_or_b64 exec, exec, s[16:17]
.LBB40_54:                              ;   in Loop: Header=BB40_56 Depth=1
	s_or_b64 exec, exec, s[14:15]
	v_lshl_add_u64 v[12:13], v[58:59], 0, v[40:41]
	global_load_dwordx2 v[12:13], v[12:13], off
	v_lshl_add_u64 v[14:15], v[62:63], 0, v[40:41]
	global_load_dwordx2 v[14:15], v[14:15], off
	;; [unrolled: 2-line block ×3, first 2 shown]
	v_lshl_add_u64 v[10:11], v[56:57], 0, v[40:41]
	v_lshl_add_u64 v[18:19], v[74:75], 0, v[40:41]
	global_load_dwordx2 v[10:11], v[10:11], off
	v_lshl_add_u64 v[16:17], v[66:67], 0, v[40:41]
	global_load_dwordx2 v[18:19], v[18:19], off
	;; [unrolled: 2-line block ×4, first 2 shown]
	global_load_dwordx2 v[26:27], v[22:23], off
	s_waitcnt vmcnt(9)
	ds_bpermute_b32 v106, v113, v6 offset:8
	ds_bpermute_b32 v107, v113, v7 offset:8
	;; [unrolled: 1-line block ×4, first 2 shown]
	ds_bpermute_b32 v34, v113, v6
	ds_bpermute_b32 v35, v113, v7
	ds_bpermute_b32 v36, v113, v6 offset:4
	ds_bpermute_b32 v37, v113, v7 offset:4
	v_lshl_add_u64 v[20:21], v[46:47], 0, v[40:41]
	ds_bpermute_b32 v110, v113, v6 offset:16
	ds_bpermute_b32 v111, v113, v7 offset:16
	global_load_dwordx2 v[120:121], v[20:21], off
	s_waitcnt vmcnt(9)
	ds_bpermute_b32 v20, v113, v2 offset:8
	ds_bpermute_b32 v21, v113, v3 offset:8
	v_lshl_add_u64 v[30:31], v[68:69], 0, v[40:41]
	ds_bpermute_b32 v114, v113, v6 offset:20
	ds_bpermute_b32 v115, v113, v7 offset:20
	;; [unrolled: 1-line block ×6, first 2 shown]
	v_lshl_add_u64 v[6:7], v[70:71], 0, v[40:41]
	global_load_dwordx2 v[30:31], v[30:31], off
	v_lshl_add_u64 v[22:23], v[48:49], 0, v[40:41]
	global_load_dwordx2 v[6:7], v[6:7], off
	v_lshl_add_u64 v[28:29], v[54:55], 0, v[40:41]
	v_lshl_add_u64 v[32:33], v[60:61], 0, v[40:41]
	s_waitcnt vmcnt(10) lgkmcnt(14)
	v_add_f64 v[12:13], v[12:13], -v[106:107]
	ds_bpermute_b32 v106, v113, v2
	ds_bpermute_b32 v107, v113, v3
	s_waitcnt vmcnt(9)
	v_add_f64 v[14:15], v[14:15], -v[108:109]
	ds_bpermute_b32 v108, v113, v2 offset:4
	ds_bpermute_b32 v109, v113, v3 offset:4
	s_waitcnt vmcnt(8) lgkmcnt(14)
	v_add_f64 v[8:9], v[8:9], -v[34:35]
	s_waitcnt vmcnt(7)
	v_add_f64 v[10:11], v[10:11], -v[36:37]
	v_lshl_add_u64 v[36:37], v[72:73], 0, v[40:41]
	s_waitcnt vmcnt(6)
	v_mul_f64 v[8:9], v[18:19], v[8:9]
	s_waitcnt lgkmcnt(2)
	v_fmac_f64_e32 v[52:53], v[8:9], v[106:107]
	v_lshl_add_u64 v[34:35], v[64:65], 0, v[40:41]
	s_waitcnt vmcnt(4)
	v_mul_f64 v[10:11], v[24:25], v[10:11]
	v_add_f64 v[16:17], v[16:17], -v[110:111]
	global_load_dwordx2 v[110:111], v[22:23], off
	global_load_dwordx2 v[122:123], v[28:29], off
	global_load_dwordx2 v[124:125], v[32:33], off
	s_waitcnt vmcnt(6)
	v_mul_f64 v[12:13], v[26:27], v[12:13]
	global_load_dwordx2 v[22:23], v[36:37], off
	s_waitcnt lgkmcnt(0)
	v_fmac_f64_e32 v[52:53], v[10:11], v[108:109]
	v_fmac_f64_e32 v[52:53], v[12:13], v[20:21]
	global_load_dwordx2 v[20:21], v[34:35], off
	ds_bpermute_b32 v10, v113, v2 offset:12
	ds_bpermute_b32 v11, v113, v3 offset:12
	v_add_f64 v[28:29], v[50:51], v[18:19]
	ds_bpermute_b32 v12, v113, v2 offset:16
	ds_bpermute_b32 v13, v113, v3 offset:16
	v_add_f64 v[18:19], v[28:29], v[24:25]
	;; [unrolled: 3-line block ×3, first 2 shown]
	ds_bpermute_b32 v26, v113, v2 offset:24
	ds_bpermute_b32 v27, v113, v3 offset:24
	s_waitcnt vmcnt(7)
	v_mul_f64 v[14:15], v[120:121], v[14:15]
	ds_bpermute_b32 v2, v113, v2 offset:28
	ds_bpermute_b32 v3, v113, v3 offset:28
	s_waitcnt lgkmcnt(8)
	v_fmac_f64_e32 v[52:53], v[14:15], v[10:11]
	v_add_f64 v[18:19], v[18:19], v[120:121]
	s_waitcnt vmcnt(6)
	v_add_f64 v[8:9], v[30:31], -v[114:115]
	s_waitcnt vmcnt(5)
	v_add_f64 v[6:7], v[6:7], -v[116:117]
	s_waitcnt vmcnt(4)
	v_mul_f64 v[16:17], v[110:111], v[16:17]
	s_waitcnt vmcnt(3)
	v_mul_f64 v[8:9], v[122:123], v[8:9]
	s_waitcnt lgkmcnt(6)
	v_fmac_f64_e32 v[52:53], v[16:17], v[12:13]
	s_waitcnt vmcnt(2)
	v_mul_f64 v[6:7], v[124:125], v[6:7]
	v_add_f64 v[18:19], v[18:19], v[110:111]
	s_waitcnt lgkmcnt(4)
	v_fmac_f64_e32 v[52:53], v[8:9], v[24:25]
	s_waitcnt vmcnt(1)
	v_add_f64 v[8:9], v[22:23], -v[118:119]
	v_add_f64 v[10:11], v[18:19], v[122:123]
	s_waitcnt lgkmcnt(2)
	v_fmac_f64_e32 v[52:53], v[6:7], v[26:27]
	s_waitcnt vmcnt(0)
	v_mul_f64 v[8:9], v[20:21], v[8:9]
	v_add_f64 v[6:7], v[10:11], v[124:125]
	s_waitcnt lgkmcnt(0)
	v_mul_f64 v[8:9], v[8:9], v[2:3]
	v_mov_b64_e32 v[2:3], v[52:53]
.LBB40_55:                              ;   in Loop: Header=BB40_56 Depth=1
	s_add_u32 s40, s40, s6
	v_add_f64 v[52:53], v[2:3], v[8:9]
	s_addc_u32 s41, s41, 0
	v_mov_b64_e32 v[2:3], s[36:37]
	s_add_u32 s44, s44, s6
	v_cmp_ge_i64_e32 vcc, s[40:41], v[2:3]
	v_add_f64 v[50:51], v[6:7], v[20:21]
	v_lshl_add_u64 v[38:39], v[38:39], 0, s[6:7]
	v_lshl_add_u64 v[42:43], v[42:43], 0, s[34:35]
	;; [unrolled: 1-line block ×31, first 2 shown]
	s_addc_u32 s45, s45, 0
	s_cbranch_vccnz .LBB40_82
.LBB40_56:                              ; =>This Inner Loop Header: Depth=1
	s_add_u32 s14, s10, s44
	s_addc_u32 s15, 0, s45
	v_mov_b64_e32 v[2:3], s[36:37]
	v_cmp_ge_i64_e32 vcc, s[14:15], v[2:3]
	v_lshl_add_u64 v[106:107], s[10:11], 0, v[38:39]
	s_cbranch_vccz .LBB40_78
; %bb.57:                               ;   in Loop: Header=BB40_56 Depth=1
	s_load_dword s3, s[4:5], 0xc
	v_mov_b64_e32 v[108:109], 0
	v_mov_b64_e32 v[110:111], v[108:109]
	s_waitcnt lgkmcnt(0)
	s_and_b32 s3, s3, 0xffff
	v_mad_u32_u24 v2, v112, s3, v1
	v_and_b32_e32 v4, 63, v2
	v_cmp_gt_u32_e32 vcc, 8, v4
	s_and_saveexec_b64 s[14:15], vcc
	s_cbranch_execz .LBB40_61
; %bb.58:                               ;   in Loop: Header=BB40_56 Depth=1
	v_lshl_add_u64 v[2:3], v[106:107], 0, v[4:5]
	v_mov_b64_e32 v[110:111], 0
	v_cmp_gt_i64_e32 vcc, s[36:37], v[2:3]
	v_mov_b64_e32 v[108:109], v[110:111]
	s_and_saveexec_b64 s[16:17], vcc
	s_cbranch_execz .LBB40_60
; %bb.59:                               ;   in Loop: Header=BB40_56 Depth=1
	v_lshlrev_b64 v[2:3], 3, v[2:3]
	v_lshl_add_u64 v[6:7], s[30:31], 0, v[2:3]
	v_lshl_add_u64 v[2:3], s[28:29], 0, v[2:3]
	global_load_dwordx2 v[110:111], v[2:3], off
	global_load_dwordx2 v[108:109], v[6:7], off
.LBB40_60:                              ;   in Loop: Header=BB40_56 Depth=1
	s_or_b64 exec, exec, s[16:17]
.LBB40_61:                              ;   in Loop: Header=BB40_56 Depth=1
	s_or_b64 exec, exec, s[14:15]
	s_mov_b32 s26, s12
	s_mov_b32 s27, s12
	;; [unrolled: 1-line block ×15, first 2 shown]
	v_mov_b64_e32 v[36:37], s[26:27]
	v_mov_b64_e32 v[22:23], s[12:13]
	;; [unrolled: 1-line block ×9, first 2 shown]
	v_cmp_gt_i64_e32 vcc, s[36:37], v[106:107]
	v_mov_b64_e32 v[8:9], v[24:25]
	v_mov_b64_e32 v[10:11], v[26:27]
	;; [unrolled: 1-line block ×7, first 2 shown]
	s_and_saveexec_b64 s[14:15], vcc
	s_cbranch_execz .LBB40_63
; %bb.62:                               ;   in Loop: Header=BB40_56 Depth=1
	v_lshl_add_u64 v[2:3], v[74:75], 0, v[40:41]
	global_load_dwordx2 v[2:3], v[2:3], off
	v_lshl_add_u64 v[6:7], v[76:77], 0, v[40:41]
	global_load_dwordx2 v[22:23], v[6:7], off
	v_mov_b32_e32 v6, v5
	v_mov_b32_e32 v7, v5
	;; [unrolled: 1-line block ×13, first 2 shown]
	s_waitcnt vmcnt(1)
	v_mov_b64_e32 v[20:21], v[16:17]
	v_mov_b32_e32 v24, v5
	v_mov_b32_e32 v25, v5
	;; [unrolled: 1-line block ×14, first 2 shown]
	v_mov_b64_e32 v[18:19], v[14:15]
	v_mov_b64_e32 v[16:17], v[12:13]
	;; [unrolled: 1-line block ×7, first 2 shown]
.LBB40_63:                              ;   in Loop: Header=BB40_56 Depth=1
	s_or_b64 exec, exec, s[14:15]
	v_lshl_add_u64 v[2:3], v[106:107], 0, 1
	v_cmp_gt_i64_e32 vcc, s[36:37], v[2:3]
	s_and_saveexec_b64 s[14:15], vcc
	s_cbranch_execz .LBB40_65
; %bb.64:                               ;   in Loop: Header=BB40_56 Depth=1
	v_lshl_add_u64 v[2:3], v[102:103], 0, v[40:41]
	global_load_dwordx2 v[8:9], v[2:3], off
	v_lshl_add_u64 v[2:3], v[104:105], 0, v[40:41]
	global_load_dwordx2 v[24:25], v[2:3], off
.LBB40_65:                              ;   in Loop: Header=BB40_56 Depth=1
	s_or_b64 exec, exec, s[14:15]
	v_lshl_add_u64 v[2:3], v[106:107], 0, 2
	v_cmp_gt_i64_e32 vcc, s[36:37], v[2:3]
	s_and_saveexec_b64 s[14:15], vcc
	s_cbranch_execz .LBB40_67
; %bb.66:                               ;   in Loop: Header=BB40_56 Depth=1
	v_lshl_add_u64 v[2:3], v[98:99], 0, v[40:41]
	global_load_dwordx2 v[10:11], v[2:3], off
	v_lshl_add_u64 v[2:3], v[100:101], 0, v[40:41]
	global_load_dwordx2 v[26:27], v[2:3], off
.LBB40_67:                              ;   in Loop: Header=BB40_56 Depth=1
	;; [unrolled: 11-line block ×7, first 2 shown]
	s_or_b64 exec, exec, s[14:15]
	s_waitcnt vmcnt(1)
	ds_bpermute_b32 v2, v113, v110
	ds_bpermute_b32 v3, v113, v111
	s_waitcnt vmcnt(0)
	ds_bpermute_b32 v114, v113, v108
	ds_bpermute_b32 v115, v113, v109
	ds_bpermute_b32 v116, v113, v110 offset:4
	ds_bpermute_b32 v117, v113, v111 offset:4
	s_waitcnt lgkmcnt(4)
	v_add_f64 v[2:3], v[22:23], -v[2:3]
	v_mul_f64 v[2:3], v[6:7], v[2:3]
	s_waitcnt lgkmcnt(2)
	v_fma_f64 v[2:3], v[2:3], v[114:115], v[52:53]
	ds_bpermute_b32 v22, v113, v108 offset:4
	ds_bpermute_b32 v23, v113, v109 offset:4
	;; [unrolled: 1-line block ×4, first 2 shown]
	v_add_f64 v[6:7], v[50:51], v[6:7]
	s_waitcnt lgkmcnt(4)
	v_add_f64 v[24:25], v[24:25], -v[116:117]
	v_mul_f64 v[24:25], v[8:9], v[24:25]
	v_add_f64 v[6:7], v[8:9], v[6:7]
	ds_bpermute_b32 v8, v113, v108 offset:8
	ds_bpermute_b32 v9, v113, v109 offset:8
	s_waitcnt lgkmcnt(4)
	v_fmac_f64_e32 v[2:3], v[24:25], v[22:23]
	s_waitcnt lgkmcnt(2)
	v_add_f64 v[22:23], v[26:27], -v[114:115]
	ds_bpermute_b32 v24, v113, v110 offset:12
	ds_bpermute_b32 v25, v113, v111 offset:12
	v_mul_f64 v[22:23], v[10:11], v[22:23]
	s_waitcnt lgkmcnt(2)
	v_fmac_f64_e32 v[2:3], v[22:23], v[8:9]
	ds_bpermute_b32 v8, v113, v108 offset:12
	ds_bpermute_b32 v9, v113, v109 offset:12
	v_add_f64 v[6:7], v[10:11], v[6:7]
	s_waitcnt lgkmcnt(2)
	v_add_f64 v[10:11], v[28:29], -v[24:25]
	ds_bpermute_b32 v22, v113, v110 offset:16
	ds_bpermute_b32 v23, v113, v111 offset:16
	v_mul_f64 v[10:11], v[12:13], v[10:11]
	s_waitcnt lgkmcnt(2)
	v_fmac_f64_e32 v[2:3], v[10:11], v[8:9]
	v_add_f64 v[6:7], v[12:13], v[6:7]
	ds_bpermute_b32 v8, v113, v108 offset:16
	ds_bpermute_b32 v9, v113, v109 offset:16
	ds_bpermute_b32 v12, v113, v110 offset:20
	ds_bpermute_b32 v13, v113, v111 offset:20
	s_waitcnt lgkmcnt(4)
	v_add_f64 v[10:11], v[30:31], -v[22:23]
	v_mul_f64 v[10:11], v[14:15], v[10:11]
	s_waitcnt lgkmcnt(2)
	v_fmac_f64_e32 v[2:3], v[10:11], v[8:9]
	ds_bpermute_b32 v8, v113, v108 offset:20
	ds_bpermute_b32 v9, v113, v109 offset:20
	s_waitcnt lgkmcnt(2)
	v_add_f64 v[10:11], v[32:33], -v[12:13]
	ds_bpermute_b32 v12, v113, v110 offset:24
	ds_bpermute_b32 v13, v113, v111 offset:24
	v_mul_f64 v[10:11], v[16:17], v[10:11]
	s_waitcnt lgkmcnt(2)
	v_fmac_f64_e32 v[2:3], v[10:11], v[8:9]
	ds_bpermute_b32 v8, v113, v108 offset:24
	ds_bpermute_b32 v9, v113, v109 offset:24
	s_waitcnt lgkmcnt(2)
	v_add_f64 v[10:11], v[34:35], -v[12:13]
	ds_bpermute_b32 v12, v113, v110 offset:28
	ds_bpermute_b32 v13, v113, v111 offset:28
	v_add_f64 v[6:7], v[14:15], v[6:7]
	ds_bpermute_b32 v14, v113, v108 offset:28
	ds_bpermute_b32 v15, v113, v109 offset:28
	v_mul_f64 v[10:11], v[18:19], v[10:11]
	s_waitcnt lgkmcnt(4)
	v_fmac_f64_e32 v[2:3], v[10:11], v[8:9]
	s_waitcnt lgkmcnt(2)
	v_add_f64 v[8:9], v[36:37], -v[12:13]
	v_add_f64 v[6:7], v[16:17], v[6:7]
	v_mul_f64 v[8:9], v[20:21], v[8:9]
	v_add_f64 v[6:7], v[18:19], v[6:7]
	s_waitcnt lgkmcnt(0)
	v_mul_f64 v[8:9], v[8:9], v[14:15]
	s_branch .LBB40_55
.LBB40_78:                              ;   in Loop: Header=BB40_56 Depth=1
                                        ; implicit-def: $vgpr20_vgpr21
                                        ; implicit-def: $vgpr8_vgpr9
                                        ; implicit-def: $vgpr6_vgpr7
                                        ; implicit-def: $vgpr2_vgpr3
	s_cbranch_execz .LBB40_55
; %bb.79:                               ;   in Loop: Header=BB40_56 Depth=1
	s_load_dword s3, s[4:5], 0x0
	v_mov_b64_e32 v[2:3], 0
	v_mov_b64_e32 v[6:7], v[2:3]
	s_waitcnt lgkmcnt(0)
	s_cmp_lt_u32 s2, s3
	s_cselect_b32 s3, 12, 18
	s_add_u32 s14, s4, s3
	s_addc_u32 s15, s5, 0
	global_load_ushort v4, v5, s[14:15]
	s_waitcnt vmcnt(0)
	v_mad_u32_u24 v4, v112, v4, v1
	v_and_b32_e32 v4, 63, v4
	v_cmp_gt_u32_e32 vcc, 8, v4
	s_and_saveexec_b64 s[14:15], vcc
	s_cbranch_execz .LBB40_54
; %bb.80:                               ;   in Loop: Header=BB40_56 Depth=1
	v_lshl_add_u64 v[8:9], v[106:107], 0, v[4:5]
	v_mov_b64_e32 v[6:7], 0
	v_cmp_gt_i64_e32 vcc, s[36:37], v[8:9]
	v_mov_b64_e32 v[2:3], v[6:7]
	s_and_saveexec_b64 s[16:17], vcc
	s_cbranch_execz .LBB40_53
; %bb.81:                               ;   in Loop: Header=BB40_56 Depth=1
	v_lshlrev_b64 v[2:3], 3, v[8:9]
	v_lshl_add_u64 v[10:11], s[28:29], 0, v[2:3]
	v_lshl_add_u64 v[8:9], s[30:31], 0, v[2:3]
	global_load_dwordx2 v[6:7], v[10:11], off
	global_load_dwordx2 v[2:3], v[8:9], off
	s_branch .LBB40_53
.LBB40_82:
	s_mov_b32 s3, 0
	s_lshl_b64 s[2:3], s[2:3], 5
	v_and_b32_e32 v1, 0x3ff, v0
	v_or_b32_e32 v2, s2, v1
	v_mov_b32_e32 v3, s3
	v_cmp_gt_i64_e32 vcc, s[38:39], v[2:3]
	s_and_saveexec_b64 s[2:3], vcc
	s_cbranch_execz .LBB40_87
; %bb.83:
	s_load_dword s2, s[0:1], 0x4c
	s_load_dwordx4 s[4:7], s[0:1], 0x30
	v_bfe_u32 v0, v0, 10, 10
	v_mov_b32_e32 v1, 0
	v_mov_b32_e32 v4, s8
	s_waitcnt lgkmcnt(0)
	s_lshr_b32 s0, s2, 16
	v_mad_u64_u32 v[0:1], s[0:1], s0, v4, v[0:1]
	s_cmp_eq_u64 s[4:5], 0
	v_mul_lo_u32 v1, v1, s38
	v_mul_lo_u32 v4, v0, s39
	s_cbranch_scc1 .LBB40_85
; %bb.84:
	v_mad_u64_u32 v[6:7], s[0:1], v0, s38, 0
	v_add3_u32 v7, v7, v4, v1
	v_lshl_add_u64 v[6:7], v[6:7], 3, s[4:5]
	v_lshl_add_u64 v[6:7], v[2:3], 3, v[6:7]
	global_store_dwordx2 v[6:7], v[52:53], off
.LBB40_85:
	s_cmp_eq_u64 s[6:7], 0
	s_cbranch_scc1 .LBB40_87
; %bb.86:
	v_mad_u64_u32 v[6:7], s[0:1], v0, s38, 0
	v_add3_u32 v7, v7, v4, v1
	v_lshl_add_u64 v[0:1], v[6:7], 3, s[6:7]
	v_lshl_add_u64 v[0:1], v[2:3], 3, v[0:1]
	global_store_dwordx2 v[0:1], v[50:51], off
.LBB40_87:
	s_endpgm
	.section	.rodata,"a",@progbits
	.p2align	6, 0x0
	.amdhsa_kernel _ZN2at6native12_GLOBAL__N_135GammaBetaBackwardCUDAKernelTemplateIddLj32ELj1ELj8ELb1ELb0ELb0EEEvllPKT_S5_PKT0_S8_PS3_S9_
		.amdhsa_group_segment_fixed_size 0
		.amdhsa_private_segment_fixed_size 0
		.amdhsa_kernarg_size 320
		.amdhsa_user_sgpr_count 2
		.amdhsa_user_sgpr_dispatch_ptr 0
		.amdhsa_user_sgpr_queue_ptr 0
		.amdhsa_user_sgpr_kernarg_segment_ptr 1
		.amdhsa_user_sgpr_dispatch_id 0
		.amdhsa_user_sgpr_kernarg_preload_length 0
		.amdhsa_user_sgpr_kernarg_preload_offset 0
		.amdhsa_user_sgpr_private_segment_size 0
		.amdhsa_uses_dynamic_stack 0
		.amdhsa_enable_private_segment 0
		.amdhsa_system_sgpr_workgroup_id_x 1
		.amdhsa_system_sgpr_workgroup_id_y 1
		.amdhsa_system_sgpr_workgroup_id_z 0
		.amdhsa_system_sgpr_workgroup_info 0
		.amdhsa_system_vgpr_workitem_id 1
		.amdhsa_next_free_vgpr 126
		.amdhsa_next_free_sgpr 56
		.amdhsa_accum_offset 128
		.amdhsa_reserve_vcc 1
		.amdhsa_float_round_mode_32 0
		.amdhsa_float_round_mode_16_64 0
		.amdhsa_float_denorm_mode_32 3
		.amdhsa_float_denorm_mode_16_64 3
		.amdhsa_dx10_clamp 1
		.amdhsa_ieee_mode 1
		.amdhsa_fp16_overflow 0
		.amdhsa_tg_split 0
		.amdhsa_exception_fp_ieee_invalid_op 0
		.amdhsa_exception_fp_denorm_src 0
		.amdhsa_exception_fp_ieee_div_zero 0
		.amdhsa_exception_fp_ieee_overflow 0
		.amdhsa_exception_fp_ieee_underflow 0
		.amdhsa_exception_fp_ieee_inexact 0
		.amdhsa_exception_int_div_zero 0
	.end_amdhsa_kernel
	.section	.text._ZN2at6native12_GLOBAL__N_135GammaBetaBackwardCUDAKernelTemplateIddLj32ELj1ELj8ELb1ELb0ELb0EEEvllPKT_S5_PKT0_S8_PS3_S9_,"axG",@progbits,_ZN2at6native12_GLOBAL__N_135GammaBetaBackwardCUDAKernelTemplateIddLj32ELj1ELj8ELb1ELb0ELb0EEEvllPKT_S5_PKT0_S8_PS3_S9_,comdat
.Lfunc_end40:
	.size	_ZN2at6native12_GLOBAL__N_135GammaBetaBackwardCUDAKernelTemplateIddLj32ELj1ELj8ELb1ELb0ELb0EEEvllPKT_S5_PKT0_S8_PS3_S9_, .Lfunc_end40-_ZN2at6native12_GLOBAL__N_135GammaBetaBackwardCUDAKernelTemplateIddLj32ELj1ELj8ELb1ELb0ELb0EEEvllPKT_S5_PKT0_S8_PS3_S9_
                                        ; -- End function
	.section	.AMDGPU.csdata,"",@progbits
; Kernel info:
; codeLenInByte = 7712
; NumSgprs: 62
; NumVgprs: 126
; NumAgprs: 0
; TotalNumVgprs: 126
; ScratchSize: 0
; MemoryBound: 1
; FloatMode: 240
; IeeeMode: 1
; LDSByteSize: 0 bytes/workgroup (compile time only)
; SGPRBlocks: 7
; VGPRBlocks: 15
; NumSGPRsForWavesPerEU: 62
; NumVGPRsForWavesPerEU: 126
; AccumOffset: 128
; Occupancy: 4
; WaveLimiterHint : 0
; COMPUTE_PGM_RSRC2:SCRATCH_EN: 0
; COMPUTE_PGM_RSRC2:USER_SGPR: 2
; COMPUTE_PGM_RSRC2:TRAP_HANDLER: 0
; COMPUTE_PGM_RSRC2:TGID_X_EN: 1
; COMPUTE_PGM_RSRC2:TGID_Y_EN: 1
; COMPUTE_PGM_RSRC2:TGID_Z_EN: 0
; COMPUTE_PGM_RSRC2:TIDIG_COMP_CNT: 1
; COMPUTE_PGM_RSRC3_GFX90A:ACCUM_OFFSET: 31
; COMPUTE_PGM_RSRC3_GFX90A:TG_SPLIT: 0
	.section	.text._ZN2at6native12_GLOBAL__N_135GammaBetaBackwardCUDAKernelTemplateIddLj32ELj8ELj64ELb0ELb1ELb0EEEvllPKT_S5_PKT0_S8_PS3_S9_,"axG",@progbits,_ZN2at6native12_GLOBAL__N_135GammaBetaBackwardCUDAKernelTemplateIddLj32ELj8ELj64ELb0ELb1ELb0EEEvllPKT_S5_PKT0_S8_PS3_S9_,comdat
	.globl	_ZN2at6native12_GLOBAL__N_135GammaBetaBackwardCUDAKernelTemplateIddLj32ELj8ELj64ELb0ELb1ELb0EEEvllPKT_S5_PKT0_S8_PS3_S9_ ; -- Begin function _ZN2at6native12_GLOBAL__N_135GammaBetaBackwardCUDAKernelTemplateIddLj32ELj8ELj64ELb0ELb1ELb0EEEvllPKT_S5_PKT0_S8_PS3_S9_
	.p2align	8
	.type	_ZN2at6native12_GLOBAL__N_135GammaBetaBackwardCUDAKernelTemplateIddLj32ELj8ELj64ELb0ELb1ELb0EEEvllPKT_S5_PKT0_S8_PS3_S9_,@function
_ZN2at6native12_GLOBAL__N_135GammaBetaBackwardCUDAKernelTemplateIddLj32ELj8ELj64ELb0ELb1ELb0EEEvllPKT_S5_PKT0_S8_PS3_S9_: ; @_ZN2at6native12_GLOBAL__N_135GammaBetaBackwardCUDAKernelTemplateIddLj32ELj8ELj64ELb0ELb1ELb0EEEvllPKT_S5_PKT0_S8_PS3_S9_
; %bb.0:
	s_load_dwordx4 s[16:19], s[0:1], 0x0
	s_lshl_b32 s6, s3, 6
	s_mov_b32 s7, 0
	v_bfe_u32 v20, v0, 10, 10
	s_waitcnt lgkmcnt(0)
	v_mov_b64_e32 v[2:3], s[16:17]
	v_cmp_lt_i64_e32 vcc, s[6:7], v[2:3]
	s_cbranch_vccnz .LBB41_2
; %bb.1:
	s_mov_b64 s[4:5], 0
	s_mov_b64 s[8:9], 0
	v_bfe_u32 v1, v0, 10, 10
	s_branch .LBB41_3
.LBB41_2:
	s_mov_b64 s[4:5], -1
                                        ; implicit-def: $sgpr8_sgpr9
                                        ; implicit-def: $vgpr1
.LBB41_3:
	v_and_b32_e32 v18, 0x3ff, v0
	s_andn2_b64 vcc, exec, s[4:5]
	v_mov_b64_e32 v[14:15], s[8:9]
	v_mbcnt_lo_u32_b32 v19, -1, 0
	v_mov_b64_e32 v[4:5], s[8:9]
	s_cbranch_vccnz .LBB41_11
; %bb.4:
	s_load_dword s3, s[0:1], 0x4c
	s_load_dword s20, s[0:1], 0x44
	s_load_dwordx8 s[8:15], s[0:1], 0x10
	v_mbcnt_hi_u32_b32 v6, -1, v19
	v_lshlrev_b32_e32 v0, 3, v20
	s_waitcnt lgkmcnt(0)
	s_and_b32 s3, s3, 0xffff
	v_mad_u32_u24 v1, v20, s3, v18
	v_and_b32_e32 v2, 63, v1
	v_mov_b32_e32 v1, 0
	v_lshlrev_b32_e32 v6, 2, v6
	v_mov_b32_e32 v3, v1
	v_and_b32_e32 v21, 0x100, v6
	v_lshl_add_u64 v[6:7], v[0:1], 0, s[6:7]
	v_mov_b32_e32 v5, v1
	s_lshl_b32 s20, s20, 6
	v_lshl_add_u64 v[0:1], v[6:7], 0, v[2:3]
	v_mul_lo_u32 v8, s19, v6
	v_mul_lo_u32 v9, s18, v7
	v_mad_u64_u32 v[6:7], s[24:25], s18, v6, 0
	v_lshl_add_u32 v4, s2, 5, v18
	s_mul_i32 s3, s19, s20
	s_mul_hi_u32 s24, s18, s20
	s_mov_b32 s21, 0
	v_add3_u32 v7, v7, v9, v8
	v_lshlrev_b64 v[4:5], 3, v[4:5]
	s_add_i32 s25, s24, s3
	s_mul_i32 s24, s18, s20
	v_mov_b64_e32 v[8:9], 0
	v_cmp_gt_u32_e64 s[4:5], 8, v2
	v_or_b32_e32 v22, 4, v21
	v_or_b32_e32 v23, 8, v21
	v_or_b32_e32 v24, 12, v21
	v_or_b32_e32 v25, 16, v21
	v_or_b32_e32 v26, 20, v21
	v_or_b32_e32 v27, 24, v21
	v_or_b32_e32 v28, 28, v21
	v_lshlrev_b64 v[2:3], 3, v[0:1]
	s_lshl_b64 s[22:23], s[20:21], 3
	v_lshl_add_u64 v[6:7], v[6:7], 3, v[4:5]
	s_lshl_b64 s[24:25], s[24:25], 3
	s_lshl_b64 s[18:19], s[18:19], 3
	v_mov_b64_e32 v[10:11], s[16:17]
	v_mov_b64_e32 v[4:5], v[8:9]
	;; [unrolled: 1-line block ×3, first 2 shown]
	s_branch .LBB41_7
.LBB41_5:                               ;   in Loop: Header=BB41_7 Depth=1
	s_or_b64 exec, exec, s[28:29]
.LBB41_6:                               ;   in Loop: Header=BB41_7 Depth=1
	s_or_b64 exec, exec, s[26:27]
	v_lshl_add_u64 v[30:31], s[10:11], 0, v[6:7]
	global_load_dwordx2 v[32:33], v[30:31], off
	v_lshl_add_u64 v[34:35], s[8:9], 0, v[6:7]
	global_load_dwordx2 v[36:37], v[34:35], off
	;; [unrolled: 2-line block ×6, first 2 shown]
	v_lshl_add_u64 v[30:31], v[30:31], 0, s[18:19]
	v_lshl_add_u64 v[34:35], v[34:35], 0, s[18:19]
	global_load_dwordx2 v[46:47], v[30:31], off
	global_load_dwordx2 v[48:49], v[34:35], off
	v_lshl_add_u64 v[30:31], v[30:31], 0, s[18:19]
	v_lshl_add_u64 v[34:35], v[34:35], 0, s[18:19]
	global_load_dwordx2 v[50:51], v[30:31], off
	global_load_dwordx2 v[52:53], v[34:35], off
	;; [unrolled: 4-line block ×3, first 2 shown]
	v_lshl_add_u64 v[30:31], v[30:31], 0, s[18:19]
	global_load_dwordx2 v[58:59], v[30:31], off
	v_lshl_add_u64 v[34:35], v[34:35], 0, s[18:19]
	global_load_dwordx2 v[60:61], v[34:35], off
	v_lshl_add_u64 v[34:35], v[34:35], 0, s[18:19]
	v_lshl_add_u64 v[30:31], v[30:31], 0, s[18:19]
	global_load_dwordx2 v[30:31], v[30:31], off
	s_nop 0
	global_load_dwordx2 v[34:35], v[34:35], off
	s_waitcnt vmcnt(17)
	ds_bpermute_b32 v62, v21, v16
	ds_bpermute_b32 v63, v21, v17
	s_waitcnt vmcnt(16)
	ds_bpermute_b32 v64, v21, v12
	ds_bpermute_b32 v65, v21, v13
	s_add_u32 s6, s6, s20
	s_addc_u32 s7, s7, 0
	v_cmp_lt_i64_e32 vcc, s[6:7], v[10:11]
	v_lshl_add_u64 v[2:3], v[2:3], 0, s[22:23]
	v_lshl_add_u64 v[0:1], v[0:1], 0, s[20:21]
	;; [unrolled: 1-line block ×3, first 2 shown]
	s_and_b64 vcc, exec, vcc
	s_waitcnt vmcnt(15) lgkmcnt(2)
	v_add_f64 v[32:33], v[32:33], -v[62:63]
	ds_bpermute_b32 v62, v22, v16
	ds_bpermute_b32 v63, v22, v17
	s_waitcnt vmcnt(14)
	v_mul_f64 v[32:33], v[36:37], v[32:33]
	s_waitcnt lgkmcnt(2)
	v_fmac_f64_e32 v[4:5], v[32:33], v[64:65]
	ds_bpermute_b32 v32, v22, v12
	ds_bpermute_b32 v33, v22, v13
	s_waitcnt vmcnt(13) lgkmcnt(2)
	v_add_f64 v[38:39], v[38:39], -v[62:63]
	ds_bpermute_b32 v62, v23, v16
	ds_bpermute_b32 v63, v23, v17
	;; [unrolled: 1-line block ×4, first 2 shown]
	s_waitcnt vmcnt(12)
	v_mul_f64 v[38:39], v[40:41], v[38:39]
	s_waitcnt lgkmcnt(4)
	v_fmac_f64_e32 v[4:5], v[38:39], v[32:33]
	ds_bpermute_b32 v32, v24, v16
	ds_bpermute_b32 v33, v24, v17
	s_waitcnt vmcnt(11) lgkmcnt(4)
	v_add_f64 v[42:43], v[42:43], -v[62:63]
	ds_bpermute_b32 v38, v25, v16
	ds_bpermute_b32 v39, v25, v17
	s_waitcnt vmcnt(10)
	v_mul_f64 v[42:43], v[44:45], v[42:43]
	ds_bpermute_b32 v62, v26, v16
	ds_bpermute_b32 v63, v26, v17
	s_waitcnt lgkmcnt(6)
	v_fmac_f64_e32 v[4:5], v[42:43], v[64:65]
	ds_bpermute_b32 v64, v24, v12
	ds_bpermute_b32 v65, v24, v13
	;; [unrolled: 1-line block ×4, first 2 shown]
	v_add_f64 v[14:15], v[14:15], v[36:37]
	ds_bpermute_b32 v36, v25, v12
	ds_bpermute_b32 v37, v25, v13
	;; [unrolled: 1-line block ×4, first 2 shown]
	v_add_f64 v[14:15], v[14:15], v[40:41]
	ds_bpermute_b32 v40, v26, v12
	ds_bpermute_b32 v41, v26, v13
	v_add_f64 v[14:15], v[14:15], v[44:45]
	ds_bpermute_b32 v44, v27, v12
	ds_bpermute_b32 v45, v27, v13
	s_waitcnt vmcnt(9) lgkmcnt(14)
	v_add_f64 v[32:33], v[46:47], -v[32:33]
	ds_bpermute_b32 v12, v28, v12
	s_waitcnt vmcnt(8)
	v_mul_f64 v[32:33], v[48:49], v[32:33]
	s_waitcnt vmcnt(7)
	v_add_f64 v[38:39], v[50:51], -v[38:39]
	ds_bpermute_b32 v13, v28, v13
	v_add_f64 v[14:15], v[14:15], v[48:49]
	s_waitcnt lgkmcnt(12)
	v_fmac_f64_e32 v[4:5], v[32:33], v[64:65]
	s_waitcnt vmcnt(6)
	v_mul_f64 v[32:33], v[52:53], v[38:39]
	s_waitcnt vmcnt(5)
	v_add_f64 v[38:39], v[54:55], -v[62:63]
	v_add_f64 v[14:15], v[14:15], v[52:53]
	s_waitcnt lgkmcnt(8)
	v_fmac_f64_e32 v[4:5], v[32:33], v[36:37]
	s_waitcnt vmcnt(4)
	v_mul_f64 v[32:33], v[56:57], v[38:39]
	s_waitcnt vmcnt(3)
	v_add_f64 v[36:37], v[58:59], -v[42:43]
	;; [unrolled: 7-line block ×3, first 2 shown]
	s_waitcnt lgkmcnt(2)
	v_fmac_f64_e32 v[4:5], v[32:33], v[44:45]
	v_add_f64 v[14:15], v[14:15], v[60:61]
	s_waitcnt vmcnt(0)
	v_mul_f64 v[16:17], v[34:35], v[16:17]
	s_waitcnt lgkmcnt(0)
	v_fmac_f64_e32 v[4:5], v[16:17], v[12:13]
	v_add_f64 v[14:15], v[14:15], v[34:35]
	s_cbranch_vccz .LBB41_10
.LBB41_7:                               ; =>This Inner Loop Header: Depth=1
	v_mov_b64_e32 v[12:13], v[8:9]
	v_mov_b64_e32 v[16:17], v[8:9]
	s_and_saveexec_b64 s[26:27], s[4:5]
	s_cbranch_execz .LBB41_6
; %bb.8:                                ;   in Loop: Header=BB41_7 Depth=1
	v_mov_b64_e32 v[16:17], 0
	v_cmp_gt_i64_e32 vcc, s[16:17], v[0:1]
	v_mov_b64_e32 v[12:13], v[16:17]
	s_and_saveexec_b64 s[28:29], vcc
	s_cbranch_execz .LBB41_5
; %bb.9:                                ;   in Loop: Header=BB41_7 Depth=1
	v_lshl_add_u64 v[32:33], s[12:13], 0, v[2:3]
	v_lshl_add_u64 v[30:31], s[14:15], 0, v[2:3]
	global_load_dwordx2 v[16:17], v[32:33], off
	global_load_dwordx2 v[12:13], v[30:31], off
	s_branch .LBB41_5
.LBB41_10:
	v_mov_b32_e32 v1, v20
.LBB41_11:
	s_load_dwordx4 s[8:11], s[0:1], 0x30
	v_mad_u32_u24 v0, v1, 33, v18
	v_lshl_add_u32 v2, v0, 3, 0
	v_sub_u32_e32 v0, v0, v1
	s_movk_i32 s0, 0x800
	s_mov_b32 s3, 0
	v_cmp_gt_u32_e32 vcc, s0, v0
	ds_write_b64 v2, v[4:5]
	ds_write_b64 v2, v[14:15] offset:2112
	s_waitcnt lgkmcnt(0)
	s_barrier
	s_and_saveexec_b64 s[0:1], vcc
	s_cbranch_execz .LBB41_21
; %bb.12:
	v_lshrrev_b32_e32 v4, 6, v0
	v_and_b32_e32 v5, 63, v0
	v_mbcnt_hi_u32_b32 v0, -1, v19
	v_and_b32_e32 v2, 64, v0
	v_add_u32_e32 v2, 64, v2
	v_xor_b32_e32 v3, 4, v0
	v_cmp_lt_i32_e32 vcc, v3, v2
	s_cmp_lg_u64 s[8:9], 0
	s_cselect_b64 s[6:7], -1, 0
	v_cndmask_b32_e32 v3, v0, v3, vcc
	v_lshlrev_b32_e32 v8, 2, v3
	v_xor_b32_e32 v3, 2, v0
	v_cmp_lt_i32_e32 vcc, v3, v2
	s_cmp_lg_u64 s[10:11], 0
	v_add_u32_e32 v11, -4, v4
	v_cndmask_b32_e32 v3, v0, v3, vcc
	v_lshlrev_b32_e32 v9, 2, v3
	v_xor_b32_e32 v3, 1, v0
	v_cmp_lt_i32_e32 vcc, v3, v2
	v_mov_b32_e32 v1, 0
	s_cselect_b64 s[14:15], -1, 0
	v_cndmask_b32_e32 v0, v0, v3, vcc
	v_lshlrev_b32_e32 v10, 2, v0
	v_lshlrev_b32_e32 v0, 3, v4
	v_mad_u32_u24 v4, v5, 33, v4
	s_lshl_b64 s[2:3], s[2:3], 8
	v_lshl_add_u32 v12, v4, 3, 0
	v_cndmask_b32_e64 v4, 0, 1, s[6:7]
	v_lshl_add_u64 v[2:3], s[2:3], 0, v[0:1]
	v_cmp_ne_u32_e64 s[2:3], 1, v4
	v_cndmask_b32_e64 v4, 0, 1, s[14:15]
	v_cmp_gt_u32_e64 s[0:1], 8, v5
	v_cmp_eq_u32_e64 s[4:5], 0, v18
	s_mov_b64 s[12:13], 0
	v_lshl_add_u64 v[0:1], s[10:11], 0, v[2:3]
	v_lshl_add_u64 v[2:3], s[8:9], 0, v[2:3]
	v_cmp_ne_u32_e64 s[6:7], 1, v4
                                        ; implicit-def: $vgpr4_vgpr5
                                        ; implicit-def: $vgpr6_vgpr7
	s_branch .LBB41_14
.LBB41_13:                              ;   in Loop: Header=BB41_14 Depth=1
	s_or_b64 exec, exec, s[8:9]
	v_add_u32_e32 v11, 4, v11
	v_cmp_lt_u32_e32 vcc, 27, v11
	v_lshl_add_u64 v[0:1], v[0:1], 0, 32
	v_lshl_add_u64 v[2:3], v[2:3], 0, 32
	s_or_b64 s[12:13], vcc, s[12:13]
	v_add_u32_e32 v12, 32, v12
	s_andn2_b64 exec, exec, s[12:13]
	s_cbranch_execz .LBB41_21
.LBB41_14:                              ; =>This Inner Loop Header: Depth=1
	s_and_saveexec_b64 s[8:9], s[0:1]
	s_cbranch_execz .LBB41_16
; %bb.15:                               ;   in Loop: Header=BB41_14 Depth=1
	ds_read_b64 v[4:5], v12
	ds_read_b64 v[6:7], v12 offset:2112
.LBB41_16:                              ;   in Loop: Header=BB41_14 Depth=1
	s_or_b64 exec, exec, s[8:9]
	s_waitcnt lgkmcnt(1)
	ds_bpermute_b32 v14, v8, v4
	ds_bpermute_b32 v15, v8, v5
	s_waitcnt lgkmcnt(2)
	ds_bpermute_b32 v16, v8, v6
	ds_bpermute_b32 v17, v8, v7
	s_waitcnt lgkmcnt(2)
	v_add_f64 v[4:5], v[4:5], v[14:15]
	ds_bpermute_b32 v14, v9, v4
	s_waitcnt lgkmcnt(1)
	v_add_f64 v[6:7], v[6:7], v[16:17]
	ds_bpermute_b32 v15, v9, v5
	ds_bpermute_b32 v16, v9, v6
	;; [unrolled: 1-line block ×3, first 2 shown]
	s_waitcnt lgkmcnt(2)
	v_add_f64 v[4:5], v[4:5], v[14:15]
	ds_bpermute_b32 v14, v10, v4
	s_waitcnt lgkmcnt(1)
	v_add_f64 v[6:7], v[6:7], v[16:17]
	ds_bpermute_b32 v15, v10, v5
	ds_bpermute_b32 v16, v10, v6
	;; [unrolled: 1-line block ×3, first 2 shown]
	s_waitcnt lgkmcnt(2)
	v_add_f64 v[4:5], v[4:5], v[14:15]
	s_waitcnt lgkmcnt(0)
	v_add_f64 v[6:7], v[6:7], v[16:17]
	s_and_saveexec_b64 s[8:9], s[4:5]
	s_cbranch_execz .LBB41_13
; %bb.17:                               ;   in Loop: Header=BB41_14 Depth=1
	s_and_b64 vcc, exec, s[2:3]
	s_cbranch_vccnz .LBB41_19
; %bb.18:                               ;   in Loop: Header=BB41_14 Depth=1
	global_store_dwordx2 v[2:3], v[4:5], off
.LBB41_19:                              ;   in Loop: Header=BB41_14 Depth=1
	s_and_b64 vcc, exec, s[6:7]
	s_cbranch_vccnz .LBB41_13
; %bb.20:                               ;   in Loop: Header=BB41_14 Depth=1
	global_store_dwordx2 v[0:1], v[6:7], off
	s_branch .LBB41_13
.LBB41_21:
	s_endpgm
	.section	.rodata,"a",@progbits
	.p2align	6, 0x0
	.amdhsa_kernel _ZN2at6native12_GLOBAL__N_135GammaBetaBackwardCUDAKernelTemplateIddLj32ELj8ELj64ELb0ELb1ELb0EEEvllPKT_S5_PKT0_S8_PS3_S9_
		.amdhsa_group_segment_fixed_size 0
		.amdhsa_private_segment_fixed_size 0
		.amdhsa_kernarg_size 320
		.amdhsa_user_sgpr_count 2
		.amdhsa_user_sgpr_dispatch_ptr 0
		.amdhsa_user_sgpr_queue_ptr 0
		.amdhsa_user_sgpr_kernarg_segment_ptr 1
		.amdhsa_user_sgpr_dispatch_id 0
		.amdhsa_user_sgpr_kernarg_preload_length 0
		.amdhsa_user_sgpr_kernarg_preload_offset 0
		.amdhsa_user_sgpr_private_segment_size 0
		.amdhsa_uses_dynamic_stack 0
		.amdhsa_enable_private_segment 0
		.amdhsa_system_sgpr_workgroup_id_x 1
		.amdhsa_system_sgpr_workgroup_id_y 1
		.amdhsa_system_sgpr_workgroup_id_z 0
		.amdhsa_system_sgpr_workgroup_info 0
		.amdhsa_system_vgpr_workitem_id 1
		.amdhsa_next_free_vgpr 66
		.amdhsa_next_free_sgpr 30
		.amdhsa_accum_offset 68
		.amdhsa_reserve_vcc 1
		.amdhsa_float_round_mode_32 0
		.amdhsa_float_round_mode_16_64 0
		.amdhsa_float_denorm_mode_32 3
		.amdhsa_float_denorm_mode_16_64 3
		.amdhsa_dx10_clamp 1
		.amdhsa_ieee_mode 1
		.amdhsa_fp16_overflow 0
		.amdhsa_tg_split 0
		.amdhsa_exception_fp_ieee_invalid_op 0
		.amdhsa_exception_fp_denorm_src 0
		.amdhsa_exception_fp_ieee_div_zero 0
		.amdhsa_exception_fp_ieee_overflow 0
		.amdhsa_exception_fp_ieee_underflow 0
		.amdhsa_exception_fp_ieee_inexact 0
		.amdhsa_exception_int_div_zero 0
	.end_amdhsa_kernel
	.section	.text._ZN2at6native12_GLOBAL__N_135GammaBetaBackwardCUDAKernelTemplateIddLj32ELj8ELj64ELb0ELb1ELb0EEEvllPKT_S5_PKT0_S8_PS3_S9_,"axG",@progbits,_ZN2at6native12_GLOBAL__N_135GammaBetaBackwardCUDAKernelTemplateIddLj32ELj8ELj64ELb0ELb1ELb0EEEvllPKT_S5_PKT0_S8_PS3_S9_,comdat
.Lfunc_end41:
	.size	_ZN2at6native12_GLOBAL__N_135GammaBetaBackwardCUDAKernelTemplateIddLj32ELj8ELj64ELb0ELb1ELb0EEEvllPKT_S5_PKT0_S8_PS3_S9_, .Lfunc_end41-_ZN2at6native12_GLOBAL__N_135GammaBetaBackwardCUDAKernelTemplateIddLj32ELj8ELj64ELb0ELb1ELb0EEEvllPKT_S5_PKT0_S8_PS3_S9_
                                        ; -- End function
	.section	.AMDGPU.csdata,"",@progbits
; Kernel info:
; codeLenInByte = 1892
; NumSgprs: 36
; NumVgprs: 66
; NumAgprs: 0
; TotalNumVgprs: 66
; ScratchSize: 0
; MemoryBound: 0
; FloatMode: 240
; IeeeMode: 1
; LDSByteSize: 0 bytes/workgroup (compile time only)
; SGPRBlocks: 4
; VGPRBlocks: 8
; NumSGPRsForWavesPerEU: 36
; NumVGPRsForWavesPerEU: 66
; AccumOffset: 68
; Occupancy: 7
; WaveLimiterHint : 0
; COMPUTE_PGM_RSRC2:SCRATCH_EN: 0
; COMPUTE_PGM_RSRC2:USER_SGPR: 2
; COMPUTE_PGM_RSRC2:TRAP_HANDLER: 0
; COMPUTE_PGM_RSRC2:TGID_X_EN: 1
; COMPUTE_PGM_RSRC2:TGID_Y_EN: 1
; COMPUTE_PGM_RSRC2:TGID_Z_EN: 0
; COMPUTE_PGM_RSRC2:TIDIG_COMP_CNT: 1
; COMPUTE_PGM_RSRC3_GFX90A:ACCUM_OFFSET: 16
; COMPUTE_PGM_RSRC3_GFX90A:TG_SPLIT: 0
	.section	.text._ZN2at6native12_GLOBAL__N_135GammaBetaBackwardCUDAKernelTemplateIddLj32ELj8ELj64ELb0ELb0ELb0EEEvllPKT_S5_PKT0_S8_PS3_S9_,"axG",@progbits,_ZN2at6native12_GLOBAL__N_135GammaBetaBackwardCUDAKernelTemplateIddLj32ELj8ELj64ELb0ELb0ELb0EEEvllPKT_S5_PKT0_S8_PS3_S9_,comdat
	.globl	_ZN2at6native12_GLOBAL__N_135GammaBetaBackwardCUDAKernelTemplateIddLj32ELj8ELj64ELb0ELb0ELb0EEEvllPKT_S5_PKT0_S8_PS3_S9_ ; -- Begin function _ZN2at6native12_GLOBAL__N_135GammaBetaBackwardCUDAKernelTemplateIddLj32ELj8ELj64ELb0ELb0ELb0EEEvllPKT_S5_PKT0_S8_PS3_S9_
	.p2align	8
	.type	_ZN2at6native12_GLOBAL__N_135GammaBetaBackwardCUDAKernelTemplateIddLj32ELj8ELj64ELb0ELb0ELb0EEEvllPKT_S5_PKT0_S8_PS3_S9_,@function
_ZN2at6native12_GLOBAL__N_135GammaBetaBackwardCUDAKernelTemplateIddLj32ELj8ELj64ELb0ELb0ELb0EEEvllPKT_S5_PKT0_S8_PS3_S9_: ; @_ZN2at6native12_GLOBAL__N_135GammaBetaBackwardCUDAKernelTemplateIddLj32ELj8ELj64ELb0ELb0ELb0EEEvllPKT_S5_PKT0_S8_PS3_S9_
; %bb.0:
	s_load_dwordx8 s[24:31], s[0:1], 0x0
	s_load_dwordx4 s[36:39], s[0:1], 0x20
	s_lshl_b32 s33, s2, 5
	s_or_b32 s34, s33, 31
	s_mov_b32 s35, 0
	s_waitcnt lgkmcnt(0)
	v_mov_b64_e32 v[2:3], s[26:27]
	v_cmp_ge_i64_e32 vcc, s[34:35], v[2:3]
	s_lshl_b32 s34, s3, 6
	v_mov_b64_e32 v[2:3], s[24:25]
	v_cmp_lt_i64_e64 s[4:5], s[34:35], v[2:3]
	s_nop 1
	v_cndmask_b32_e64 v1, 0, 1, s[4:5]
	v_cmp_ne_u32_e64 s[4:5], 1, v1
	s_cbranch_vccz .LBB42_49
; %bb.1:
	v_mov_b64_e32 v[50:51], 0
	s_mov_b64 s[40:41], 0
	s_and_b64 vcc, exec, s[4:5]
	v_mov_b64_e32 v[52:53], v[50:51]
	s_cbranch_vccnz .LBB42_50
; %bb.2:
	v_mov_b32_e32 v5, 0
	v_bfe_u32 v98, v0, 10, 10
	s_load_dword s3, s[0:1], 0x44
	v_lshlrev_b32_e32 v54, 3, v98
	v_mov_b32_e32 v55, v5
	v_and_b32_e32 v1, 0x3ff, v0
	v_lshl_add_u64 v[2:3], v[54:55], 0, s[34:35]
	v_add_u32_e32 v4, s33, v1
	v_lshl_add_u64 v[6:7], v[2:3], 0, 7
	s_add_u32 s42, s0, 64
	v_cmp_gt_i64_e64 s[6:7], s[26:27], v[4:5]
	v_lshlrev_b64 v[56:57], 3, v[4:5]
	v_mul_lo_u32 v4, s27, v6
	v_mul_lo_u32 v8, s26, v7
	v_mad_u64_u32 v[6:7], s[10:11], s26, v6, 0
	s_addc_u32 s43, s1, 0
	s_waitcnt lgkmcnt(0)
	s_lshl_b32 s3, s3, 6
	v_add3_u32 v7, v7, v8, v4
	v_lshlrev_b64 v[6:7], 3, v[6:7]
	s_mul_i32 s9, s27, s3
	s_mul_hi_u32 s10, s26, s3
	v_lshl_add_u64 v[58:59], s[28:29], 0, v[6:7]
	s_add_i32 s11, s10, s9
	s_mul_i32 s10, s26, s3
	v_lshl_add_u64 v[60:61], s[30:31], 0, v[6:7]
	v_lshl_add_u64 v[6:7], v[2:3], 0, 6
	s_lshl_b64 s[44:45], s[10:11], 3
	v_mul_lo_u32 v4, s27, v6
	v_mul_lo_u32 v8, s26, v7
	v_mad_u64_u32 v[6:7], s[10:11], s26, v6, 0
	v_add3_u32 v7, v7, v8, v4
	v_lshlrev_b64 v[6:7], 3, v[6:7]
	v_lshl_add_u64 v[62:63], s[28:29], 0, v[6:7]
	v_lshl_add_u64 v[64:65], s[30:31], 0, v[6:7]
	v_lshl_add_u64 v[6:7], v[2:3], 0, 5
	v_mul_lo_u32 v4, s27, v6
	v_mul_lo_u32 v8, s26, v7
	v_mad_u64_u32 v[6:7], s[10:11], s26, v6, 0
	v_add3_u32 v7, v7, v8, v4
	v_lshlrev_b64 v[6:7], 3, v[6:7]
	v_lshl_add_u64 v[66:67], s[28:29], 0, v[6:7]
	v_lshl_add_u64 v[68:69], s[30:31], 0, v[6:7]
	v_lshl_add_u64 v[6:7], v[2:3], 0, 4
	;; [unrolled: 8-line block ×4, first 2 shown]
	v_mul_lo_u32 v4, s27, v6
	v_mul_lo_u32 v8, s26, v7
	v_mad_u64_u32 v[6:7], s[10:11], s26, v6, 0
	v_add3_u32 v7, v7, v8, v4
	v_lshlrev_b64 v[6:7], 3, v[6:7]
	v_lshl_add_u64 v[78:79], s[28:29], 0, v[6:7]
	v_lshl_add_u64 v[80:81], s[30:31], 0, v[6:7]
	v_mov_b64_e32 v[6:7], s[26:27]
	v_mad_u64_u32 v[6:7], s[10:11], s26, v2, v[6:7]
	v_mul_lo_u32 v4, s26, v3
	v_mul_lo_u32 v8, s27, v2
	v_mad_u64_u32 v[2:3], s[10:11], s26, v2, 0
	v_add3_u32 v3, v3, v4, v8
	v_lshlrev_b64 v[2:3], 3, v[2:3]
	v_lshl_add_u64 v[86:87], s[28:29], 0, v[2:3]
	v_lshl_add_u64 v[88:89], s[30:31], 0, v[2:3]
	v_mbcnt_lo_u32_b32 v2, -1, 0
	v_add3_u32 v7, v8, v7, v4
	v_mbcnt_hi_u32_b32 v2, -1, v2
	v_lshlrev_b64 v[6:7], 3, v[6:7]
	s_add_u32 s46, s34, 63
	v_mov_b64_e32 v[90:91], 0
	s_movk_i32 s48, 0xffc1
	s_movk_i32 s50, 0xffc2
	;; [unrolled: 1-line block ×8, first 2 shown]
	v_lshlrev_b32_e32 v2, 2, v2
	s_mov_b32 s8, 0
	v_lshl_add_u64 v[82:83], s[28:29], 0, v[6:7]
	v_lshl_add_u64 v[84:85], s[30:31], 0, v[6:7]
	s_addc_u32 s47, 0, 0
	s_mov_b32 s49, -1
	s_mov_b32 s51, -1
	;; [unrolled: 1-line block ×8, first 2 shown]
	v_and_b32_e32 v99, 0x100, v2
	v_mov_b64_e32 v[50:51], v[90:91]
	s_mov_b64 s[64:65], s[34:35]
.LBB42_3:                               ; =>This Inner Loop Header: Depth=1
	v_mov_b64_e32 v[2:3], s[24:25]
	v_cmp_ge_i64_e32 vcc, s[46:47], v[2:3]
	v_lshl_add_u64 v[92:93], v[54:55], 0, s[46:47]
	s_cbranch_vccz .LBB42_25
; %bb.4:                                ;   in Loop: Header=BB42_3 Depth=1
	s_load_dword s9, s[42:43], 0xc
	v_mov_b64_e32 v[96:97], 0
	v_mov_b64_e32 v[94:95], v[96:97]
	s_waitcnt lgkmcnt(0)
	s_and_b32 s9, s9, 0xffff
	v_mad_u32_u24 v2, v98, s9, v1
	v_and_b32_e32 v4, 63, v2
	v_cmp_gt_u32_e32 vcc, 8, v4
	s_and_saveexec_b64 s[10:11], vcc
	s_cbranch_execz .LBB42_8
; %bb.5:                                ;   in Loop: Header=BB42_3 Depth=1
	v_lshl_add_u64 v[2:3], v[92:93], 0, v[4:5]
	v_lshl_add_u64 v[2:3], v[2:3], 0, s[48:49]
	v_mov_b64_e32 v[94:95], 0
	v_cmp_gt_i64_e32 vcc, s[24:25], v[2:3]
	v_mov_b64_e32 v[96:97], v[94:95]
	s_and_saveexec_b64 s[12:13], vcc
	s_cbranch_execz .LBB42_7
; %bb.6:                                ;   in Loop: Header=BB42_3 Depth=1
	v_lshlrev_b64 v[2:3], 3, v[2:3]
	v_lshl_add_u64 v[6:7], s[38:39], 0, v[2:3]
	v_lshl_add_u64 v[2:3], s[36:37], 0, v[2:3]
	global_load_dwordx2 v[94:95], v[2:3], off
	global_load_dwordx2 v[96:97], v[6:7], off
.LBB42_7:                               ;   in Loop: Header=BB42_3 Depth=1
	s_or_b64 exec, exec, s[12:13]
.LBB42_8:                               ;   in Loop: Header=BB42_3 Depth=1
	s_or_b64 exec, exec, s[10:11]
	s_mov_b32 s22, s8
	s_mov_b32 s23, s8
	v_lshl_add_u64 v[2:3], v[92:93], 0, s[48:49]
	s_mov_b32 s9, s8
	s_mov_b32 s10, s8
	;; [unrolled: 1-line block ×13, first 2 shown]
	v_mov_b64_e32 v[32:33], s[22:23]
	v_cmp_gt_i64_e32 vcc, s[24:25], v[2:3]
	v_mov_b64_e32 v[30:31], s[20:21]
	v_mov_b64_e32 v[28:29], s[18:19]
	;; [unrolled: 1-line block ×8, first 2 shown]
	s_and_b64 s[66:67], s[6:7], vcc
	v_mov_b64_e32 v[46:47], v[30:31]
	v_mov_b64_e32 v[44:45], v[28:29]
	;; [unrolled: 1-line block ×7, first 2 shown]
	s_and_saveexec_b64 s[10:11], s[66:67]
	s_cbranch_execz .LBB42_10
; %bb.9:                                ;   in Loop: Header=BB42_3 Depth=1
	v_lshl_add_u64 v[2:3], v[86:87], 0, v[56:57]
	global_load_dwordx2 v[2:3], v[2:3], off
	v_lshl_add_u64 v[6:7], v[88:89], 0, v[56:57]
	global_load_dwordx2 v[18:19], v[6:7], off
	v_mov_b32_e32 v16, v5
	v_mov_b32_e32 v17, v5
	;; [unrolled: 1-line block ×13, first 2 shown]
	s_waitcnt vmcnt(1)
	v_mov_b64_e32 v[48:49], v[16:17]
	v_mov_b32_e32 v20, v5
	v_mov_b32_e32 v21, v5
	;; [unrolled: 1-line block ×14, first 2 shown]
	v_mov_b64_e32 v[46:47], v[14:15]
	v_mov_b64_e32 v[44:45], v[12:13]
	;; [unrolled: 1-line block ×7, first 2 shown]
.LBB42_10:                              ;   in Loop: Header=BB42_3 Depth=1
	s_or_b64 exec, exec, s[10:11]
	v_lshl_add_u64 v[2:3], v[92:93], 0, s[50:51]
	v_cmp_gt_i64_e32 vcc, s[24:25], v[2:3]
	s_and_b64 s[12:13], s[6:7], vcc
	s_and_saveexec_b64 s[10:11], s[12:13]
	s_cbranch_execz .LBB42_12
; %bb.11:                               ;   in Loop: Header=BB42_3 Depth=1
	v_lshl_add_u64 v[2:3], v[82:83], 0, v[56:57]
	global_load_dwordx2 v[36:37], v[2:3], off
	v_lshl_add_u64 v[2:3], v[84:85], 0, v[56:57]
	global_load_dwordx2 v[20:21], v[2:3], off
.LBB42_12:                              ;   in Loop: Header=BB42_3 Depth=1
	s_or_b64 exec, exec, s[10:11]
	v_lshl_add_u64 v[2:3], v[92:93], 0, s[52:53]
	v_cmp_gt_i64_e32 vcc, s[24:25], v[2:3]
	s_and_b64 s[12:13], s[6:7], vcc
	s_and_saveexec_b64 s[10:11], s[12:13]
	s_cbranch_execz .LBB42_14
; %bb.13:                               ;   in Loop: Header=BB42_3 Depth=1
	v_lshl_add_u64 v[2:3], v[78:79], 0, v[56:57]
	global_load_dwordx2 v[38:39], v[2:3], off
	v_lshl_add_u64 v[2:3], v[80:81], 0, v[56:57]
	global_load_dwordx2 v[22:23], v[2:3], off
.LBB42_14:                              ;   in Loop: Header=BB42_3 Depth=1
	;; [unrolled: 12-line block ×7, first 2 shown]
	s_or_b64 exec, exec, s[10:11]
	s_waitcnt vmcnt(1)
	ds_bpermute_b32 v2, v99, v94
	ds_bpermute_b32 v3, v99, v95
	s_waitcnt vmcnt(0)
	ds_bpermute_b32 v6, v99, v96
	ds_bpermute_b32 v7, v99, v97
	ds_bpermute_b32 v8, v99, v94 offset:4
	ds_bpermute_b32 v9, v99, v95 offset:4
	s_waitcnt lgkmcnt(4)
	v_add_f64 v[2:3], v[18:19], -v[2:3]
	v_mul_f64 v[2:3], v[34:35], v[2:3]
	s_waitcnt lgkmcnt(2)
	v_fma_f64 v[52:53], v[2:3], v[6:7], v[90:91]
	ds_bpermute_b32 v6, v99, v96 offset:4
	ds_bpermute_b32 v7, v99, v97 offset:4
	;; [unrolled: 1-line block ×4, first 2 shown]
	s_waitcnt lgkmcnt(4)
	v_add_f64 v[8:9], v[20:21], -v[8:9]
	v_mul_f64 v[8:9], v[36:37], v[8:9]
	s_waitcnt lgkmcnt(2)
	v_fmac_f64_e32 v[52:53], v[8:9], v[6:7]
	ds_bpermute_b32 v6, v99, v96 offset:8
	ds_bpermute_b32 v7, v99, v97 offset:8
	s_waitcnt lgkmcnt(2)
	v_add_f64 v[8:9], v[22:23], -v[10:11]
	ds_bpermute_b32 v10, v99, v94 offset:12
	ds_bpermute_b32 v11, v99, v95 offset:12
	v_mul_f64 v[8:9], v[38:39], v[8:9]
	s_waitcnt lgkmcnt(2)
	v_fmac_f64_e32 v[52:53], v[8:9], v[6:7]
	ds_bpermute_b32 v6, v99, v96 offset:12
	ds_bpermute_b32 v7, v99, v97 offset:12
	s_waitcnt lgkmcnt(2)
	v_add_f64 v[8:9], v[24:25], -v[10:11]
	ds_bpermute_b32 v10, v99, v94 offset:16
	ds_bpermute_b32 v11, v99, v95 offset:16
	;; [unrolled: 9-line block ×3, first 2 shown]
	v_mul_f64 v[8:9], v[42:43], v[8:9]
	v_add_f64 v[2:3], v[50:51], v[34:35]
	s_waitcnt lgkmcnt(2)
	v_fmac_f64_e32 v[52:53], v[8:9], v[6:7]
	ds_bpermute_b32 v6, v99, v96 offset:20
	ds_bpermute_b32 v7, v99, v97 offset:20
	v_add_f64 v[2:3], v[36:37], v[2:3]
	v_add_f64 v[2:3], v[38:39], v[2:3]
	s_waitcnt lgkmcnt(2)
	v_add_f64 v[8:9], v[28:29], -v[10:11]
	ds_bpermute_b32 v10, v99, v94 offset:24
	ds_bpermute_b32 v11, v99, v95 offset:24
	v_add_f64 v[2:3], v[40:41], v[2:3]
	v_add_f64 v[2:3], v[42:43], v[2:3]
	v_mul_f64 v[8:9], v[44:45], v[8:9]
	ds_bpermute_b32 v12, v99, v96 offset:24
	ds_bpermute_b32 v13, v99, v97 offset:24
	s_waitcnt lgkmcnt(4)
	v_fmac_f64_e32 v[52:53], v[8:9], v[6:7]
	v_add_f64 v[8:9], v[44:45], v[2:3]
	ds_bpermute_b32 v2, v99, v96 offset:28
	ds_bpermute_b32 v3, v99, v97 offset:28
	;; [unrolled: 1-line block ×4, first 2 shown]
	s_waitcnt lgkmcnt(6)
	v_add_f64 v[10:11], v[30:31], -v[10:11]
	v_mul_f64 v[10:11], v[46:47], v[10:11]
	s_waitcnt lgkmcnt(4)
	v_fmac_f64_e32 v[52:53], v[10:11], v[12:13]
	v_add_f64 v[8:9], v[46:47], v[8:9]
	s_branch .LBB42_40
.LBB42_25:                              ;   in Loop: Header=BB42_3 Depth=1
                                        ; implicit-def: $vgpr2_vgpr3
                                        ; implicit-def: $vgpr18_vgpr19_vgpr20_vgpr21_vgpr22_vgpr23_vgpr24_vgpr25_vgpr26_vgpr27_vgpr28_vgpr29_vgpr30_vgpr31_vgpr32_vgpr33
                                        ; implicit-def: $vgpr34_vgpr35_vgpr36_vgpr37_vgpr38_vgpr39_vgpr40_vgpr41_vgpr42_vgpr43_vgpr44_vgpr45_vgpr46_vgpr47_vgpr48_vgpr49
                                        ; implicit-def: $vgpr6
                                        ; implicit-def: $vgpr8_vgpr9
                                        ; implicit-def: $vgpr52_vgpr53
	s_cbranch_execz .LBB42_40
; %bb.26:                               ;   in Loop: Header=BB42_3 Depth=1
	s_load_dword s9, s[42:43], 0x0
	v_mov_b64_e32 v[94:95], 0
	v_mov_b64_e32 v[52:53], v[94:95]
	s_waitcnt lgkmcnt(0)
	s_cmp_lt_u32 s2, s9
	s_cselect_b32 s9, 12, 18
	s_add_u32 s10, s42, s9
	s_addc_u32 s11, s43, 0
	global_load_ushort v2, v5, s[10:11]
	s_waitcnt vmcnt(0)
	v_mad_u32_u24 v2, v98, v2, v1
	v_and_b32_e32 v4, 63, v2
	v_cmp_gt_u32_e32 vcc, 8, v4
	s_and_saveexec_b64 s[10:11], vcc
	s_cbranch_execz .LBB42_30
; %bb.27:                               ;   in Loop: Header=BB42_3 Depth=1
	v_lshl_add_u64 v[2:3], v[92:93], 0, v[4:5]
	v_lshl_add_u64 v[2:3], v[2:3], 0, s[48:49]
	v_mov_b64_e32 v[52:53], 0
	v_cmp_gt_i64_e32 vcc, s[24:25], v[2:3]
	v_mov_b64_e32 v[94:95], v[52:53]
	s_and_saveexec_b64 s[12:13], vcc
	s_cbranch_execz .LBB42_29
; %bb.28:                               ;   in Loop: Header=BB42_3 Depth=1
	v_lshlrev_b64 v[2:3], 3, v[2:3]
	v_lshl_add_u64 v[6:7], s[38:39], 0, v[2:3]
	v_lshl_add_u64 v[2:3], s[36:37], 0, v[2:3]
	global_load_dwordx2 v[52:53], v[2:3], off
	global_load_dwordx2 v[94:95], v[6:7], off
.LBB42_29:                              ;   in Loop: Header=BB42_3 Depth=1
	s_or_b64 exec, exec, s[12:13]
.LBB42_30:                              ;   in Loop: Header=BB42_3 Depth=1
	s_or_b64 exec, exec, s[10:11]
	s_mov_b32 s22, s8
	s_mov_b32 s23, s8
	;; [unrolled: 1-line block ×15, first 2 shown]
	v_mov_b64_e32 v[32:33], s[22:23]
	v_mov_b64_e32 v[30:31], s[20:21]
	;; [unrolled: 1-line block ×16, first 2 shown]
	s_and_saveexec_b64 s[10:11], s[6:7]
	s_cbranch_execnz .LBB42_42
; %bb.31:                               ;   in Loop: Header=BB42_3 Depth=1
	s_or_b64 exec, exec, s[10:11]
	s_and_saveexec_b64 s[10:11], s[6:7]
	s_cbranch_execnz .LBB42_43
.LBB42_32:                              ;   in Loop: Header=BB42_3 Depth=1
	s_or_b64 exec, exec, s[10:11]
	s_and_saveexec_b64 s[10:11], s[6:7]
	s_cbranch_execnz .LBB42_44
.LBB42_33:                              ;   in Loop: Header=BB42_3 Depth=1
	s_or_b64 exec, exec, s[10:11]
	s_and_saveexec_b64 s[10:11], s[6:7]
	s_cbranch_execnz .LBB42_45
.LBB42_34:                              ;   in Loop: Header=BB42_3 Depth=1
	s_or_b64 exec, exec, s[10:11]
	s_and_saveexec_b64 s[10:11], s[6:7]
	s_cbranch_execnz .LBB42_46
.LBB42_35:                              ;   in Loop: Header=BB42_3 Depth=1
	s_or_b64 exec, exec, s[10:11]
	s_and_saveexec_b64 s[10:11], s[6:7]
	s_cbranch_execnz .LBB42_47
.LBB42_36:                              ;   in Loop: Header=BB42_3 Depth=1
	s_or_b64 exec, exec, s[10:11]
	s_and_saveexec_b64 s[10:11], s[6:7]
	s_cbranch_execnz .LBB42_48
.LBB42_37:                              ;   in Loop: Header=BB42_3 Depth=1
	s_or_b64 exec, exec, s[10:11]
	s_and_saveexec_b64 s[10:11], s[6:7]
	s_cbranch_execz .LBB42_39
.LBB42_38:                              ;   in Loop: Header=BB42_3 Depth=1
	v_lshl_add_u64 v[2:3], v[58:59], 0, v[56:57]
	global_load_dwordx2 v[48:49], v[2:3], off
	v_lshl_add_u64 v[2:3], v[60:61], 0, v[56:57]
	global_load_dwordx2 v[32:33], v[2:3], off
.LBB42_39:                              ;   in Loop: Header=BB42_3 Depth=1
	s_or_b64 exec, exec, s[10:11]
	s_waitcnt vmcnt(1)
	ds_bpermute_b32 v2, v99, v52
	ds_bpermute_b32 v3, v99, v53
	s_waitcnt vmcnt(0)
	ds_bpermute_b32 v6, v99, v94
	ds_bpermute_b32 v7, v99, v95
	ds_bpermute_b32 v8, v99, v52 offset:4
	ds_bpermute_b32 v9, v99, v53 offset:4
	s_waitcnt lgkmcnt(4)
	v_add_f64 v[2:3], v[18:19], -v[2:3]
	v_mul_f64 v[2:3], v[34:35], v[2:3]
	s_waitcnt lgkmcnt(2)
	v_fmac_f64_e32 v[90:91], v[2:3], v[6:7]
	ds_bpermute_b32 v6, v99, v94 offset:4
	ds_bpermute_b32 v7, v99, v95 offset:4
	;; [unrolled: 1-line block ×4, first 2 shown]
	s_waitcnt lgkmcnt(4)
	v_add_f64 v[8:9], v[20:21], -v[8:9]
	v_mul_f64 v[8:9], v[36:37], v[8:9]
	s_waitcnt lgkmcnt(2)
	v_fmac_f64_e32 v[90:91], v[8:9], v[6:7]
	ds_bpermute_b32 v6, v99, v94 offset:8
	ds_bpermute_b32 v7, v99, v95 offset:8
	s_waitcnt lgkmcnt(2)
	v_add_f64 v[8:9], v[22:23], -v[10:11]
	ds_bpermute_b32 v10, v99, v52 offset:12
	ds_bpermute_b32 v11, v99, v53 offset:12
	v_mul_f64 v[8:9], v[38:39], v[8:9]
	s_waitcnt lgkmcnt(2)
	v_fmac_f64_e32 v[90:91], v[8:9], v[6:7]
	ds_bpermute_b32 v6, v99, v94 offset:12
	ds_bpermute_b32 v7, v99, v95 offset:12
	s_waitcnt lgkmcnt(2)
	v_add_f64 v[8:9], v[24:25], -v[10:11]
	ds_bpermute_b32 v10, v99, v52 offset:16
	ds_bpermute_b32 v11, v99, v53 offset:16
	;; [unrolled: 9-line block ×4, first 2 shown]
	v_add_f64 v[2:3], v[50:51], v[34:35]
	ds_bpermute_b32 v12, v99, v94 offset:24
	ds_bpermute_b32 v13, v99, v95 offset:24
	v_add_f64 v[2:3], v[36:37], v[2:3]
	v_add_f64 v[2:3], v[38:39], v[2:3]
	;; [unrolled: 1-line block ×3, first 2 shown]
	v_mul_f64 v[8:9], v[44:45], v[8:9]
	s_waitcnt lgkmcnt(2)
	v_add_f64 v[10:11], v[30:31], -v[10:11]
	v_add_f64 v[2:3], v[42:43], v[2:3]
	v_fmac_f64_e32 v[90:91], v[8:9], v[6:7]
	v_mul_f64 v[10:11], v[46:47], v[10:11]
	v_add_f64 v[8:9], v[44:45], v[2:3]
	s_waitcnt lgkmcnt(0)
	v_fmac_f64_e32 v[90:91], v[10:11], v[12:13]
	ds_bpermute_b32 v2, v99, v94 offset:28
	ds_bpermute_b32 v3, v99, v95 offset:28
	;; [unrolled: 1-line block ×4, first 2 shown]
	v_add_f64 v[8:9], v[46:47], v[8:9]
	v_mov_b64_e32 v[52:53], v[90:91]
.LBB42_40:                              ;   in Loop: Header=BB42_3 Depth=1
	s_waitcnt lgkmcnt(0)
	v_add_f64 v[6:7], v[32:33], -v[6:7]
	v_mul_f64 v[6:7], v[48:49], v[6:7]
	s_add_u32 s64, s64, s3
	v_fmac_f64_e32 v[52:53], v[6:7], v[2:3]
	s_addc_u32 s65, s65, 0
	v_mov_b64_e32 v[2:3], s[24:25]
	s_add_u32 s46, s46, s3
	v_cmp_lt_i64_e32 vcc, s[64:65], v[2:3]
	v_add_f64 v[50:51], v[8:9], v[48:49]
	v_lshl_add_u64 v[58:59], v[58:59], 0, s[44:45]
	v_lshl_add_u64 v[60:61], v[60:61], 0, s[44:45]
	;; [unrolled: 1-line block ×14, first 2 shown]
	s_addc_u32 s47, s47, 0
	v_lshl_add_u64 v[86:87], v[86:87], 0, s[44:45]
	v_lshl_add_u64 v[88:89], v[88:89], 0, s[44:45]
	s_cbranch_vccz .LBB42_50
; %bb.41:                               ;   in Loop: Header=BB42_3 Depth=1
	v_mov_b64_e32 v[90:91], v[52:53]
	s_branch .LBB42_3
.LBB42_42:                              ;   in Loop: Header=BB42_3 Depth=1
	v_lshl_add_u64 v[2:3], v[86:87], 0, v[56:57]
	global_load_dwordx2 v[2:3], v[2:3], off
	v_lshl_add_u64 v[6:7], v[88:89], 0, v[56:57]
	global_load_dwordx2 v[18:19], v[6:7], off
	v_mov_b32_e32 v16, v5
	v_mov_b32_e32 v17, v5
	;; [unrolled: 1-line block ×13, first 2 shown]
	s_waitcnt vmcnt(1)
	v_mov_b64_e32 v[48:49], v[16:17]
	v_mov_b32_e32 v20, v5
	v_mov_b32_e32 v21, v5
	v_mov_b32_e32 v22, v5
	v_mov_b32_e32 v23, v5
	v_mov_b32_e32 v24, v5
	v_mov_b32_e32 v25, v5
	v_mov_b32_e32 v26, v5
	v_mov_b32_e32 v27, v5
	v_mov_b32_e32 v28, v5
	v_mov_b32_e32 v29, v5
	v_mov_b32_e32 v30, v5
	v_mov_b32_e32 v31, v5
	v_mov_b32_e32 v32, v5
	v_mov_b32_e32 v33, v5
	v_mov_b64_e32 v[46:47], v[14:15]
	v_mov_b64_e32 v[44:45], v[12:13]
	;; [unrolled: 1-line block ×7, first 2 shown]
	s_or_b64 exec, exec, s[10:11]
	s_and_saveexec_b64 s[10:11], s[6:7]
	s_cbranch_execz .LBB42_32
.LBB42_43:                              ;   in Loop: Header=BB42_3 Depth=1
	v_lshl_add_u64 v[2:3], v[82:83], 0, v[56:57]
	global_load_dwordx2 v[36:37], v[2:3], off
	v_lshl_add_u64 v[2:3], v[84:85], 0, v[56:57]
	global_load_dwordx2 v[20:21], v[2:3], off
	s_or_b64 exec, exec, s[10:11]
	s_and_saveexec_b64 s[10:11], s[6:7]
	s_cbranch_execz .LBB42_33
.LBB42_44:                              ;   in Loop: Header=BB42_3 Depth=1
	v_lshl_add_u64 v[2:3], v[78:79], 0, v[56:57]
	global_load_dwordx2 v[38:39], v[2:3], off
	v_lshl_add_u64 v[2:3], v[80:81], 0, v[56:57]
	global_load_dwordx2 v[22:23], v[2:3], off
	s_or_b64 exec, exec, s[10:11]
	s_and_saveexec_b64 s[10:11], s[6:7]
	s_cbranch_execz .LBB42_34
.LBB42_45:                              ;   in Loop: Header=BB42_3 Depth=1
	v_lshl_add_u64 v[2:3], v[74:75], 0, v[56:57]
	global_load_dwordx2 v[40:41], v[2:3], off
	v_lshl_add_u64 v[2:3], v[76:77], 0, v[56:57]
	global_load_dwordx2 v[24:25], v[2:3], off
	s_or_b64 exec, exec, s[10:11]
	s_and_saveexec_b64 s[10:11], s[6:7]
	s_cbranch_execz .LBB42_35
.LBB42_46:                              ;   in Loop: Header=BB42_3 Depth=1
	v_lshl_add_u64 v[2:3], v[70:71], 0, v[56:57]
	global_load_dwordx2 v[42:43], v[2:3], off
	v_lshl_add_u64 v[2:3], v[72:73], 0, v[56:57]
	global_load_dwordx2 v[26:27], v[2:3], off
	s_or_b64 exec, exec, s[10:11]
	s_and_saveexec_b64 s[10:11], s[6:7]
	s_cbranch_execz .LBB42_36
.LBB42_47:                              ;   in Loop: Header=BB42_3 Depth=1
	v_lshl_add_u64 v[2:3], v[66:67], 0, v[56:57]
	global_load_dwordx2 v[44:45], v[2:3], off
	v_lshl_add_u64 v[2:3], v[68:69], 0, v[56:57]
	global_load_dwordx2 v[28:29], v[2:3], off
	s_or_b64 exec, exec, s[10:11]
	s_and_saveexec_b64 s[10:11], s[6:7]
	s_cbranch_execz .LBB42_37
.LBB42_48:                              ;   in Loop: Header=BB42_3 Depth=1
	v_lshl_add_u64 v[2:3], v[62:63], 0, v[56:57]
	global_load_dwordx2 v[46:47], v[2:3], off
	v_lshl_add_u64 v[2:3], v[64:65], 0, v[56:57]
	global_load_dwordx2 v[30:31], v[2:3], off
	s_or_b64 exec, exec, s[10:11]
	s_and_saveexec_b64 s[10:11], s[6:7]
	s_cbranch_execnz .LBB42_38
	s_branch .LBB42_39
.LBB42_49:
	s_mov_b64 s[40:41], -1
                                        ; implicit-def: $vgpr50_vgpr51
                                        ; implicit-def: $vgpr52_vgpr53
.LBB42_50:
	s_andn2_b64 vcc, exec, s[40:41]
	s_cbranch_vccnz .LBB42_82
; %bb.51:
	v_mov_b64_e32 v[50:51], 0
	s_and_b64 vcc, exec, s[4:5]
	v_mov_b64_e32 v[52:53], v[50:51]
	s_cbranch_vccnz .LBB42_82
; %bb.52:
	v_and_b32_e32 v1, 0x3ff, v0
	v_add_u32_e32 v4, s33, v1
	v_mov_b32_e32 v5, 0
	v_bfe_u32 v112, v0, 10, 10
	v_lshlrev_b64 v[40:41], 3, v[4:5]
	v_lshlrev_b32_e32 v4, 6, v112
	v_lshl_add_u64 v[2:3], s[34:35], 3, v[4:5]
	v_lshl_add_u64 v[6:7], v[2:3], 0, 8
	v_mov_b64_e32 v[8:9], s[28:29]
	v_mov_b64_e32 v[18:19], s[30:31]
	v_mad_u64_u32 v[42:43], s[4:5], s26, v6, v[8:9]
	v_mul_lo_u32 v4, s26, v7
	v_mul_lo_u32 v7, s27, v6
	v_mad_u64_u32 v[56:57], s[4:5], s26, v6, v[18:19]
	v_lshlrev_b32_e32 v38, 3, v112
	v_mov_b32_e32 v39, v5
	v_add3_u32 v43, v7, v43, v4
	v_lshl_add_u64 v[10:11], v[2:3], 0, 16
	v_lshl_add_u64 v[12:13], v[2:3], 0, 24
	;; [unrolled: 1-line block ×4, first 2 shown]
	v_add3_u32 v57, v7, v57, v4
	v_lshl_add_u64 v[6:7], v[2:3], 0, 48
	v_lshl_add_u64 v[2:3], v[2:3], 0, 56
	v_mad_u64_u32 v[44:45], s[4:5], s26, v10, v[8:9]
	v_mul_lo_u32 v20, s27, v10
	v_mad_u64_u32 v[46:47], s[4:5], s26, v12, v[8:9]
	v_mad_u64_u32 v[48:49], s[4:5], s26, v14, v[8:9]
	;; [unrolled: 1-line block ×6, first 2 shown]
	v_mul_lo_u32 v3, s26, v3
	v_mul_lo_u32 v10, s27, v2
	v_lshl_add_u64 v[8:9], v[38:39], 0, s[34:35]
	v_mad_u64_u32 v[72:73], s[4:5], s26, v2, v[18:19]
	v_mul_lo_u32 v4, s26, v7
	v_mul_lo_u32 v7, s27, v6
	v_add3_u32 v65, v10, v65, v3
	v_mad_u64_u32 v[70:71], s[4:5], s26, v6, v[18:19]
	v_add3_u32 v73, v10, v73, v3
	v_lshl_add_u64 v[2:3], v[8:9], 0, 7
	v_add3_u32 v61, v7, v61, v4
	v_add3_u32 v71, v7, v71, v4
	v_mul_lo_u32 v4, s27, v2
	v_mul_lo_u32 v6, s26, v3
	v_mad_u64_u32 v[2:3], s[4:5], s26, v2, 0
	v_add3_u32 v3, v3, v6, v4
	v_lshl_add_u64 v[6:7], v[8:9], 0, 6
	v_mul_lo_u32 v11, s26, v11
	v_mul_lo_u32 v4, s27, v6
	;; [unrolled: 1-line block ×3, first 2 shown]
	v_mad_u64_u32 v[6:7], s[4:5], s26, v6, 0
	v_add3_u32 v45, v20, v45, v11
	v_add3_u32 v59, v20, v59, v11
	v_add3_u32 v7, v7, v10, v4
	v_lshl_add_u64 v[10:11], v[8:9], 0, 5
	v_mul_lo_u32 v13, s26, v13
	v_mul_lo_u32 v21, s27, v12
	v_mad_u64_u32 v[62:63], s[4:5], s26, v12, v[18:19]
	v_mul_lo_u32 v4, s27, v10
	v_mul_lo_u32 v12, s26, v11
	v_mad_u64_u32 v[10:11], s[4:5], s26, v10, 0
	v_add3_u32 v47, v21, v47, v13
	v_add3_u32 v63, v21, v63, v13
	v_add3_u32 v11, v11, v12, v4
	v_lshl_add_u64 v[12:13], v[8:9], 0, 4
	v_mul_lo_u32 v15, s26, v15
	v_mul_lo_u32 v22, s27, v14
	v_mad_u64_u32 v[66:67], s[4:5], s26, v14, v[18:19]
	v_mul_lo_u32 v4, s27, v12
	v_mul_lo_u32 v14, s26, v13
	;; [unrolled: 10-line block ×3, first 2 shown]
	v_mad_u64_u32 v[14:15], s[4:5], s26, v14, 0
	v_lshlrev_b64 v[2:3], 3, v[2:3]
	v_add3_u32 v55, v23, v55, v17
	v_add3_u32 v69, v23, v69, v17
	;; [unrolled: 1-line block ×3, first 2 shown]
	v_lshl_add_u64 v[16:17], v[8:9], 0, 2
	v_lshl_add_u64 v[78:79], s[28:29], 0, v[2:3]
	;; [unrolled: 1-line block ×3, first 2 shown]
	v_lshlrev_b64 v[2:3], 3, v[6:7]
	v_mul_lo_u32 v4, s27, v16
	v_mul_lo_u32 v18, s26, v17
	v_mad_u64_u32 v[16:17], s[4:5], s26, v16, 0
	s_load_dword s3, s[0:1], 0x44
	v_lshl_add_u64 v[82:83], s[28:29], 0, v[2:3]
	v_lshl_add_u64 v[84:85], s[30:31], 0, v[2:3]
	v_lshlrev_b64 v[2:3], 3, v[10:11]
	v_add3_u32 v17, v17, v18, v4
	v_mov_b64_e32 v[18:19], s[26:27]
	v_lshl_add_u64 v[86:87], s[28:29], 0, v[2:3]
	v_lshl_add_u64 v[88:89], s[30:31], 0, v[2:3]
	v_lshlrev_b64 v[2:3], 3, v[12:13]
	v_mad_u64_u32 v[18:19], s[4:5], s26, v8, v[18:19]
	v_mul_lo_u32 v4, s27, v8
	v_mul_lo_u32 v20, s26, v9
	v_lshl_add_u64 v[90:91], s[28:29], 0, v[2:3]
	v_lshl_add_u64 v[92:93], s[30:31], 0, v[2:3]
	v_lshlrev_b64 v[2:3], 3, v[14:15]
	v_add3_u32 v19, v4, v19, v20
	v_lshl_add_u64 v[94:95], s[28:29], 0, v[2:3]
	v_lshl_add_u64 v[96:97], s[30:31], 0, v[2:3]
	v_lshlrev_b64 v[2:3], 3, v[16:17]
	v_mad_u64_u32 v[8:9], s[4:5], s26, v8, 0
	s_add_u32 s20, s0, 64
	v_lshl_add_u64 v[98:99], s[28:29], 0, v[2:3]
	v_lshl_add_u64 v[100:101], s[30:31], 0, v[2:3]
	v_lshlrev_b64 v[2:3], 3, v[18:19]
	v_add3_u32 v9, v9, v20, v4
	s_addc_u32 s21, s1, 0
	s_waitcnt lgkmcnt(0)
	s_lshl_b32 s3, s3, 6
	v_lshl_add_u64 v[102:103], s[28:29], 0, v[2:3]
	v_lshl_add_u64 v[104:105], s[30:31], 0, v[2:3]
	v_mbcnt_lo_u32_b32 v2, -1, 0
	s_add_u32 s22, s34, 63
	s_mul_i32 s5, s27, s3
	s_mul_hi_u32 s6, s26, s3
	v_lshlrev_b64 v[8:9], 3, v[8:9]
	v_mbcnt_hi_u32_b32 v2, -1, v2
	s_addc_u32 s23, 0, 0
	s_add_i32 s7, s6, s5
	s_mul_i32 s6, s26, s3
	v_lshl_add_u64 v[74:75], s[28:29], 0, v[8:9]
	v_lshl_add_u64 v[76:77], s[30:31], 0, v[8:9]
	s_movk_i32 s28, 0xffc1
	s_movk_i32 s30, 0xffc2
	;; [unrolled: 1-line block ×8, first 2 shown]
	v_lshlrev_b32_e32 v2, 2, v2
	v_mov_b64_e32 v[52:53], 0
	s_mov_b32 s4, 0
	s_lshl_b64 s[40:41], s[6:7], 3
	s_mov_b32 s29, -1
	s_mov_b32 s31, -1
	s_mov_b32 s43, -1
	s_mov_b32 s45, -1
	s_mov_b32 s47, -1
	s_mov_b32 s49, -1
	s_mov_b32 s51, -1
	s_mov_b32 s53, -1
	v_and_b32_e32 v113, 0x100, v2
	v_mov_b64_e32 v[50:51], v[52:53]
	s_branch .LBB42_56
.LBB42_53:                              ;   in Loop: Header=BB42_56 Depth=1
	s_or_b64 exec, exec, s[8:9]
.LBB42_54:                              ;   in Loop: Header=BB42_56 Depth=1
	s_or_b64 exec, exec, s[6:7]
	v_lshl_add_u64 v[12:13], v[58:59], 0, v[40:41]
	global_load_dwordx2 v[12:13], v[12:13], off
	v_lshl_add_u64 v[14:15], v[62:63], 0, v[40:41]
	global_load_dwordx2 v[14:15], v[14:15], off
	;; [unrolled: 2-line block ×3, first 2 shown]
	v_lshl_add_u64 v[10:11], v[56:57], 0, v[40:41]
	v_lshl_add_u64 v[18:19], v[74:75], 0, v[40:41]
	global_load_dwordx2 v[10:11], v[10:11], off
	v_lshl_add_u64 v[16:17], v[66:67], 0, v[40:41]
	global_load_dwordx2 v[18:19], v[18:19], off
	;; [unrolled: 2-line block ×4, first 2 shown]
	global_load_dwordx2 v[26:27], v[22:23], off
	s_waitcnt vmcnt(9)
	ds_bpermute_b32 v106, v113, v6 offset:8
	ds_bpermute_b32 v107, v113, v7 offset:8
	;; [unrolled: 1-line block ×4, first 2 shown]
	ds_bpermute_b32 v34, v113, v6
	ds_bpermute_b32 v35, v113, v7
	ds_bpermute_b32 v36, v113, v6 offset:4
	ds_bpermute_b32 v37, v113, v7 offset:4
	v_lshl_add_u64 v[20:21], v[46:47], 0, v[40:41]
	ds_bpermute_b32 v110, v113, v6 offset:16
	ds_bpermute_b32 v111, v113, v7 offset:16
	global_load_dwordx2 v[120:121], v[20:21], off
	s_waitcnt vmcnt(9)
	ds_bpermute_b32 v20, v113, v2 offset:8
	ds_bpermute_b32 v21, v113, v3 offset:8
	v_lshl_add_u64 v[30:31], v[68:69], 0, v[40:41]
	ds_bpermute_b32 v114, v113, v6 offset:20
	ds_bpermute_b32 v115, v113, v7 offset:20
	;; [unrolled: 1-line block ×6, first 2 shown]
	v_lshl_add_u64 v[6:7], v[70:71], 0, v[40:41]
	global_load_dwordx2 v[30:31], v[30:31], off
	v_lshl_add_u64 v[22:23], v[48:49], 0, v[40:41]
	global_load_dwordx2 v[6:7], v[6:7], off
	v_lshl_add_u64 v[28:29], v[54:55], 0, v[40:41]
	v_lshl_add_u64 v[32:33], v[60:61], 0, v[40:41]
	s_waitcnt vmcnt(10) lgkmcnt(14)
	v_add_f64 v[12:13], v[12:13], -v[106:107]
	ds_bpermute_b32 v106, v113, v2
	ds_bpermute_b32 v107, v113, v3
	s_waitcnt vmcnt(9)
	v_add_f64 v[14:15], v[14:15], -v[108:109]
	ds_bpermute_b32 v108, v113, v2 offset:4
	ds_bpermute_b32 v109, v113, v3 offset:4
	s_waitcnt vmcnt(8) lgkmcnt(14)
	v_add_f64 v[8:9], v[8:9], -v[34:35]
	s_waitcnt vmcnt(7)
	v_add_f64 v[10:11], v[10:11], -v[36:37]
	v_lshl_add_u64 v[36:37], v[72:73], 0, v[40:41]
	s_waitcnt vmcnt(6)
	v_mul_f64 v[8:9], v[18:19], v[8:9]
	s_waitcnt lgkmcnt(2)
	v_fmac_f64_e32 v[52:53], v[8:9], v[106:107]
	v_lshl_add_u64 v[34:35], v[64:65], 0, v[40:41]
	s_waitcnt vmcnt(4)
	v_mul_f64 v[10:11], v[24:25], v[10:11]
	v_add_f64 v[16:17], v[16:17], -v[110:111]
	global_load_dwordx2 v[110:111], v[22:23], off
	global_load_dwordx2 v[122:123], v[28:29], off
	;; [unrolled: 1-line block ×3, first 2 shown]
	s_waitcnt vmcnt(6)
	v_mul_f64 v[12:13], v[26:27], v[12:13]
	global_load_dwordx2 v[22:23], v[36:37], off
	s_waitcnt lgkmcnt(0)
	v_fmac_f64_e32 v[52:53], v[10:11], v[108:109]
	v_fmac_f64_e32 v[52:53], v[12:13], v[20:21]
	global_load_dwordx2 v[20:21], v[34:35], off
	ds_bpermute_b32 v10, v113, v2 offset:12
	ds_bpermute_b32 v11, v113, v3 offset:12
	v_add_f64 v[28:29], v[50:51], v[18:19]
	ds_bpermute_b32 v12, v113, v2 offset:16
	ds_bpermute_b32 v13, v113, v3 offset:16
	v_add_f64 v[18:19], v[28:29], v[24:25]
	;; [unrolled: 3-line block ×3, first 2 shown]
	ds_bpermute_b32 v26, v113, v2 offset:24
	ds_bpermute_b32 v27, v113, v3 offset:24
	s_waitcnt vmcnt(7)
	v_mul_f64 v[14:15], v[120:121], v[14:15]
	ds_bpermute_b32 v2, v113, v2 offset:28
	ds_bpermute_b32 v3, v113, v3 offset:28
	s_waitcnt lgkmcnt(8)
	v_fmac_f64_e32 v[52:53], v[14:15], v[10:11]
	v_add_f64 v[18:19], v[18:19], v[120:121]
	s_waitcnt vmcnt(6)
	v_add_f64 v[8:9], v[30:31], -v[114:115]
	s_waitcnt vmcnt(5)
	v_add_f64 v[6:7], v[6:7], -v[116:117]
	s_waitcnt vmcnt(4)
	v_mul_f64 v[16:17], v[110:111], v[16:17]
	s_waitcnt vmcnt(3)
	v_mul_f64 v[8:9], v[122:123], v[8:9]
	s_waitcnt lgkmcnt(6)
	v_fmac_f64_e32 v[52:53], v[16:17], v[12:13]
	s_waitcnt vmcnt(2)
	v_mul_f64 v[6:7], v[124:125], v[6:7]
	v_add_f64 v[18:19], v[18:19], v[110:111]
	s_waitcnt lgkmcnt(4)
	v_fmac_f64_e32 v[52:53], v[8:9], v[24:25]
	s_waitcnt vmcnt(1)
	v_add_f64 v[8:9], v[22:23], -v[118:119]
	v_add_f64 v[10:11], v[18:19], v[122:123]
	s_waitcnt lgkmcnt(2)
	v_fmac_f64_e32 v[52:53], v[6:7], v[26:27]
	s_waitcnt vmcnt(0)
	v_mul_f64 v[8:9], v[20:21], v[8:9]
	v_add_f64 v[6:7], v[10:11], v[124:125]
	s_waitcnt lgkmcnt(0)
	v_mul_f64 v[8:9], v[8:9], v[2:3]
	v_mov_b64_e32 v[2:3], v[52:53]
.LBB42_55:                              ;   in Loop: Header=BB42_56 Depth=1
	s_add_u32 s34, s34, s3
	v_add_f64 v[52:53], v[2:3], v[8:9]
	s_addc_u32 s35, s35, 0
	v_mov_b64_e32 v[2:3], s[24:25]
	s_add_u32 s22, s22, s3
	v_cmp_ge_i64_e32 vcc, s[34:35], v[2:3]
	v_add_f64 v[50:51], v[6:7], v[20:21]
	s_addc_u32 s23, s23, 0
	v_lshl_add_u64 v[42:43], v[42:43], 0, s[40:41]
	v_lshl_add_u64 v[44:45], v[44:45], 0, s[40:41]
	v_lshl_add_u64 v[46:47], v[46:47], 0, s[40:41]
	v_lshl_add_u64 v[48:49], v[48:49], 0, s[40:41]
	v_lshl_add_u64 v[54:55], v[54:55], 0, s[40:41]
	v_lshl_add_u64 v[60:61], v[60:61], 0, s[40:41]
	v_lshl_add_u64 v[64:65], v[64:65], 0, s[40:41]
	v_lshl_add_u64 v[74:75], v[74:75], 0, s[40:41]
	v_lshl_add_u64 v[56:57], v[56:57], 0, s[40:41]
	v_lshl_add_u64 v[58:59], v[58:59], 0, s[40:41]
	v_lshl_add_u64 v[62:63], v[62:63], 0, s[40:41]
	v_lshl_add_u64 v[66:67], v[66:67], 0, s[40:41]
	v_lshl_add_u64 v[68:69], v[68:69], 0, s[40:41]
	v_lshl_add_u64 v[70:71], v[70:71], 0, s[40:41]
	v_lshl_add_u64 v[72:73], v[72:73], 0, s[40:41]
	v_lshl_add_u64 v[76:77], v[76:77], 0, s[40:41]
	v_lshl_add_u64 v[78:79], v[78:79], 0, s[40:41]
	v_lshl_add_u64 v[80:81], v[80:81], 0, s[40:41]
	v_lshl_add_u64 v[82:83], v[82:83], 0, s[40:41]
	v_lshl_add_u64 v[84:85], v[84:85], 0, s[40:41]
	v_lshl_add_u64 v[86:87], v[86:87], 0, s[40:41]
	v_lshl_add_u64 v[88:89], v[88:89], 0, s[40:41]
	v_lshl_add_u64 v[90:91], v[90:91], 0, s[40:41]
	v_lshl_add_u64 v[92:93], v[92:93], 0, s[40:41]
	v_lshl_add_u64 v[94:95], v[94:95], 0, s[40:41]
	v_lshl_add_u64 v[96:97], v[96:97], 0, s[40:41]
	v_lshl_add_u64 v[98:99], v[98:99], 0, s[40:41]
	v_lshl_add_u64 v[100:101], v[100:101], 0, s[40:41]
	v_lshl_add_u64 v[102:103], v[102:103], 0, s[40:41]
	v_lshl_add_u64 v[104:105], v[104:105], 0, s[40:41]
	s_cbranch_vccnz .LBB42_82
.LBB42_56:                              ; =>This Inner Loop Header: Depth=1
	v_mov_b64_e32 v[2:3], s[24:25]
	v_cmp_ge_i64_e32 vcc, s[22:23], v[2:3]
	v_lshl_add_u64 v[106:107], v[38:39], 0, s[22:23]
	s_cbranch_vccz .LBB42_78
; %bb.57:                               ;   in Loop: Header=BB42_56 Depth=1
	s_load_dword s5, s[20:21], 0xc
	v_mov_b64_e32 v[108:109], 0
	v_mov_b64_e32 v[110:111], v[108:109]
	s_waitcnt lgkmcnt(0)
	s_and_b32 s5, s5, 0xffff
	v_mad_u32_u24 v2, v112, s5, v1
	v_and_b32_e32 v4, 63, v2
	v_cmp_gt_u32_e32 vcc, 8, v4
	s_and_saveexec_b64 s[6:7], vcc
	s_cbranch_execz .LBB42_61
; %bb.58:                               ;   in Loop: Header=BB42_56 Depth=1
	v_lshl_add_u64 v[2:3], v[106:107], 0, v[4:5]
	v_lshl_add_u64 v[2:3], v[2:3], 0, s[28:29]
	v_mov_b64_e32 v[110:111], 0
	v_cmp_gt_i64_e32 vcc, s[24:25], v[2:3]
	v_mov_b64_e32 v[108:109], v[110:111]
	s_and_saveexec_b64 s[8:9], vcc
	s_cbranch_execz .LBB42_60
; %bb.59:                               ;   in Loop: Header=BB42_56 Depth=1
	v_lshlrev_b64 v[2:3], 3, v[2:3]
	v_lshl_add_u64 v[6:7], s[38:39], 0, v[2:3]
	v_lshl_add_u64 v[2:3], s[36:37], 0, v[2:3]
	global_load_dwordx2 v[110:111], v[2:3], off
	global_load_dwordx2 v[108:109], v[6:7], off
.LBB42_60:                              ;   in Loop: Header=BB42_56 Depth=1
	s_or_b64 exec, exec, s[8:9]
.LBB42_61:                              ;   in Loop: Header=BB42_56 Depth=1
	s_or_b64 exec, exec, s[6:7]
	s_mov_b32 s18, s4
	s_mov_b32 s19, s4
	;; [unrolled: 1-line block ×15, first 2 shown]
	v_mov_b64_e32 v[36:37], s[18:19]
	v_mov_b64_e32 v[22:23], s[4:5]
	v_lshl_add_u64 v[2:3], v[106:107], 0, s[28:29]
	v_mov_b64_e32 v[34:35], s[16:17]
	v_mov_b64_e32 v[32:33], s[14:15]
	v_mov_b64_e32 v[30:31], s[12:13]
	v_mov_b64_e32 v[28:29], s[10:11]
	v_mov_b64_e32 v[26:27], s[8:9]
	v_mov_b64_e32 v[24:25], s[6:7]
	v_mov_b64_e32 v[6:7], v[22:23]
	v_cmp_gt_i64_e32 vcc, s[24:25], v[2:3]
	v_mov_b64_e32 v[8:9], v[24:25]
	v_mov_b64_e32 v[10:11], v[26:27]
	;; [unrolled: 1-line block ×7, first 2 shown]
	s_and_saveexec_b64 s[6:7], vcc
	s_cbranch_execz .LBB42_63
; %bb.62:                               ;   in Loop: Header=BB42_56 Depth=1
	v_lshl_add_u64 v[2:3], v[74:75], 0, v[40:41]
	global_load_dwordx2 v[2:3], v[2:3], off
	v_lshl_add_u64 v[6:7], v[76:77], 0, v[40:41]
	global_load_dwordx2 v[22:23], v[6:7], off
	v_mov_b32_e32 v6, v5
	v_mov_b32_e32 v7, v5
	;; [unrolled: 1-line block ×13, first 2 shown]
	s_waitcnt vmcnt(1)
	v_mov_b64_e32 v[20:21], v[16:17]
	v_mov_b32_e32 v24, v5
	v_mov_b32_e32 v25, v5
	;; [unrolled: 1-line block ×14, first 2 shown]
	v_mov_b64_e32 v[18:19], v[14:15]
	v_mov_b64_e32 v[16:17], v[12:13]
	v_mov_b64_e32 v[14:15], v[10:11]
	v_mov_b64_e32 v[12:13], v[8:9]
	v_mov_b64_e32 v[10:11], v[6:7]
	v_mov_b64_e32 v[8:9], v[4:5]
	v_mov_b64_e32 v[6:7], v[2:3]
.LBB42_63:                              ;   in Loop: Header=BB42_56 Depth=1
	s_or_b64 exec, exec, s[6:7]
	v_lshl_add_u64 v[2:3], v[106:107], 0, s[30:31]
	v_cmp_gt_i64_e32 vcc, s[24:25], v[2:3]
	s_and_saveexec_b64 s[6:7], vcc
	s_cbranch_execz .LBB42_65
; %bb.64:                               ;   in Loop: Header=BB42_56 Depth=1
	v_lshl_add_u64 v[2:3], v[102:103], 0, v[40:41]
	global_load_dwordx2 v[8:9], v[2:3], off
	v_lshl_add_u64 v[2:3], v[104:105], 0, v[40:41]
	global_load_dwordx2 v[24:25], v[2:3], off
.LBB42_65:                              ;   in Loop: Header=BB42_56 Depth=1
	s_or_b64 exec, exec, s[6:7]
	v_lshl_add_u64 v[2:3], v[106:107], 0, s[42:43]
	v_cmp_gt_i64_e32 vcc, s[24:25], v[2:3]
	s_and_saveexec_b64 s[6:7], vcc
	s_cbranch_execz .LBB42_67
; %bb.66:                               ;   in Loop: Header=BB42_56 Depth=1
	v_lshl_add_u64 v[2:3], v[98:99], 0, v[40:41]
	global_load_dwordx2 v[10:11], v[2:3], off
	v_lshl_add_u64 v[2:3], v[100:101], 0, v[40:41]
	global_load_dwordx2 v[26:27], v[2:3], off
.LBB42_67:                              ;   in Loop: Header=BB42_56 Depth=1
	;; [unrolled: 11-line block ×7, first 2 shown]
	s_or_b64 exec, exec, s[6:7]
	s_waitcnt vmcnt(1)
	ds_bpermute_b32 v2, v113, v110
	ds_bpermute_b32 v3, v113, v111
	s_waitcnt vmcnt(0)
	ds_bpermute_b32 v114, v113, v108
	ds_bpermute_b32 v115, v113, v109
	ds_bpermute_b32 v116, v113, v110 offset:4
	ds_bpermute_b32 v117, v113, v111 offset:4
	s_waitcnt lgkmcnt(4)
	v_add_f64 v[2:3], v[22:23], -v[2:3]
	v_mul_f64 v[2:3], v[6:7], v[2:3]
	s_waitcnt lgkmcnt(2)
	v_fma_f64 v[2:3], v[2:3], v[114:115], v[52:53]
	ds_bpermute_b32 v22, v113, v108 offset:4
	ds_bpermute_b32 v23, v113, v109 offset:4
	;; [unrolled: 1-line block ×4, first 2 shown]
	v_add_f64 v[6:7], v[50:51], v[6:7]
	s_waitcnt lgkmcnt(4)
	v_add_f64 v[24:25], v[24:25], -v[116:117]
	v_mul_f64 v[24:25], v[8:9], v[24:25]
	v_add_f64 v[6:7], v[8:9], v[6:7]
	ds_bpermute_b32 v8, v113, v108 offset:8
	ds_bpermute_b32 v9, v113, v109 offset:8
	s_waitcnt lgkmcnt(4)
	v_fmac_f64_e32 v[2:3], v[24:25], v[22:23]
	s_waitcnt lgkmcnt(2)
	v_add_f64 v[22:23], v[26:27], -v[114:115]
	ds_bpermute_b32 v24, v113, v110 offset:12
	ds_bpermute_b32 v25, v113, v111 offset:12
	v_mul_f64 v[22:23], v[10:11], v[22:23]
	s_waitcnt lgkmcnt(2)
	v_fmac_f64_e32 v[2:3], v[22:23], v[8:9]
	ds_bpermute_b32 v8, v113, v108 offset:12
	ds_bpermute_b32 v9, v113, v109 offset:12
	v_add_f64 v[6:7], v[10:11], v[6:7]
	s_waitcnt lgkmcnt(2)
	v_add_f64 v[10:11], v[28:29], -v[24:25]
	ds_bpermute_b32 v22, v113, v110 offset:16
	ds_bpermute_b32 v23, v113, v111 offset:16
	v_mul_f64 v[10:11], v[12:13], v[10:11]
	s_waitcnt lgkmcnt(2)
	v_fmac_f64_e32 v[2:3], v[10:11], v[8:9]
	v_add_f64 v[6:7], v[12:13], v[6:7]
	ds_bpermute_b32 v8, v113, v108 offset:16
	ds_bpermute_b32 v9, v113, v109 offset:16
	;; [unrolled: 1-line block ×4, first 2 shown]
	s_waitcnt lgkmcnt(4)
	v_add_f64 v[10:11], v[30:31], -v[22:23]
	v_mul_f64 v[10:11], v[14:15], v[10:11]
	s_waitcnt lgkmcnt(2)
	v_fmac_f64_e32 v[2:3], v[10:11], v[8:9]
	ds_bpermute_b32 v8, v113, v108 offset:20
	ds_bpermute_b32 v9, v113, v109 offset:20
	s_waitcnt lgkmcnt(2)
	v_add_f64 v[10:11], v[32:33], -v[12:13]
	ds_bpermute_b32 v12, v113, v110 offset:24
	ds_bpermute_b32 v13, v113, v111 offset:24
	v_mul_f64 v[10:11], v[16:17], v[10:11]
	s_waitcnt lgkmcnt(2)
	v_fmac_f64_e32 v[2:3], v[10:11], v[8:9]
	ds_bpermute_b32 v8, v113, v108 offset:24
	ds_bpermute_b32 v9, v113, v109 offset:24
	s_waitcnt lgkmcnt(2)
	v_add_f64 v[10:11], v[34:35], -v[12:13]
	ds_bpermute_b32 v12, v113, v110 offset:28
	ds_bpermute_b32 v13, v113, v111 offset:28
	v_add_f64 v[6:7], v[14:15], v[6:7]
	ds_bpermute_b32 v14, v113, v108 offset:28
	ds_bpermute_b32 v15, v113, v109 offset:28
	v_mul_f64 v[10:11], v[18:19], v[10:11]
	s_waitcnt lgkmcnt(4)
	v_fmac_f64_e32 v[2:3], v[10:11], v[8:9]
	s_waitcnt lgkmcnt(2)
	v_add_f64 v[8:9], v[36:37], -v[12:13]
	v_add_f64 v[6:7], v[16:17], v[6:7]
	v_mul_f64 v[8:9], v[20:21], v[8:9]
	v_add_f64 v[6:7], v[18:19], v[6:7]
	s_waitcnt lgkmcnt(0)
	v_mul_f64 v[8:9], v[8:9], v[14:15]
	s_branch .LBB42_55
.LBB42_78:                              ;   in Loop: Header=BB42_56 Depth=1
                                        ; implicit-def: $vgpr20_vgpr21
                                        ; implicit-def: $vgpr8_vgpr9
                                        ; implicit-def: $vgpr6_vgpr7
                                        ; implicit-def: $vgpr2_vgpr3
	s_cbranch_execz .LBB42_55
; %bb.79:                               ;   in Loop: Header=BB42_56 Depth=1
	s_load_dword s5, s[20:21], 0x0
	v_mov_b64_e32 v[2:3], 0
	v_mov_b64_e32 v[6:7], v[2:3]
	s_waitcnt lgkmcnt(0)
	s_cmp_lt_u32 s2, s5
	s_cselect_b32 s5, 12, 18
	s_add_u32 s6, s20, s5
	s_addc_u32 s7, s21, 0
	global_load_ushort v4, v5, s[6:7]
	s_waitcnt vmcnt(0)
	v_mad_u32_u24 v4, v112, v4, v1
	v_and_b32_e32 v4, 63, v4
	v_cmp_gt_u32_e32 vcc, 8, v4
	s_and_saveexec_b64 s[6:7], vcc
	s_cbranch_execz .LBB42_54
; %bb.80:                               ;   in Loop: Header=BB42_56 Depth=1
	v_lshl_add_u64 v[2:3], v[106:107], 0, v[4:5]
	v_lshl_add_u64 v[8:9], v[2:3], 0, s[28:29]
	v_mov_b64_e32 v[6:7], 0
	v_cmp_gt_i64_e32 vcc, s[24:25], v[8:9]
	v_mov_b64_e32 v[2:3], v[6:7]
	s_and_saveexec_b64 s[8:9], vcc
	s_cbranch_execz .LBB42_53
; %bb.81:                               ;   in Loop: Header=BB42_56 Depth=1
	v_lshlrev_b64 v[2:3], 3, v[8:9]
	v_lshl_add_u64 v[10:11], s[36:37], 0, v[2:3]
	v_lshl_add_u64 v[8:9], s[38:39], 0, v[2:3]
	global_load_dwordx2 v[6:7], v[10:11], off
	global_load_dwordx2 v[2:3], v[8:9], off
	s_branch .LBB42_53
.LBB42_82:
	v_and_b32_e32 v2, 0x3ff, v0
	v_bfe_u32 v0, v0, 10, 10
	v_mad_u32_u24 v1, v0, 33, v2
	v_lshl_add_u32 v3, v1, 3, 0
	v_sub_u32_e32 v1, v1, v0
	s_movk_i32 s4, 0x800
	s_mov_b32 s3, 0
	v_cmp_gt_u32_e32 vcc, s4, v1
	ds_write_b64 v3, v[52:53]
	ds_write_b64 v3, v[50:51] offset:2112
	s_waitcnt lgkmcnt(0)
	s_barrier
	s_and_saveexec_b64 s[4:5], vcc
	s_cbranch_execz .LBB42_92
; %bb.83:
	v_mbcnt_lo_u32_b32 v3, -1, 0
	v_mbcnt_hi_u32_b32 v3, -1, v3
	v_and_b32_e32 v4, 64, v3
	v_add_u32_e32 v4, 64, v4
	v_cmp_eq_u32_e64 s[4:5], 0, v2
	v_xor_b32_e32 v2, 4, v3
	v_cmp_lt_i32_e32 vcc, v2, v4
	s_load_dwordx4 s[16:19], s[0:1], 0x30
	s_lshl_b64 s[6:7], s[2:3], 5
	v_cndmask_b32_e32 v2, v3, v2, vcc
	v_lshlrev_b32_e32 v10, 2, v2
	v_xor_b32_e32 v2, 2, v3
	v_cmp_lt_i32_e32 vcc, v2, v4
	s_waitcnt lgkmcnt(0)
	s_cmp_lg_u64 s[16:17], 0
	v_lshrrev_b32_e32 v0, 6, v1
	v_cndmask_b32_e32 v2, v3, v2, vcc
	v_lshlrev_b32_e32 v11, 2, v2
	v_xor_b32_e32 v2, 1, v3
	v_cmp_lt_i32_e32 vcc, v2, v4
	v_and_b32_e32 v6, 63, v1
	v_mov_b32_e32 v1, 0
	s_cselect_b64 s[10:11], -1, 0
	s_cmp_lg_u64 s[18:19], 0
	v_cndmask_b32_e32 v2, v3, v2, vcc
	s_cselect_b64 s[12:13], -1, 0
	v_lshlrev_b32_e32 v12, 2, v2
	s_lshl_b64 s[2:3], s[2:3], 8
	v_lshlrev_b32_e32 v2, 3, v0
	v_mov_b32_e32 v3, v1
	v_cmp_gt_u32_e64 s[0:1], 8, v6
	v_lshl_add_u64 v[4:5], s[2:3], 0, v[2:3]
	v_mad_u32_u24 v6, v6, 33, v0
	s_mov_b64 s[8:9], 0
	v_lshl_add_u64 v[2:3], s[18:19], 0, v[4:5]
	v_lshl_add_u64 v[4:5], s[16:17], 0, v[4:5]
	v_lshl_add_u32 v13, v6, 3, 0
                                        ; implicit-def: $vgpr6_vgpr7
                                        ; implicit-def: $vgpr8_vgpr9
	s_branch .LBB42_85
.LBB42_84:                              ;   in Loop: Header=BB42_85 Depth=1
	s_or_b64 exec, exec, s[2:3]
	v_lshl_add_u64 v[0:1], v[0:1], 0, 4
	v_add_u32_e32 v14, -4, v0
	v_cmp_lt_u32_e32 vcc, 27, v14
	v_lshl_add_u64 v[2:3], v[2:3], 0, 32
	v_lshl_add_u64 v[4:5], v[4:5], 0, 32
	s_or_b64 s[8:9], vcc, s[8:9]
	v_add_u32_e32 v13, 32, v13
	s_andn2_b64 exec, exec, s[8:9]
	s_cbranch_execz .LBB42_92
.LBB42_85:                              ; =>This Inner Loop Header: Depth=1
	s_and_saveexec_b64 s[2:3], s[0:1]
	s_cbranch_execz .LBB42_87
; %bb.86:                               ;   in Loop: Header=BB42_85 Depth=1
	ds_read_b64 v[6:7], v13
	ds_read_b64 v[8:9], v13 offset:2112
.LBB42_87:                              ;   in Loop: Header=BB42_85 Depth=1
	s_or_b64 exec, exec, s[2:3]
	s_waitcnt lgkmcnt(1)
	ds_bpermute_b32 v14, v10, v6
	ds_bpermute_b32 v15, v10, v7
	s_waitcnt lgkmcnt(2)
	ds_bpermute_b32 v16, v10, v8
	ds_bpermute_b32 v17, v10, v9
	s_waitcnt lgkmcnt(2)
	v_add_f64 v[6:7], v[6:7], v[14:15]
	ds_bpermute_b32 v14, v11, v6
	ds_bpermute_b32 v15, v11, v7
	s_waitcnt lgkmcnt(2)
	v_add_f64 v[8:9], v[8:9], v[16:17]
	;; [unrolled: 4-line block ×5, first 2 shown]
	v_lshl_add_u64 v[14:15], s[6:7], 0, v[0:1]
	v_cmp_gt_i64_e32 vcc, s[26:27], v[14:15]
	s_waitcnt lgkmcnt(0)
	v_add_f64 v[8:9], v[8:9], v[16:17]
	s_and_b64 s[14:15], s[4:5], vcc
	s_and_saveexec_b64 s[2:3], s[14:15]
	s_cbranch_execz .LBB42_84
; %bb.88:                               ;   in Loop: Header=BB42_85 Depth=1
	s_andn2_b64 vcc, exec, s[10:11]
	s_cbranch_vccnz .LBB42_90
; %bb.89:                               ;   in Loop: Header=BB42_85 Depth=1
	global_store_dwordx2 v[4:5], v[6:7], off
.LBB42_90:                              ;   in Loop: Header=BB42_85 Depth=1
	s_andn2_b64 vcc, exec, s[12:13]
	s_cbranch_vccnz .LBB42_84
; %bb.91:                               ;   in Loop: Header=BB42_85 Depth=1
	global_store_dwordx2 v[2:3], v[8:9], off
	s_branch .LBB42_84
.LBB42_92:
	s_endpgm
	.section	.rodata,"a",@progbits
	.p2align	6, 0x0
	.amdhsa_kernel _ZN2at6native12_GLOBAL__N_135GammaBetaBackwardCUDAKernelTemplateIddLj32ELj8ELj64ELb0ELb0ELb0EEEvllPKT_S5_PKT0_S8_PS3_S9_
		.amdhsa_group_segment_fixed_size 0
		.amdhsa_private_segment_fixed_size 0
		.amdhsa_kernarg_size 320
		.amdhsa_user_sgpr_count 2
		.amdhsa_user_sgpr_dispatch_ptr 0
		.amdhsa_user_sgpr_queue_ptr 0
		.amdhsa_user_sgpr_kernarg_segment_ptr 1
		.amdhsa_user_sgpr_dispatch_id 0
		.amdhsa_user_sgpr_kernarg_preload_length 0
		.amdhsa_user_sgpr_kernarg_preload_offset 0
		.amdhsa_user_sgpr_private_segment_size 0
		.amdhsa_uses_dynamic_stack 0
		.amdhsa_enable_private_segment 0
		.amdhsa_system_sgpr_workgroup_id_x 1
		.amdhsa_system_sgpr_workgroup_id_y 1
		.amdhsa_system_sgpr_workgroup_id_z 0
		.amdhsa_system_sgpr_workgroup_info 0
		.amdhsa_system_vgpr_workitem_id 1
		.amdhsa_next_free_vgpr 126
		.amdhsa_next_free_sgpr 68
		.amdhsa_accum_offset 128
		.amdhsa_reserve_vcc 1
		.amdhsa_float_round_mode_32 0
		.amdhsa_float_round_mode_16_64 0
		.amdhsa_float_denorm_mode_32 3
		.amdhsa_float_denorm_mode_16_64 3
		.amdhsa_dx10_clamp 1
		.amdhsa_ieee_mode 1
		.amdhsa_fp16_overflow 0
		.amdhsa_tg_split 0
		.amdhsa_exception_fp_ieee_invalid_op 0
		.amdhsa_exception_fp_denorm_src 0
		.amdhsa_exception_fp_ieee_div_zero 0
		.amdhsa_exception_fp_ieee_overflow 0
		.amdhsa_exception_fp_ieee_underflow 0
		.amdhsa_exception_fp_ieee_inexact 0
		.amdhsa_exception_int_div_zero 0
	.end_amdhsa_kernel
	.section	.text._ZN2at6native12_GLOBAL__N_135GammaBetaBackwardCUDAKernelTemplateIddLj32ELj8ELj64ELb0ELb0ELb0EEEvllPKT_S5_PKT0_S8_PS3_S9_,"axG",@progbits,_ZN2at6native12_GLOBAL__N_135GammaBetaBackwardCUDAKernelTemplateIddLj32ELj8ELj64ELb0ELb0ELb0EEEvllPKT_S5_PKT0_S8_PS3_S9_,comdat
.Lfunc_end42:
	.size	_ZN2at6native12_GLOBAL__N_135GammaBetaBackwardCUDAKernelTemplateIddLj32ELj8ELj64ELb0ELb0ELb0EEEvllPKT_S5_PKT0_S8_PS3_S9_, .Lfunc_end42-_ZN2at6native12_GLOBAL__N_135GammaBetaBackwardCUDAKernelTemplateIddLj32ELj8ELj64ELb0ELb0ELb0EEEvllPKT_S5_PKT0_S8_PS3_S9_
                                        ; -- End function
	.section	.AMDGPU.csdata,"",@progbits
; Kernel info:
; codeLenInByte = 8240
; NumSgprs: 74
; NumVgprs: 126
; NumAgprs: 0
; TotalNumVgprs: 126
; ScratchSize: 0
; MemoryBound: 1
; FloatMode: 240
; IeeeMode: 1
; LDSByteSize: 0 bytes/workgroup (compile time only)
; SGPRBlocks: 9
; VGPRBlocks: 15
; NumSGPRsForWavesPerEU: 74
; NumVGPRsForWavesPerEU: 126
; AccumOffset: 128
; Occupancy: 4
; WaveLimiterHint : 0
; COMPUTE_PGM_RSRC2:SCRATCH_EN: 0
; COMPUTE_PGM_RSRC2:USER_SGPR: 2
; COMPUTE_PGM_RSRC2:TRAP_HANDLER: 0
; COMPUTE_PGM_RSRC2:TGID_X_EN: 1
; COMPUTE_PGM_RSRC2:TGID_Y_EN: 1
; COMPUTE_PGM_RSRC2:TGID_Z_EN: 0
; COMPUTE_PGM_RSRC2:TIDIG_COMP_CNT: 1
; COMPUTE_PGM_RSRC3_GFX90A:ACCUM_OFFSET: 31
; COMPUTE_PGM_RSRC3_GFX90A:TG_SPLIT: 0
	.section	.text._ZN2at6native12_GLOBAL__N_135GammaBetaBackwardCUDAKernelTemplateIddLj32ELj16ELj128ELb0ELb1ELb0EEEvllPKT_S5_PKT0_S8_PS3_S9_,"axG",@progbits,_ZN2at6native12_GLOBAL__N_135GammaBetaBackwardCUDAKernelTemplateIddLj32ELj16ELj128ELb0ELb1ELb0EEEvllPKT_S5_PKT0_S8_PS3_S9_,comdat
	.globl	_ZN2at6native12_GLOBAL__N_135GammaBetaBackwardCUDAKernelTemplateIddLj32ELj16ELj128ELb0ELb1ELb0EEEvllPKT_S5_PKT0_S8_PS3_S9_ ; -- Begin function _ZN2at6native12_GLOBAL__N_135GammaBetaBackwardCUDAKernelTemplateIddLj32ELj16ELj128ELb0ELb1ELb0EEEvllPKT_S5_PKT0_S8_PS3_S9_
	.p2align	8
	.type	_ZN2at6native12_GLOBAL__N_135GammaBetaBackwardCUDAKernelTemplateIddLj32ELj16ELj128ELb0ELb1ELb0EEEvllPKT_S5_PKT0_S8_PS3_S9_,@function
_ZN2at6native12_GLOBAL__N_135GammaBetaBackwardCUDAKernelTemplateIddLj32ELj16ELj128ELb0ELb1ELb0EEEvllPKT_S5_PKT0_S8_PS3_S9_: ; @_ZN2at6native12_GLOBAL__N_135GammaBetaBackwardCUDAKernelTemplateIddLj32ELj16ELj128ELb0ELb1ELb0EEEvllPKT_S5_PKT0_S8_PS3_S9_
; %bb.0:
	s_load_dwordx4 s[16:19], s[0:1], 0x0
	s_lshl_b32 s6, s3, 7
	s_mov_b32 s7, 0
	v_bfe_u32 v20, v0, 10, 10
	s_waitcnt lgkmcnt(0)
	v_mov_b64_e32 v[2:3], s[16:17]
	v_cmp_lt_i64_e32 vcc, s[6:7], v[2:3]
	s_cbranch_vccnz .LBB43_2
; %bb.1:
	s_mov_b64 s[4:5], 0
	s_mov_b64 s[8:9], 0
	v_bfe_u32 v1, v0, 10, 10
	s_branch .LBB43_3
.LBB43_2:
	s_mov_b64 s[4:5], -1
                                        ; implicit-def: $sgpr8_sgpr9
                                        ; implicit-def: $vgpr1
.LBB43_3:
	v_and_b32_e32 v18, 0x3ff, v0
	s_andn2_b64 vcc, exec, s[4:5]
	v_mov_b64_e32 v[14:15], s[8:9]
	v_mbcnt_lo_u32_b32 v19, -1, 0
	v_mov_b64_e32 v[4:5], s[8:9]
	s_cbranch_vccnz .LBB43_11
; %bb.4:
	s_load_dword s3, s[0:1], 0x4c
	s_load_dword s20, s[0:1], 0x44
	s_load_dwordx8 s[8:15], s[0:1], 0x10
	v_mbcnt_hi_u32_b32 v6, -1, v19
	v_lshlrev_b32_e32 v0, 3, v20
	s_waitcnt lgkmcnt(0)
	s_and_b32 s3, s3, 0xffff
	v_mad_u32_u24 v1, v20, s3, v18
	v_and_b32_e32 v2, 63, v1
	v_mov_b32_e32 v1, 0
	v_lshlrev_b32_e32 v6, 2, v6
	v_mov_b32_e32 v3, v1
	v_and_b32_e32 v21, 0x100, v6
	v_lshl_add_u64 v[6:7], v[0:1], 0, s[6:7]
	v_mov_b32_e32 v5, v1
	s_lshl_b32 s20, s20, 7
	v_lshl_add_u64 v[0:1], v[6:7], 0, v[2:3]
	v_mul_lo_u32 v8, s19, v6
	v_mul_lo_u32 v9, s18, v7
	v_mad_u64_u32 v[6:7], s[24:25], s18, v6, 0
	v_lshl_add_u32 v4, s2, 5, v18
	s_mul_i32 s3, s19, s20
	s_mul_hi_u32 s24, s18, s20
	s_mov_b32 s21, 0
	v_add3_u32 v7, v7, v9, v8
	v_lshlrev_b64 v[4:5], 3, v[4:5]
	s_add_i32 s25, s24, s3
	s_mul_i32 s24, s18, s20
	v_mov_b64_e32 v[8:9], 0
	v_cmp_gt_u32_e64 s[4:5], 8, v2
	v_or_b32_e32 v22, 4, v21
	v_or_b32_e32 v23, 8, v21
	;; [unrolled: 1-line block ×7, first 2 shown]
	v_lshlrev_b64 v[2:3], 3, v[0:1]
	s_lshl_b64 s[22:23], s[20:21], 3
	v_lshl_add_u64 v[6:7], v[6:7], 3, v[4:5]
	s_lshl_b64 s[24:25], s[24:25], 3
	s_lshl_b64 s[18:19], s[18:19], 3
	v_mov_b64_e32 v[10:11], s[16:17]
	v_mov_b64_e32 v[4:5], v[8:9]
	;; [unrolled: 1-line block ×3, first 2 shown]
	s_branch .LBB43_7
.LBB43_5:                               ;   in Loop: Header=BB43_7 Depth=1
	s_or_b64 exec, exec, s[28:29]
.LBB43_6:                               ;   in Loop: Header=BB43_7 Depth=1
	s_or_b64 exec, exec, s[26:27]
	v_lshl_add_u64 v[30:31], s[10:11], 0, v[6:7]
	global_load_dwordx2 v[32:33], v[30:31], off
	v_lshl_add_u64 v[34:35], s[8:9], 0, v[6:7]
	global_load_dwordx2 v[36:37], v[34:35], off
	;; [unrolled: 2-line block ×6, first 2 shown]
	v_lshl_add_u64 v[30:31], v[30:31], 0, s[18:19]
	v_lshl_add_u64 v[34:35], v[34:35], 0, s[18:19]
	global_load_dwordx2 v[46:47], v[30:31], off
	global_load_dwordx2 v[48:49], v[34:35], off
	v_lshl_add_u64 v[30:31], v[30:31], 0, s[18:19]
	v_lshl_add_u64 v[34:35], v[34:35], 0, s[18:19]
	global_load_dwordx2 v[50:51], v[30:31], off
	global_load_dwordx2 v[52:53], v[34:35], off
	;; [unrolled: 4-line block ×3, first 2 shown]
	v_lshl_add_u64 v[30:31], v[30:31], 0, s[18:19]
	global_load_dwordx2 v[58:59], v[30:31], off
	v_lshl_add_u64 v[34:35], v[34:35], 0, s[18:19]
	global_load_dwordx2 v[60:61], v[34:35], off
	v_lshl_add_u64 v[34:35], v[34:35], 0, s[18:19]
	v_lshl_add_u64 v[30:31], v[30:31], 0, s[18:19]
	global_load_dwordx2 v[30:31], v[30:31], off
	s_nop 0
	global_load_dwordx2 v[34:35], v[34:35], off
	s_waitcnt vmcnt(17)
	ds_bpermute_b32 v62, v21, v16
	ds_bpermute_b32 v63, v21, v17
	s_waitcnt vmcnt(16)
	ds_bpermute_b32 v64, v21, v12
	ds_bpermute_b32 v65, v21, v13
	s_add_u32 s6, s6, s20
	s_addc_u32 s7, s7, 0
	v_cmp_lt_i64_e32 vcc, s[6:7], v[10:11]
	v_lshl_add_u64 v[2:3], v[2:3], 0, s[22:23]
	v_lshl_add_u64 v[0:1], v[0:1], 0, s[20:21]
	;; [unrolled: 1-line block ×3, first 2 shown]
	s_and_b64 vcc, exec, vcc
	s_waitcnt vmcnt(15) lgkmcnt(2)
	v_add_f64 v[32:33], v[32:33], -v[62:63]
	ds_bpermute_b32 v62, v22, v16
	ds_bpermute_b32 v63, v22, v17
	s_waitcnt vmcnt(14)
	v_mul_f64 v[32:33], v[36:37], v[32:33]
	s_waitcnt lgkmcnt(2)
	v_fmac_f64_e32 v[4:5], v[32:33], v[64:65]
	ds_bpermute_b32 v32, v22, v12
	ds_bpermute_b32 v33, v22, v13
	s_waitcnt vmcnt(13) lgkmcnt(2)
	v_add_f64 v[38:39], v[38:39], -v[62:63]
	ds_bpermute_b32 v62, v23, v16
	ds_bpermute_b32 v63, v23, v17
	ds_bpermute_b32 v64, v23, v12
	ds_bpermute_b32 v65, v23, v13
	s_waitcnt vmcnt(12)
	v_mul_f64 v[38:39], v[40:41], v[38:39]
	s_waitcnt lgkmcnt(4)
	v_fmac_f64_e32 v[4:5], v[38:39], v[32:33]
	ds_bpermute_b32 v32, v24, v16
	ds_bpermute_b32 v33, v24, v17
	s_waitcnt vmcnt(11) lgkmcnt(4)
	v_add_f64 v[42:43], v[42:43], -v[62:63]
	ds_bpermute_b32 v38, v25, v16
	ds_bpermute_b32 v39, v25, v17
	s_waitcnt vmcnt(10)
	v_mul_f64 v[42:43], v[44:45], v[42:43]
	ds_bpermute_b32 v62, v26, v16
	ds_bpermute_b32 v63, v26, v17
	s_waitcnt lgkmcnt(6)
	v_fmac_f64_e32 v[4:5], v[42:43], v[64:65]
	ds_bpermute_b32 v64, v24, v12
	ds_bpermute_b32 v65, v24, v13
	;; [unrolled: 1-line block ×4, first 2 shown]
	v_add_f64 v[14:15], v[14:15], v[36:37]
	ds_bpermute_b32 v36, v25, v12
	ds_bpermute_b32 v37, v25, v13
	;; [unrolled: 1-line block ×4, first 2 shown]
	v_add_f64 v[14:15], v[14:15], v[40:41]
	ds_bpermute_b32 v40, v26, v12
	ds_bpermute_b32 v41, v26, v13
	v_add_f64 v[14:15], v[14:15], v[44:45]
	ds_bpermute_b32 v44, v27, v12
	ds_bpermute_b32 v45, v27, v13
	s_waitcnt vmcnt(9) lgkmcnt(14)
	v_add_f64 v[32:33], v[46:47], -v[32:33]
	ds_bpermute_b32 v12, v28, v12
	s_waitcnt vmcnt(8)
	v_mul_f64 v[32:33], v[48:49], v[32:33]
	s_waitcnt vmcnt(7)
	v_add_f64 v[38:39], v[50:51], -v[38:39]
	ds_bpermute_b32 v13, v28, v13
	v_add_f64 v[14:15], v[14:15], v[48:49]
	s_waitcnt lgkmcnt(12)
	v_fmac_f64_e32 v[4:5], v[32:33], v[64:65]
	s_waitcnt vmcnt(6)
	v_mul_f64 v[32:33], v[52:53], v[38:39]
	s_waitcnt vmcnt(5)
	v_add_f64 v[38:39], v[54:55], -v[62:63]
	v_add_f64 v[14:15], v[14:15], v[52:53]
	s_waitcnt lgkmcnt(8)
	v_fmac_f64_e32 v[4:5], v[32:33], v[36:37]
	s_waitcnt vmcnt(4)
	v_mul_f64 v[32:33], v[56:57], v[38:39]
	s_waitcnt vmcnt(3)
	v_add_f64 v[36:37], v[58:59], -v[42:43]
	;; [unrolled: 7-line block ×3, first 2 shown]
	s_waitcnt lgkmcnt(2)
	v_fmac_f64_e32 v[4:5], v[32:33], v[44:45]
	v_add_f64 v[14:15], v[14:15], v[60:61]
	s_waitcnt vmcnt(0)
	v_mul_f64 v[16:17], v[34:35], v[16:17]
	s_waitcnt lgkmcnt(0)
	v_fmac_f64_e32 v[4:5], v[16:17], v[12:13]
	v_add_f64 v[14:15], v[14:15], v[34:35]
	s_cbranch_vccz .LBB43_10
.LBB43_7:                               ; =>This Inner Loop Header: Depth=1
	v_mov_b64_e32 v[12:13], v[8:9]
	v_mov_b64_e32 v[16:17], v[8:9]
	s_and_saveexec_b64 s[26:27], s[4:5]
	s_cbranch_execz .LBB43_6
; %bb.8:                                ;   in Loop: Header=BB43_7 Depth=1
	v_mov_b64_e32 v[16:17], 0
	v_cmp_gt_i64_e32 vcc, s[16:17], v[0:1]
	v_mov_b64_e32 v[12:13], v[16:17]
	s_and_saveexec_b64 s[28:29], vcc
	s_cbranch_execz .LBB43_5
; %bb.9:                                ;   in Loop: Header=BB43_7 Depth=1
	v_lshl_add_u64 v[32:33], s[12:13], 0, v[2:3]
	v_lshl_add_u64 v[30:31], s[14:15], 0, v[2:3]
	global_load_dwordx2 v[16:17], v[32:33], off
	global_load_dwordx2 v[12:13], v[30:31], off
	s_branch .LBB43_5
.LBB43_10:
	v_mov_b32_e32 v1, v20
.LBB43_11:
	s_load_dwordx4 s[8:11], s[0:1], 0x30
	v_mad_u32_u24 v0, v1, 33, v18
	v_lshl_add_u32 v2, v0, 3, 0
	v_sub_u32_e32 v0, v0, v1
	s_movk_i32 s0, 0x800
	s_mov_b32 s3, 0
	v_cmp_gt_u32_e32 vcc, s0, v0
	ds_write_b64 v2, v[4:5]
	ds_write_b64 v2, v[14:15] offset:4224
	s_waitcnt lgkmcnt(0)
	s_barrier
	s_and_saveexec_b64 s[0:1], vcc
	s_cbranch_execz .LBB43_21
; %bb.12:
	v_lshrrev_b32_e32 v4, 6, v0
	v_and_b32_e32 v5, 63, v0
	v_mbcnt_hi_u32_b32 v0, -1, v19
	v_and_b32_e32 v2, 64, v0
	v_add_u32_e32 v2, 64, v2
	v_xor_b32_e32 v3, 8, v0
	v_cmp_lt_i32_e32 vcc, v3, v2
	s_cmp_lg_u64 s[8:9], 0
	s_cselect_b64 s[12:13], -1, 0
	v_cndmask_b32_e32 v3, v0, v3, vcc
	v_lshlrev_b32_e32 v8, 2, v3
	v_xor_b32_e32 v3, 4, v0
	v_cmp_lt_i32_e32 vcc, v3, v2
	s_cmp_lg_u64 s[10:11], 0
	v_mov_b32_e32 v1, 0
	v_cndmask_b32_e32 v3, v0, v3, vcc
	v_lshlrev_b32_e32 v9, 2, v3
	v_xor_b32_e32 v3, 2, v0
	v_cmp_lt_i32_e32 vcc, v3, v2
	s_cselect_b64 s[14:15], -1, 0
	s_lshl_b64 s[2:3], s[2:3], 8
	v_cndmask_b32_e32 v3, v0, v3, vcc
	v_lshlrev_b32_e32 v10, 2, v3
	v_xor_b32_e32 v3, 1, v0
	v_cmp_lt_i32_e32 vcc, v3, v2
	v_add_u32_e32 v12, -8, v4
	v_cmp_gt_u32_e64 s[0:1], 16, v5
	v_cndmask_b32_e32 v0, v0, v3, vcc
	v_lshlrev_b32_e32 v11, 2, v0
	v_lshlrev_b32_e32 v0, 3, v4
	v_lshl_add_u64 v[2:3], s[2:3], 0, v[0:1]
	v_mad_u32_u24 v4, v5, 33, v4
	v_cmp_eq_u32_e64 s[4:5], 0, v18
	s_mov_b64 s[6:7], 0
	v_lshl_add_u64 v[0:1], s[10:11], 0, v[2:3]
	v_lshl_add_u64 v[2:3], s[8:9], 0, v[2:3]
	v_lshl_add_u32 v13, v4, 3, 0
                                        ; implicit-def: $vgpr4_vgpr5
                                        ; implicit-def: $vgpr6_vgpr7
	s_branch .LBB43_14
.LBB43_13:                              ;   in Loop: Header=BB43_14 Depth=1
	s_or_b64 exec, exec, s[2:3]
	v_add_u32_e32 v12, 8, v12
	v_cmp_lt_u32_e32 vcc, 23, v12
	v_lshl_add_u64 v[0:1], v[0:1], 0, 64
	v_lshl_add_u64 v[2:3], v[2:3], 0, 64
	s_or_b64 s[6:7], vcc, s[6:7]
	v_add_u32_e32 v13, 64, v13
	s_andn2_b64 exec, exec, s[6:7]
	s_cbranch_execz .LBB43_21
.LBB43_14:                              ; =>This Inner Loop Header: Depth=1
	s_and_saveexec_b64 s[2:3], s[0:1]
	s_cbranch_execz .LBB43_16
; %bb.15:                               ;   in Loop: Header=BB43_14 Depth=1
	ds_read_b64 v[4:5], v13
	ds_read_b64 v[6:7], v13 offset:4224
.LBB43_16:                              ;   in Loop: Header=BB43_14 Depth=1
	s_or_b64 exec, exec, s[2:3]
	s_waitcnt lgkmcnt(1)
	ds_bpermute_b32 v14, v8, v4
	ds_bpermute_b32 v15, v8, v5
	s_waitcnt lgkmcnt(2)
	ds_bpermute_b32 v16, v8, v6
	ds_bpermute_b32 v17, v8, v7
	s_waitcnt lgkmcnt(2)
	v_add_f64 v[4:5], v[4:5], v[14:15]
	ds_bpermute_b32 v14, v9, v4
	s_waitcnt lgkmcnt(1)
	v_add_f64 v[6:7], v[6:7], v[16:17]
	ds_bpermute_b32 v15, v9, v5
	ds_bpermute_b32 v16, v9, v6
	ds_bpermute_b32 v17, v9, v7
	s_waitcnt lgkmcnt(2)
	v_add_f64 v[4:5], v[4:5], v[14:15]
	ds_bpermute_b32 v14, v10, v4
	s_waitcnt lgkmcnt(1)
	v_add_f64 v[6:7], v[6:7], v[16:17]
	ds_bpermute_b32 v15, v10, v5
	;; [unrolled: 8-line block ×3, first 2 shown]
	ds_bpermute_b32 v16, v11, v6
	ds_bpermute_b32 v17, v11, v7
	s_waitcnt lgkmcnt(2)
	v_add_f64 v[4:5], v[4:5], v[14:15]
	s_waitcnt lgkmcnt(0)
	v_add_f64 v[6:7], v[6:7], v[16:17]
	s_and_saveexec_b64 s[2:3], s[4:5]
	s_cbranch_execz .LBB43_13
; %bb.17:                               ;   in Loop: Header=BB43_14 Depth=1
	s_andn2_b64 vcc, exec, s[12:13]
	s_cbranch_vccnz .LBB43_19
; %bb.18:                               ;   in Loop: Header=BB43_14 Depth=1
	global_store_dwordx2 v[2:3], v[4:5], off
.LBB43_19:                              ;   in Loop: Header=BB43_14 Depth=1
	s_andn2_b64 vcc, exec, s[14:15]
	s_cbranch_vccnz .LBB43_13
; %bb.20:                               ;   in Loop: Header=BB43_14 Depth=1
	global_store_dwordx2 v[0:1], v[6:7], off
	s_branch .LBB43_13
.LBB43_21:
	s_endpgm
	.section	.rodata,"a",@progbits
	.p2align	6, 0x0
	.amdhsa_kernel _ZN2at6native12_GLOBAL__N_135GammaBetaBackwardCUDAKernelTemplateIddLj32ELj16ELj128ELb0ELb1ELb0EEEvllPKT_S5_PKT0_S8_PS3_S9_
		.amdhsa_group_segment_fixed_size 0
		.amdhsa_private_segment_fixed_size 0
		.amdhsa_kernarg_size 320
		.amdhsa_user_sgpr_count 2
		.amdhsa_user_sgpr_dispatch_ptr 0
		.amdhsa_user_sgpr_queue_ptr 0
		.amdhsa_user_sgpr_kernarg_segment_ptr 1
		.amdhsa_user_sgpr_dispatch_id 0
		.amdhsa_user_sgpr_kernarg_preload_length 0
		.amdhsa_user_sgpr_kernarg_preload_offset 0
		.amdhsa_user_sgpr_private_segment_size 0
		.amdhsa_uses_dynamic_stack 0
		.amdhsa_enable_private_segment 0
		.amdhsa_system_sgpr_workgroup_id_x 1
		.amdhsa_system_sgpr_workgroup_id_y 1
		.amdhsa_system_sgpr_workgroup_id_z 0
		.amdhsa_system_sgpr_workgroup_info 0
		.amdhsa_system_vgpr_workitem_id 1
		.amdhsa_next_free_vgpr 66
		.amdhsa_next_free_sgpr 30
		.amdhsa_accum_offset 68
		.amdhsa_reserve_vcc 1
		.amdhsa_float_round_mode_32 0
		.amdhsa_float_round_mode_16_64 0
		.amdhsa_float_denorm_mode_32 3
		.amdhsa_float_denorm_mode_16_64 3
		.amdhsa_dx10_clamp 1
		.amdhsa_ieee_mode 1
		.amdhsa_fp16_overflow 0
		.amdhsa_tg_split 0
		.amdhsa_exception_fp_ieee_invalid_op 0
		.amdhsa_exception_fp_denorm_src 0
		.amdhsa_exception_fp_ieee_div_zero 0
		.amdhsa_exception_fp_ieee_overflow 0
		.amdhsa_exception_fp_ieee_underflow 0
		.amdhsa_exception_fp_ieee_inexact 0
		.amdhsa_exception_int_div_zero 0
	.end_amdhsa_kernel
	.section	.text._ZN2at6native12_GLOBAL__N_135GammaBetaBackwardCUDAKernelTemplateIddLj32ELj16ELj128ELb0ELb1ELb0EEEvllPKT_S5_PKT0_S8_PS3_S9_,"axG",@progbits,_ZN2at6native12_GLOBAL__N_135GammaBetaBackwardCUDAKernelTemplateIddLj32ELj16ELj128ELb0ELb1ELb0EEEvllPKT_S5_PKT0_S8_PS3_S9_,comdat
.Lfunc_end43:
	.size	_ZN2at6native12_GLOBAL__N_135GammaBetaBackwardCUDAKernelTemplateIddLj32ELj16ELj128ELb0ELb1ELb0EEEvllPKT_S5_PKT0_S8_PS3_S9_, .Lfunc_end43-_ZN2at6native12_GLOBAL__N_135GammaBetaBackwardCUDAKernelTemplateIddLj32ELj16ELj128ELb0ELb1ELb0EEEvllPKT_S5_PKT0_S8_PS3_S9_
                                        ; -- End function
	.section	.AMDGPU.csdata,"",@progbits
; Kernel info:
; codeLenInByte = 1932
; NumSgprs: 36
; NumVgprs: 66
; NumAgprs: 0
; TotalNumVgprs: 66
; ScratchSize: 0
; MemoryBound: 0
; FloatMode: 240
; IeeeMode: 1
; LDSByteSize: 0 bytes/workgroup (compile time only)
; SGPRBlocks: 4
; VGPRBlocks: 8
; NumSGPRsForWavesPerEU: 36
; NumVGPRsForWavesPerEU: 66
; AccumOffset: 68
; Occupancy: 7
; WaveLimiterHint : 0
; COMPUTE_PGM_RSRC2:SCRATCH_EN: 0
; COMPUTE_PGM_RSRC2:USER_SGPR: 2
; COMPUTE_PGM_RSRC2:TRAP_HANDLER: 0
; COMPUTE_PGM_RSRC2:TGID_X_EN: 1
; COMPUTE_PGM_RSRC2:TGID_Y_EN: 1
; COMPUTE_PGM_RSRC2:TGID_Z_EN: 0
; COMPUTE_PGM_RSRC2:TIDIG_COMP_CNT: 1
; COMPUTE_PGM_RSRC3_GFX90A:ACCUM_OFFSET: 16
; COMPUTE_PGM_RSRC3_GFX90A:TG_SPLIT: 0
	.section	.text._ZN2at6native12_GLOBAL__N_135GammaBetaBackwardCUDAKernelTemplateIddLj32ELj16ELj128ELb0ELb0ELb0EEEvllPKT_S5_PKT0_S8_PS3_S9_,"axG",@progbits,_ZN2at6native12_GLOBAL__N_135GammaBetaBackwardCUDAKernelTemplateIddLj32ELj16ELj128ELb0ELb0ELb0EEEvllPKT_S5_PKT0_S8_PS3_S9_,comdat
	.globl	_ZN2at6native12_GLOBAL__N_135GammaBetaBackwardCUDAKernelTemplateIddLj32ELj16ELj128ELb0ELb0ELb0EEEvllPKT_S5_PKT0_S8_PS3_S9_ ; -- Begin function _ZN2at6native12_GLOBAL__N_135GammaBetaBackwardCUDAKernelTemplateIddLj32ELj16ELj128ELb0ELb0ELb0EEEvllPKT_S5_PKT0_S8_PS3_S9_
	.p2align	8
	.type	_ZN2at6native12_GLOBAL__N_135GammaBetaBackwardCUDAKernelTemplateIddLj32ELj16ELj128ELb0ELb0ELb0EEEvllPKT_S5_PKT0_S8_PS3_S9_,@function
_ZN2at6native12_GLOBAL__N_135GammaBetaBackwardCUDAKernelTemplateIddLj32ELj16ELj128ELb0ELb0ELb0EEEvllPKT_S5_PKT0_S8_PS3_S9_: ; @_ZN2at6native12_GLOBAL__N_135GammaBetaBackwardCUDAKernelTemplateIddLj32ELj16ELj128ELb0ELb0ELb0EEEvllPKT_S5_PKT0_S8_PS3_S9_
; %bb.0:
	s_load_dwordx8 s[24:31], s[0:1], 0x0
	s_load_dwordx4 s[36:39], s[0:1], 0x20
	s_lshl_b32 s33, s2, 5
	s_or_b32 s34, s33, 31
	s_mov_b32 s35, 0
	s_waitcnt lgkmcnt(0)
	v_mov_b64_e32 v[2:3], s[26:27]
	v_cmp_ge_i64_e32 vcc, s[34:35], v[2:3]
	s_lshl_b32 s34, s3, 7
	v_mov_b64_e32 v[2:3], s[24:25]
	v_cmp_lt_i64_e64 s[4:5], s[34:35], v[2:3]
	s_nop 1
	v_cndmask_b32_e64 v1, 0, 1, s[4:5]
	v_cmp_ne_u32_e64 s[4:5], 1, v1
	s_cbranch_vccz .LBB44_49
; %bb.1:
	v_mov_b64_e32 v[50:51], 0
	s_mov_b64 s[40:41], 0
	s_and_b64 vcc, exec, s[4:5]
	v_mov_b64_e32 v[52:53], v[50:51]
	s_cbranch_vccnz .LBB44_50
; %bb.2:
	v_mov_b32_e32 v5, 0
	v_bfe_u32 v98, v0, 10, 10
	s_load_dword s3, s[0:1], 0x44
	v_lshlrev_b32_e32 v54, 3, v98
	v_mov_b32_e32 v55, v5
	v_and_b32_e32 v1, 0x3ff, v0
	v_lshl_add_u64 v[2:3], v[54:55], 0, s[34:35]
	v_add_u32_e32 v4, s33, v1
	v_lshl_add_u64 v[6:7], v[2:3], 0, 7
	s_add_u32 s42, s0, 64
	v_cmp_gt_i64_e64 s[6:7], s[26:27], v[4:5]
	v_lshlrev_b64 v[56:57], 3, v[4:5]
	v_mul_lo_u32 v4, s27, v6
	v_mul_lo_u32 v8, s26, v7
	v_mad_u64_u32 v[6:7], s[10:11], s26, v6, 0
	s_addc_u32 s43, s1, 0
	s_waitcnt lgkmcnt(0)
	s_lshl_b32 s3, s3, 7
	v_add3_u32 v7, v7, v8, v4
	v_lshlrev_b64 v[6:7], 3, v[6:7]
	s_mul_i32 s9, s27, s3
	s_mul_hi_u32 s10, s26, s3
	v_lshl_add_u64 v[58:59], s[28:29], 0, v[6:7]
	s_add_i32 s11, s10, s9
	s_mul_i32 s10, s26, s3
	v_lshl_add_u64 v[60:61], s[30:31], 0, v[6:7]
	v_lshl_add_u64 v[6:7], v[2:3], 0, 6
	s_lshl_b64 s[44:45], s[10:11], 3
	v_mul_lo_u32 v4, s27, v6
	v_mul_lo_u32 v8, s26, v7
	v_mad_u64_u32 v[6:7], s[10:11], s26, v6, 0
	v_add3_u32 v7, v7, v8, v4
	v_lshlrev_b64 v[6:7], 3, v[6:7]
	v_lshl_add_u64 v[62:63], s[28:29], 0, v[6:7]
	v_lshl_add_u64 v[64:65], s[30:31], 0, v[6:7]
	v_lshl_add_u64 v[6:7], v[2:3], 0, 5
	v_mul_lo_u32 v4, s27, v6
	v_mul_lo_u32 v8, s26, v7
	v_mad_u64_u32 v[6:7], s[10:11], s26, v6, 0
	v_add3_u32 v7, v7, v8, v4
	v_lshlrev_b64 v[6:7], 3, v[6:7]
	v_lshl_add_u64 v[66:67], s[28:29], 0, v[6:7]
	v_lshl_add_u64 v[68:69], s[30:31], 0, v[6:7]
	v_lshl_add_u64 v[6:7], v[2:3], 0, 4
	;; [unrolled: 8-line block ×4, first 2 shown]
	v_mul_lo_u32 v4, s27, v6
	v_mul_lo_u32 v8, s26, v7
	v_mad_u64_u32 v[6:7], s[10:11], s26, v6, 0
	v_add3_u32 v7, v7, v8, v4
	v_lshlrev_b64 v[6:7], 3, v[6:7]
	v_lshl_add_u64 v[78:79], s[28:29], 0, v[6:7]
	v_lshl_add_u64 v[80:81], s[30:31], 0, v[6:7]
	v_mov_b64_e32 v[6:7], s[26:27]
	v_mad_u64_u32 v[6:7], s[10:11], s26, v2, v[6:7]
	v_mul_lo_u32 v4, s26, v3
	v_mul_lo_u32 v8, s27, v2
	v_mad_u64_u32 v[2:3], s[10:11], s26, v2, 0
	v_add3_u32 v3, v3, v4, v8
	v_lshlrev_b64 v[2:3], 3, v[2:3]
	v_lshl_add_u64 v[86:87], s[28:29], 0, v[2:3]
	v_lshl_add_u64 v[88:89], s[30:31], 0, v[2:3]
	v_mbcnt_lo_u32_b32 v2, -1, 0
	v_add3_u32 v7, v8, v7, v4
	v_mbcnt_hi_u32_b32 v2, -1, v2
	v_lshlrev_b64 v[6:7], 3, v[6:7]
	s_add_u32 s46, s34, 0x7f
	v_mov_b64_e32 v[90:91], 0
	s_movk_i32 s48, 0xff81
	s_movk_i32 s50, 0xff82
	;; [unrolled: 1-line block ×8, first 2 shown]
	v_lshlrev_b32_e32 v2, 2, v2
	s_mov_b32 s8, 0
	v_lshl_add_u64 v[82:83], s[28:29], 0, v[6:7]
	v_lshl_add_u64 v[84:85], s[30:31], 0, v[6:7]
	s_addc_u32 s47, 0, 0
	s_mov_b32 s49, -1
	s_mov_b32 s51, -1
	;; [unrolled: 1-line block ×8, first 2 shown]
	v_and_b32_e32 v99, 0x100, v2
	v_mov_b64_e32 v[50:51], v[90:91]
	s_mov_b64 s[64:65], s[34:35]
.LBB44_3:                               ; =>This Inner Loop Header: Depth=1
	v_mov_b64_e32 v[2:3], s[24:25]
	v_cmp_ge_i64_e32 vcc, s[46:47], v[2:3]
	v_lshl_add_u64 v[92:93], v[54:55], 0, s[46:47]
	s_cbranch_vccz .LBB44_25
; %bb.4:                                ;   in Loop: Header=BB44_3 Depth=1
	s_load_dword s9, s[42:43], 0xc
	v_mov_b64_e32 v[96:97], 0
	v_mov_b64_e32 v[94:95], v[96:97]
	s_waitcnt lgkmcnt(0)
	s_and_b32 s9, s9, 0xffff
	v_mad_u32_u24 v2, v98, s9, v1
	v_and_b32_e32 v4, 63, v2
	v_cmp_gt_u32_e32 vcc, 8, v4
	s_and_saveexec_b64 s[10:11], vcc
	s_cbranch_execz .LBB44_8
; %bb.5:                                ;   in Loop: Header=BB44_3 Depth=1
	v_lshl_add_u64 v[2:3], v[92:93], 0, v[4:5]
	v_lshl_add_u64 v[2:3], v[2:3], 0, s[48:49]
	v_mov_b64_e32 v[94:95], 0
	v_cmp_gt_i64_e32 vcc, s[24:25], v[2:3]
	v_mov_b64_e32 v[96:97], v[94:95]
	s_and_saveexec_b64 s[12:13], vcc
	s_cbranch_execz .LBB44_7
; %bb.6:                                ;   in Loop: Header=BB44_3 Depth=1
	v_lshlrev_b64 v[2:3], 3, v[2:3]
	v_lshl_add_u64 v[6:7], s[38:39], 0, v[2:3]
	v_lshl_add_u64 v[2:3], s[36:37], 0, v[2:3]
	global_load_dwordx2 v[94:95], v[2:3], off
	global_load_dwordx2 v[96:97], v[6:7], off
.LBB44_7:                               ;   in Loop: Header=BB44_3 Depth=1
	s_or_b64 exec, exec, s[12:13]
.LBB44_8:                               ;   in Loop: Header=BB44_3 Depth=1
	s_or_b64 exec, exec, s[10:11]
	s_mov_b32 s22, s8
	s_mov_b32 s23, s8
	v_lshl_add_u64 v[2:3], v[92:93], 0, s[48:49]
	s_mov_b32 s9, s8
	s_mov_b32 s10, s8
	;; [unrolled: 1-line block ×13, first 2 shown]
	v_mov_b64_e32 v[32:33], s[22:23]
	v_cmp_gt_i64_e32 vcc, s[24:25], v[2:3]
	v_mov_b64_e32 v[30:31], s[20:21]
	v_mov_b64_e32 v[28:29], s[18:19]
	;; [unrolled: 1-line block ×8, first 2 shown]
	s_and_b64 s[66:67], s[6:7], vcc
	v_mov_b64_e32 v[46:47], v[30:31]
	v_mov_b64_e32 v[44:45], v[28:29]
	;; [unrolled: 1-line block ×7, first 2 shown]
	s_and_saveexec_b64 s[10:11], s[66:67]
	s_cbranch_execz .LBB44_10
; %bb.9:                                ;   in Loop: Header=BB44_3 Depth=1
	v_lshl_add_u64 v[2:3], v[86:87], 0, v[56:57]
	global_load_dwordx2 v[2:3], v[2:3], off
	v_lshl_add_u64 v[6:7], v[88:89], 0, v[56:57]
	global_load_dwordx2 v[18:19], v[6:7], off
	v_mov_b32_e32 v16, v5
	v_mov_b32_e32 v17, v5
	;; [unrolled: 1-line block ×13, first 2 shown]
	s_waitcnt vmcnt(1)
	v_mov_b64_e32 v[48:49], v[16:17]
	v_mov_b32_e32 v20, v5
	v_mov_b32_e32 v21, v5
	;; [unrolled: 1-line block ×14, first 2 shown]
	v_mov_b64_e32 v[46:47], v[14:15]
	v_mov_b64_e32 v[44:45], v[12:13]
	;; [unrolled: 1-line block ×7, first 2 shown]
.LBB44_10:                              ;   in Loop: Header=BB44_3 Depth=1
	s_or_b64 exec, exec, s[10:11]
	v_lshl_add_u64 v[2:3], v[92:93], 0, s[50:51]
	v_cmp_gt_i64_e32 vcc, s[24:25], v[2:3]
	s_and_b64 s[12:13], s[6:7], vcc
	s_and_saveexec_b64 s[10:11], s[12:13]
	s_cbranch_execz .LBB44_12
; %bb.11:                               ;   in Loop: Header=BB44_3 Depth=1
	v_lshl_add_u64 v[2:3], v[82:83], 0, v[56:57]
	global_load_dwordx2 v[36:37], v[2:3], off
	v_lshl_add_u64 v[2:3], v[84:85], 0, v[56:57]
	global_load_dwordx2 v[20:21], v[2:3], off
.LBB44_12:                              ;   in Loop: Header=BB44_3 Depth=1
	s_or_b64 exec, exec, s[10:11]
	v_lshl_add_u64 v[2:3], v[92:93], 0, s[52:53]
	v_cmp_gt_i64_e32 vcc, s[24:25], v[2:3]
	s_and_b64 s[12:13], s[6:7], vcc
	s_and_saveexec_b64 s[10:11], s[12:13]
	s_cbranch_execz .LBB44_14
; %bb.13:                               ;   in Loop: Header=BB44_3 Depth=1
	v_lshl_add_u64 v[2:3], v[78:79], 0, v[56:57]
	global_load_dwordx2 v[38:39], v[2:3], off
	v_lshl_add_u64 v[2:3], v[80:81], 0, v[56:57]
	global_load_dwordx2 v[22:23], v[2:3], off
.LBB44_14:                              ;   in Loop: Header=BB44_3 Depth=1
	;; [unrolled: 12-line block ×7, first 2 shown]
	s_or_b64 exec, exec, s[10:11]
	s_waitcnt vmcnt(1)
	ds_bpermute_b32 v2, v99, v94
	ds_bpermute_b32 v3, v99, v95
	s_waitcnt vmcnt(0)
	ds_bpermute_b32 v6, v99, v96
	ds_bpermute_b32 v7, v99, v97
	ds_bpermute_b32 v8, v99, v94 offset:4
	ds_bpermute_b32 v9, v99, v95 offset:4
	s_waitcnt lgkmcnt(4)
	v_add_f64 v[2:3], v[18:19], -v[2:3]
	v_mul_f64 v[2:3], v[34:35], v[2:3]
	s_waitcnt lgkmcnt(2)
	v_fma_f64 v[52:53], v[2:3], v[6:7], v[90:91]
	ds_bpermute_b32 v6, v99, v96 offset:4
	ds_bpermute_b32 v7, v99, v97 offset:4
	;; [unrolled: 1-line block ×4, first 2 shown]
	s_waitcnt lgkmcnt(4)
	v_add_f64 v[8:9], v[20:21], -v[8:9]
	v_mul_f64 v[8:9], v[36:37], v[8:9]
	s_waitcnt lgkmcnt(2)
	v_fmac_f64_e32 v[52:53], v[8:9], v[6:7]
	ds_bpermute_b32 v6, v99, v96 offset:8
	ds_bpermute_b32 v7, v99, v97 offset:8
	s_waitcnt lgkmcnt(2)
	v_add_f64 v[8:9], v[22:23], -v[10:11]
	ds_bpermute_b32 v10, v99, v94 offset:12
	ds_bpermute_b32 v11, v99, v95 offset:12
	v_mul_f64 v[8:9], v[38:39], v[8:9]
	s_waitcnt lgkmcnt(2)
	v_fmac_f64_e32 v[52:53], v[8:9], v[6:7]
	ds_bpermute_b32 v6, v99, v96 offset:12
	ds_bpermute_b32 v7, v99, v97 offset:12
	s_waitcnt lgkmcnt(2)
	v_add_f64 v[8:9], v[24:25], -v[10:11]
	ds_bpermute_b32 v10, v99, v94 offset:16
	ds_bpermute_b32 v11, v99, v95 offset:16
	;; [unrolled: 9-line block ×3, first 2 shown]
	v_mul_f64 v[8:9], v[42:43], v[8:9]
	v_add_f64 v[2:3], v[50:51], v[34:35]
	s_waitcnt lgkmcnt(2)
	v_fmac_f64_e32 v[52:53], v[8:9], v[6:7]
	ds_bpermute_b32 v6, v99, v96 offset:20
	ds_bpermute_b32 v7, v99, v97 offset:20
	v_add_f64 v[2:3], v[36:37], v[2:3]
	v_add_f64 v[2:3], v[38:39], v[2:3]
	s_waitcnt lgkmcnt(2)
	v_add_f64 v[8:9], v[28:29], -v[10:11]
	ds_bpermute_b32 v10, v99, v94 offset:24
	ds_bpermute_b32 v11, v99, v95 offset:24
	v_add_f64 v[2:3], v[40:41], v[2:3]
	v_add_f64 v[2:3], v[42:43], v[2:3]
	v_mul_f64 v[8:9], v[44:45], v[8:9]
	ds_bpermute_b32 v12, v99, v96 offset:24
	ds_bpermute_b32 v13, v99, v97 offset:24
	s_waitcnt lgkmcnt(4)
	v_fmac_f64_e32 v[52:53], v[8:9], v[6:7]
	v_add_f64 v[8:9], v[44:45], v[2:3]
	ds_bpermute_b32 v2, v99, v96 offset:28
	ds_bpermute_b32 v3, v99, v97 offset:28
	;; [unrolled: 1-line block ×4, first 2 shown]
	s_waitcnt lgkmcnt(6)
	v_add_f64 v[10:11], v[30:31], -v[10:11]
	v_mul_f64 v[10:11], v[46:47], v[10:11]
	s_waitcnt lgkmcnt(4)
	v_fmac_f64_e32 v[52:53], v[10:11], v[12:13]
	v_add_f64 v[8:9], v[46:47], v[8:9]
	s_branch .LBB44_40
.LBB44_25:                              ;   in Loop: Header=BB44_3 Depth=1
                                        ; implicit-def: $vgpr2_vgpr3
                                        ; implicit-def: $vgpr18_vgpr19_vgpr20_vgpr21_vgpr22_vgpr23_vgpr24_vgpr25_vgpr26_vgpr27_vgpr28_vgpr29_vgpr30_vgpr31_vgpr32_vgpr33
                                        ; implicit-def: $vgpr34_vgpr35_vgpr36_vgpr37_vgpr38_vgpr39_vgpr40_vgpr41_vgpr42_vgpr43_vgpr44_vgpr45_vgpr46_vgpr47_vgpr48_vgpr49
                                        ; implicit-def: $vgpr6
                                        ; implicit-def: $vgpr8_vgpr9
                                        ; implicit-def: $vgpr52_vgpr53
	s_cbranch_execz .LBB44_40
; %bb.26:                               ;   in Loop: Header=BB44_3 Depth=1
	s_load_dword s9, s[42:43], 0x0
	v_mov_b64_e32 v[94:95], 0
	v_mov_b64_e32 v[52:53], v[94:95]
	s_waitcnt lgkmcnt(0)
	s_cmp_lt_u32 s2, s9
	s_cselect_b32 s9, 12, 18
	s_add_u32 s10, s42, s9
	s_addc_u32 s11, s43, 0
	global_load_ushort v2, v5, s[10:11]
	s_waitcnt vmcnt(0)
	v_mad_u32_u24 v2, v98, v2, v1
	v_and_b32_e32 v4, 63, v2
	v_cmp_gt_u32_e32 vcc, 8, v4
	s_and_saveexec_b64 s[10:11], vcc
	s_cbranch_execz .LBB44_30
; %bb.27:                               ;   in Loop: Header=BB44_3 Depth=1
	v_lshl_add_u64 v[2:3], v[92:93], 0, v[4:5]
	v_lshl_add_u64 v[2:3], v[2:3], 0, s[48:49]
	v_mov_b64_e32 v[52:53], 0
	v_cmp_gt_i64_e32 vcc, s[24:25], v[2:3]
	v_mov_b64_e32 v[94:95], v[52:53]
	s_and_saveexec_b64 s[12:13], vcc
	s_cbranch_execz .LBB44_29
; %bb.28:                               ;   in Loop: Header=BB44_3 Depth=1
	v_lshlrev_b64 v[2:3], 3, v[2:3]
	v_lshl_add_u64 v[6:7], s[38:39], 0, v[2:3]
	v_lshl_add_u64 v[2:3], s[36:37], 0, v[2:3]
	global_load_dwordx2 v[52:53], v[2:3], off
	global_load_dwordx2 v[94:95], v[6:7], off
.LBB44_29:                              ;   in Loop: Header=BB44_3 Depth=1
	s_or_b64 exec, exec, s[12:13]
.LBB44_30:                              ;   in Loop: Header=BB44_3 Depth=1
	s_or_b64 exec, exec, s[10:11]
	s_mov_b32 s22, s8
	s_mov_b32 s23, s8
	;; [unrolled: 1-line block ×15, first 2 shown]
	v_mov_b64_e32 v[32:33], s[22:23]
	v_mov_b64_e32 v[30:31], s[20:21]
	v_mov_b64_e32 v[28:29], s[18:19]
	v_mov_b64_e32 v[26:27], s[16:17]
	v_mov_b64_e32 v[24:25], s[14:15]
	v_mov_b64_e32 v[22:23], s[12:13]
	v_mov_b64_e32 v[20:21], s[10:11]
	v_mov_b64_e32 v[18:19], s[8:9]
	v_mov_b64_e32 v[48:49], v[32:33]
	v_mov_b64_e32 v[46:47], v[30:31]
	v_mov_b64_e32 v[44:45], v[28:29]
	v_mov_b64_e32 v[42:43], v[26:27]
	v_mov_b64_e32 v[40:41], v[24:25]
	v_mov_b64_e32 v[38:39], v[22:23]
	v_mov_b64_e32 v[36:37], v[20:21]
	v_mov_b64_e32 v[34:35], v[18:19]
	s_and_saveexec_b64 s[10:11], s[6:7]
	s_cbranch_execnz .LBB44_42
; %bb.31:                               ;   in Loop: Header=BB44_3 Depth=1
	s_or_b64 exec, exec, s[10:11]
	s_and_saveexec_b64 s[10:11], s[6:7]
	s_cbranch_execnz .LBB44_43
.LBB44_32:                              ;   in Loop: Header=BB44_3 Depth=1
	s_or_b64 exec, exec, s[10:11]
	s_and_saveexec_b64 s[10:11], s[6:7]
	s_cbranch_execnz .LBB44_44
.LBB44_33:                              ;   in Loop: Header=BB44_3 Depth=1
	s_or_b64 exec, exec, s[10:11]
	s_and_saveexec_b64 s[10:11], s[6:7]
	s_cbranch_execnz .LBB44_45
.LBB44_34:                              ;   in Loop: Header=BB44_3 Depth=1
	s_or_b64 exec, exec, s[10:11]
	s_and_saveexec_b64 s[10:11], s[6:7]
	s_cbranch_execnz .LBB44_46
.LBB44_35:                              ;   in Loop: Header=BB44_3 Depth=1
	s_or_b64 exec, exec, s[10:11]
	s_and_saveexec_b64 s[10:11], s[6:7]
	s_cbranch_execnz .LBB44_47
.LBB44_36:                              ;   in Loop: Header=BB44_3 Depth=1
	s_or_b64 exec, exec, s[10:11]
	s_and_saveexec_b64 s[10:11], s[6:7]
	s_cbranch_execnz .LBB44_48
.LBB44_37:                              ;   in Loop: Header=BB44_3 Depth=1
	s_or_b64 exec, exec, s[10:11]
	s_and_saveexec_b64 s[10:11], s[6:7]
	s_cbranch_execz .LBB44_39
.LBB44_38:                              ;   in Loop: Header=BB44_3 Depth=1
	v_lshl_add_u64 v[2:3], v[58:59], 0, v[56:57]
	global_load_dwordx2 v[48:49], v[2:3], off
	v_lshl_add_u64 v[2:3], v[60:61], 0, v[56:57]
	global_load_dwordx2 v[32:33], v[2:3], off
.LBB44_39:                              ;   in Loop: Header=BB44_3 Depth=1
	s_or_b64 exec, exec, s[10:11]
	s_waitcnt vmcnt(1)
	ds_bpermute_b32 v2, v99, v52
	ds_bpermute_b32 v3, v99, v53
	s_waitcnt vmcnt(0)
	ds_bpermute_b32 v6, v99, v94
	ds_bpermute_b32 v7, v99, v95
	ds_bpermute_b32 v8, v99, v52 offset:4
	ds_bpermute_b32 v9, v99, v53 offset:4
	s_waitcnt lgkmcnt(4)
	v_add_f64 v[2:3], v[18:19], -v[2:3]
	v_mul_f64 v[2:3], v[34:35], v[2:3]
	s_waitcnt lgkmcnt(2)
	v_fmac_f64_e32 v[90:91], v[2:3], v[6:7]
	ds_bpermute_b32 v6, v99, v94 offset:4
	ds_bpermute_b32 v7, v99, v95 offset:4
	ds_bpermute_b32 v10, v99, v52 offset:8
	ds_bpermute_b32 v11, v99, v53 offset:8
	s_waitcnt lgkmcnt(4)
	v_add_f64 v[8:9], v[20:21], -v[8:9]
	v_mul_f64 v[8:9], v[36:37], v[8:9]
	s_waitcnt lgkmcnt(2)
	v_fmac_f64_e32 v[90:91], v[8:9], v[6:7]
	ds_bpermute_b32 v6, v99, v94 offset:8
	ds_bpermute_b32 v7, v99, v95 offset:8
	s_waitcnt lgkmcnt(2)
	v_add_f64 v[8:9], v[22:23], -v[10:11]
	ds_bpermute_b32 v10, v99, v52 offset:12
	ds_bpermute_b32 v11, v99, v53 offset:12
	v_mul_f64 v[8:9], v[38:39], v[8:9]
	s_waitcnt lgkmcnt(2)
	v_fmac_f64_e32 v[90:91], v[8:9], v[6:7]
	ds_bpermute_b32 v6, v99, v94 offset:12
	ds_bpermute_b32 v7, v99, v95 offset:12
	s_waitcnt lgkmcnt(2)
	v_add_f64 v[8:9], v[24:25], -v[10:11]
	ds_bpermute_b32 v10, v99, v52 offset:16
	ds_bpermute_b32 v11, v99, v53 offset:16
	;; [unrolled: 9-line block ×4, first 2 shown]
	v_add_f64 v[2:3], v[50:51], v[34:35]
	ds_bpermute_b32 v12, v99, v94 offset:24
	ds_bpermute_b32 v13, v99, v95 offset:24
	v_add_f64 v[2:3], v[36:37], v[2:3]
	v_add_f64 v[2:3], v[38:39], v[2:3]
	;; [unrolled: 1-line block ×3, first 2 shown]
	v_mul_f64 v[8:9], v[44:45], v[8:9]
	s_waitcnt lgkmcnt(2)
	v_add_f64 v[10:11], v[30:31], -v[10:11]
	v_add_f64 v[2:3], v[42:43], v[2:3]
	v_fmac_f64_e32 v[90:91], v[8:9], v[6:7]
	v_mul_f64 v[10:11], v[46:47], v[10:11]
	v_add_f64 v[8:9], v[44:45], v[2:3]
	s_waitcnt lgkmcnt(0)
	v_fmac_f64_e32 v[90:91], v[10:11], v[12:13]
	ds_bpermute_b32 v2, v99, v94 offset:28
	ds_bpermute_b32 v3, v99, v95 offset:28
	;; [unrolled: 1-line block ×4, first 2 shown]
	v_add_f64 v[8:9], v[46:47], v[8:9]
	v_mov_b64_e32 v[52:53], v[90:91]
.LBB44_40:                              ;   in Loop: Header=BB44_3 Depth=1
	s_waitcnt lgkmcnt(0)
	v_add_f64 v[6:7], v[32:33], -v[6:7]
	v_mul_f64 v[6:7], v[48:49], v[6:7]
	s_add_u32 s64, s64, s3
	v_fmac_f64_e32 v[52:53], v[6:7], v[2:3]
	s_addc_u32 s65, s65, 0
	v_mov_b64_e32 v[2:3], s[24:25]
	s_add_u32 s46, s46, s3
	v_cmp_lt_i64_e32 vcc, s[64:65], v[2:3]
	v_add_f64 v[50:51], v[8:9], v[48:49]
	v_lshl_add_u64 v[58:59], v[58:59], 0, s[44:45]
	v_lshl_add_u64 v[60:61], v[60:61], 0, s[44:45]
	;; [unrolled: 1-line block ×14, first 2 shown]
	s_addc_u32 s47, s47, 0
	v_lshl_add_u64 v[86:87], v[86:87], 0, s[44:45]
	v_lshl_add_u64 v[88:89], v[88:89], 0, s[44:45]
	s_cbranch_vccz .LBB44_50
; %bb.41:                               ;   in Loop: Header=BB44_3 Depth=1
	v_mov_b64_e32 v[90:91], v[52:53]
	s_branch .LBB44_3
.LBB44_42:                              ;   in Loop: Header=BB44_3 Depth=1
	v_lshl_add_u64 v[2:3], v[86:87], 0, v[56:57]
	global_load_dwordx2 v[2:3], v[2:3], off
	v_lshl_add_u64 v[6:7], v[88:89], 0, v[56:57]
	global_load_dwordx2 v[18:19], v[6:7], off
	v_mov_b32_e32 v16, v5
	v_mov_b32_e32 v17, v5
	;; [unrolled: 1-line block ×13, first 2 shown]
	s_waitcnt vmcnt(1)
	v_mov_b64_e32 v[48:49], v[16:17]
	v_mov_b32_e32 v20, v5
	v_mov_b32_e32 v21, v5
	;; [unrolled: 1-line block ×14, first 2 shown]
	v_mov_b64_e32 v[46:47], v[14:15]
	v_mov_b64_e32 v[44:45], v[12:13]
	;; [unrolled: 1-line block ×7, first 2 shown]
	s_or_b64 exec, exec, s[10:11]
	s_and_saveexec_b64 s[10:11], s[6:7]
	s_cbranch_execz .LBB44_32
.LBB44_43:                              ;   in Loop: Header=BB44_3 Depth=1
	v_lshl_add_u64 v[2:3], v[82:83], 0, v[56:57]
	global_load_dwordx2 v[36:37], v[2:3], off
	v_lshl_add_u64 v[2:3], v[84:85], 0, v[56:57]
	global_load_dwordx2 v[20:21], v[2:3], off
	s_or_b64 exec, exec, s[10:11]
	s_and_saveexec_b64 s[10:11], s[6:7]
	s_cbranch_execz .LBB44_33
.LBB44_44:                              ;   in Loop: Header=BB44_3 Depth=1
	v_lshl_add_u64 v[2:3], v[78:79], 0, v[56:57]
	global_load_dwordx2 v[38:39], v[2:3], off
	v_lshl_add_u64 v[2:3], v[80:81], 0, v[56:57]
	global_load_dwordx2 v[22:23], v[2:3], off
	s_or_b64 exec, exec, s[10:11]
	s_and_saveexec_b64 s[10:11], s[6:7]
	s_cbranch_execz .LBB44_34
.LBB44_45:                              ;   in Loop: Header=BB44_3 Depth=1
	v_lshl_add_u64 v[2:3], v[74:75], 0, v[56:57]
	global_load_dwordx2 v[40:41], v[2:3], off
	v_lshl_add_u64 v[2:3], v[76:77], 0, v[56:57]
	global_load_dwordx2 v[24:25], v[2:3], off
	s_or_b64 exec, exec, s[10:11]
	s_and_saveexec_b64 s[10:11], s[6:7]
	s_cbranch_execz .LBB44_35
.LBB44_46:                              ;   in Loop: Header=BB44_3 Depth=1
	v_lshl_add_u64 v[2:3], v[70:71], 0, v[56:57]
	global_load_dwordx2 v[42:43], v[2:3], off
	v_lshl_add_u64 v[2:3], v[72:73], 0, v[56:57]
	global_load_dwordx2 v[26:27], v[2:3], off
	s_or_b64 exec, exec, s[10:11]
	s_and_saveexec_b64 s[10:11], s[6:7]
	s_cbranch_execz .LBB44_36
.LBB44_47:                              ;   in Loop: Header=BB44_3 Depth=1
	v_lshl_add_u64 v[2:3], v[66:67], 0, v[56:57]
	global_load_dwordx2 v[44:45], v[2:3], off
	v_lshl_add_u64 v[2:3], v[68:69], 0, v[56:57]
	global_load_dwordx2 v[28:29], v[2:3], off
	s_or_b64 exec, exec, s[10:11]
	s_and_saveexec_b64 s[10:11], s[6:7]
	s_cbranch_execz .LBB44_37
.LBB44_48:                              ;   in Loop: Header=BB44_3 Depth=1
	v_lshl_add_u64 v[2:3], v[62:63], 0, v[56:57]
	global_load_dwordx2 v[46:47], v[2:3], off
	v_lshl_add_u64 v[2:3], v[64:65], 0, v[56:57]
	global_load_dwordx2 v[30:31], v[2:3], off
	s_or_b64 exec, exec, s[10:11]
	s_and_saveexec_b64 s[10:11], s[6:7]
	s_cbranch_execnz .LBB44_38
	s_branch .LBB44_39
.LBB44_49:
	s_mov_b64 s[40:41], -1
                                        ; implicit-def: $vgpr50_vgpr51
                                        ; implicit-def: $vgpr52_vgpr53
.LBB44_50:
	s_andn2_b64 vcc, exec, s[40:41]
	s_cbranch_vccnz .LBB44_82
; %bb.51:
	v_mov_b64_e32 v[50:51], 0
	s_and_b64 vcc, exec, s[4:5]
	v_mov_b64_e32 v[52:53], v[50:51]
	s_cbranch_vccnz .LBB44_82
; %bb.52:
	v_and_b32_e32 v1, 0x3ff, v0
	v_add_u32_e32 v4, s33, v1
	v_mov_b32_e32 v5, 0
	v_bfe_u32 v112, v0, 10, 10
	v_lshlrev_b64 v[40:41], 3, v[4:5]
	v_lshlrev_b32_e32 v4, 6, v112
	v_lshl_add_u64 v[2:3], s[34:35], 3, v[4:5]
	v_lshl_add_u64 v[6:7], v[2:3], 0, 8
	v_mov_b64_e32 v[8:9], s[28:29]
	v_mov_b64_e32 v[18:19], s[30:31]
	v_mad_u64_u32 v[42:43], s[4:5], s26, v6, v[8:9]
	v_mul_lo_u32 v4, s26, v7
	v_mul_lo_u32 v7, s27, v6
	v_mad_u64_u32 v[56:57], s[4:5], s26, v6, v[18:19]
	v_lshlrev_b32_e32 v38, 3, v112
	v_mov_b32_e32 v39, v5
	v_add3_u32 v43, v7, v43, v4
	v_lshl_add_u64 v[10:11], v[2:3], 0, 16
	v_lshl_add_u64 v[12:13], v[2:3], 0, 24
	;; [unrolled: 1-line block ×4, first 2 shown]
	v_add3_u32 v57, v7, v57, v4
	v_lshl_add_u64 v[6:7], v[2:3], 0, 48
	v_lshl_add_u64 v[2:3], v[2:3], 0, 56
	v_mad_u64_u32 v[44:45], s[4:5], s26, v10, v[8:9]
	v_mul_lo_u32 v20, s27, v10
	v_mad_u64_u32 v[46:47], s[4:5], s26, v12, v[8:9]
	v_mad_u64_u32 v[48:49], s[4:5], s26, v14, v[8:9]
	;; [unrolled: 1-line block ×6, first 2 shown]
	v_mul_lo_u32 v3, s26, v3
	v_mul_lo_u32 v10, s27, v2
	v_lshl_add_u64 v[8:9], v[38:39], 0, s[34:35]
	v_mad_u64_u32 v[72:73], s[4:5], s26, v2, v[18:19]
	v_mul_lo_u32 v4, s26, v7
	v_mul_lo_u32 v7, s27, v6
	v_add3_u32 v65, v10, v65, v3
	v_mad_u64_u32 v[70:71], s[4:5], s26, v6, v[18:19]
	v_add3_u32 v73, v10, v73, v3
	v_lshl_add_u64 v[2:3], v[8:9], 0, 7
	v_add3_u32 v61, v7, v61, v4
	v_add3_u32 v71, v7, v71, v4
	v_mul_lo_u32 v4, s27, v2
	v_mul_lo_u32 v6, s26, v3
	v_mad_u64_u32 v[2:3], s[4:5], s26, v2, 0
	v_add3_u32 v3, v3, v6, v4
	v_lshl_add_u64 v[6:7], v[8:9], 0, 6
	v_mul_lo_u32 v11, s26, v11
	v_mul_lo_u32 v4, s27, v6
	;; [unrolled: 1-line block ×3, first 2 shown]
	v_mad_u64_u32 v[6:7], s[4:5], s26, v6, 0
	v_add3_u32 v45, v20, v45, v11
	v_add3_u32 v59, v20, v59, v11
	v_add3_u32 v7, v7, v10, v4
	v_lshl_add_u64 v[10:11], v[8:9], 0, 5
	v_mul_lo_u32 v13, s26, v13
	v_mul_lo_u32 v21, s27, v12
	v_mad_u64_u32 v[62:63], s[4:5], s26, v12, v[18:19]
	v_mul_lo_u32 v4, s27, v10
	v_mul_lo_u32 v12, s26, v11
	v_mad_u64_u32 v[10:11], s[4:5], s26, v10, 0
	v_add3_u32 v47, v21, v47, v13
	v_add3_u32 v63, v21, v63, v13
	v_add3_u32 v11, v11, v12, v4
	v_lshl_add_u64 v[12:13], v[8:9], 0, 4
	v_mul_lo_u32 v15, s26, v15
	v_mul_lo_u32 v22, s27, v14
	v_mad_u64_u32 v[66:67], s[4:5], s26, v14, v[18:19]
	v_mul_lo_u32 v4, s27, v12
	v_mul_lo_u32 v14, s26, v13
	;; [unrolled: 10-line block ×3, first 2 shown]
	v_mad_u64_u32 v[14:15], s[4:5], s26, v14, 0
	v_lshlrev_b64 v[2:3], 3, v[2:3]
	v_add3_u32 v55, v23, v55, v17
	v_add3_u32 v69, v23, v69, v17
	;; [unrolled: 1-line block ×3, first 2 shown]
	v_lshl_add_u64 v[16:17], v[8:9], 0, 2
	v_lshl_add_u64 v[78:79], s[28:29], 0, v[2:3]
	;; [unrolled: 1-line block ×3, first 2 shown]
	v_lshlrev_b64 v[2:3], 3, v[6:7]
	v_mul_lo_u32 v4, s27, v16
	v_mul_lo_u32 v18, s26, v17
	v_mad_u64_u32 v[16:17], s[4:5], s26, v16, 0
	s_load_dword s3, s[0:1], 0x44
	v_lshl_add_u64 v[82:83], s[28:29], 0, v[2:3]
	v_lshl_add_u64 v[84:85], s[30:31], 0, v[2:3]
	v_lshlrev_b64 v[2:3], 3, v[10:11]
	v_add3_u32 v17, v17, v18, v4
	v_mov_b64_e32 v[18:19], s[26:27]
	v_lshl_add_u64 v[86:87], s[28:29], 0, v[2:3]
	v_lshl_add_u64 v[88:89], s[30:31], 0, v[2:3]
	v_lshlrev_b64 v[2:3], 3, v[12:13]
	v_mad_u64_u32 v[18:19], s[4:5], s26, v8, v[18:19]
	v_mul_lo_u32 v4, s27, v8
	v_mul_lo_u32 v20, s26, v9
	v_lshl_add_u64 v[90:91], s[28:29], 0, v[2:3]
	v_lshl_add_u64 v[92:93], s[30:31], 0, v[2:3]
	v_lshlrev_b64 v[2:3], 3, v[14:15]
	v_add3_u32 v19, v4, v19, v20
	v_lshl_add_u64 v[94:95], s[28:29], 0, v[2:3]
	v_lshl_add_u64 v[96:97], s[30:31], 0, v[2:3]
	v_lshlrev_b64 v[2:3], 3, v[16:17]
	v_mad_u64_u32 v[8:9], s[4:5], s26, v8, 0
	s_add_u32 s20, s0, 64
	v_lshl_add_u64 v[98:99], s[28:29], 0, v[2:3]
	v_lshl_add_u64 v[100:101], s[30:31], 0, v[2:3]
	v_lshlrev_b64 v[2:3], 3, v[18:19]
	v_add3_u32 v9, v9, v20, v4
	s_addc_u32 s21, s1, 0
	s_waitcnt lgkmcnt(0)
	s_lshl_b32 s3, s3, 7
	v_lshl_add_u64 v[102:103], s[28:29], 0, v[2:3]
	v_lshl_add_u64 v[104:105], s[30:31], 0, v[2:3]
	v_mbcnt_lo_u32_b32 v2, -1, 0
	s_add_u32 s22, s34, 0x7f
	s_mul_i32 s5, s27, s3
	s_mul_hi_u32 s6, s26, s3
	v_lshlrev_b64 v[8:9], 3, v[8:9]
	v_mbcnt_hi_u32_b32 v2, -1, v2
	s_addc_u32 s23, 0, 0
	s_add_i32 s7, s6, s5
	s_mul_i32 s6, s26, s3
	v_lshl_add_u64 v[74:75], s[28:29], 0, v[8:9]
	v_lshl_add_u64 v[76:77], s[30:31], 0, v[8:9]
	s_movk_i32 s28, 0xff81
	s_movk_i32 s30, 0xff82
	;; [unrolled: 1-line block ×8, first 2 shown]
	v_lshlrev_b32_e32 v2, 2, v2
	v_mov_b64_e32 v[52:53], 0
	s_mov_b32 s4, 0
	s_lshl_b64 s[40:41], s[6:7], 3
	s_mov_b32 s29, -1
	s_mov_b32 s31, -1
	;; [unrolled: 1-line block ×8, first 2 shown]
	v_and_b32_e32 v113, 0x100, v2
	v_mov_b64_e32 v[50:51], v[52:53]
	s_branch .LBB44_56
.LBB44_53:                              ;   in Loop: Header=BB44_56 Depth=1
	s_or_b64 exec, exec, s[8:9]
.LBB44_54:                              ;   in Loop: Header=BB44_56 Depth=1
	s_or_b64 exec, exec, s[6:7]
	v_lshl_add_u64 v[12:13], v[58:59], 0, v[40:41]
	global_load_dwordx2 v[12:13], v[12:13], off
	v_lshl_add_u64 v[14:15], v[62:63], 0, v[40:41]
	global_load_dwordx2 v[14:15], v[14:15], off
	;; [unrolled: 2-line block ×3, first 2 shown]
	v_lshl_add_u64 v[10:11], v[56:57], 0, v[40:41]
	v_lshl_add_u64 v[18:19], v[74:75], 0, v[40:41]
	global_load_dwordx2 v[10:11], v[10:11], off
	v_lshl_add_u64 v[16:17], v[66:67], 0, v[40:41]
	global_load_dwordx2 v[18:19], v[18:19], off
	;; [unrolled: 2-line block ×4, first 2 shown]
	global_load_dwordx2 v[26:27], v[22:23], off
	s_waitcnt vmcnt(9)
	ds_bpermute_b32 v106, v113, v6 offset:8
	ds_bpermute_b32 v107, v113, v7 offset:8
	ds_bpermute_b32 v108, v113, v6 offset:12
	ds_bpermute_b32 v109, v113, v7 offset:12
	ds_bpermute_b32 v34, v113, v6
	ds_bpermute_b32 v35, v113, v7
	ds_bpermute_b32 v36, v113, v6 offset:4
	ds_bpermute_b32 v37, v113, v7 offset:4
	v_lshl_add_u64 v[20:21], v[46:47], 0, v[40:41]
	ds_bpermute_b32 v110, v113, v6 offset:16
	ds_bpermute_b32 v111, v113, v7 offset:16
	global_load_dwordx2 v[120:121], v[20:21], off
	s_waitcnt vmcnt(9)
	ds_bpermute_b32 v20, v113, v2 offset:8
	ds_bpermute_b32 v21, v113, v3 offset:8
	v_lshl_add_u64 v[30:31], v[68:69], 0, v[40:41]
	ds_bpermute_b32 v114, v113, v6 offset:20
	ds_bpermute_b32 v115, v113, v7 offset:20
	;; [unrolled: 1-line block ×6, first 2 shown]
	v_lshl_add_u64 v[6:7], v[70:71], 0, v[40:41]
	global_load_dwordx2 v[30:31], v[30:31], off
	v_lshl_add_u64 v[22:23], v[48:49], 0, v[40:41]
	global_load_dwordx2 v[6:7], v[6:7], off
	v_lshl_add_u64 v[28:29], v[54:55], 0, v[40:41]
	v_lshl_add_u64 v[32:33], v[60:61], 0, v[40:41]
	s_waitcnt vmcnt(10) lgkmcnt(14)
	v_add_f64 v[12:13], v[12:13], -v[106:107]
	ds_bpermute_b32 v106, v113, v2
	ds_bpermute_b32 v107, v113, v3
	s_waitcnt vmcnt(9)
	v_add_f64 v[14:15], v[14:15], -v[108:109]
	ds_bpermute_b32 v108, v113, v2 offset:4
	ds_bpermute_b32 v109, v113, v3 offset:4
	s_waitcnt vmcnt(8) lgkmcnt(14)
	v_add_f64 v[8:9], v[8:9], -v[34:35]
	s_waitcnt vmcnt(7)
	v_add_f64 v[10:11], v[10:11], -v[36:37]
	v_lshl_add_u64 v[36:37], v[72:73], 0, v[40:41]
	s_waitcnt vmcnt(6)
	v_mul_f64 v[8:9], v[18:19], v[8:9]
	s_waitcnt lgkmcnt(2)
	v_fmac_f64_e32 v[52:53], v[8:9], v[106:107]
	v_lshl_add_u64 v[34:35], v[64:65], 0, v[40:41]
	s_waitcnt vmcnt(4)
	v_mul_f64 v[10:11], v[24:25], v[10:11]
	v_add_f64 v[16:17], v[16:17], -v[110:111]
	global_load_dwordx2 v[110:111], v[22:23], off
	global_load_dwordx2 v[122:123], v[28:29], off
	;; [unrolled: 1-line block ×3, first 2 shown]
	s_waitcnt vmcnt(6)
	v_mul_f64 v[12:13], v[26:27], v[12:13]
	global_load_dwordx2 v[22:23], v[36:37], off
	s_waitcnt lgkmcnt(0)
	v_fmac_f64_e32 v[52:53], v[10:11], v[108:109]
	v_fmac_f64_e32 v[52:53], v[12:13], v[20:21]
	global_load_dwordx2 v[20:21], v[34:35], off
	ds_bpermute_b32 v10, v113, v2 offset:12
	ds_bpermute_b32 v11, v113, v3 offset:12
	v_add_f64 v[28:29], v[50:51], v[18:19]
	ds_bpermute_b32 v12, v113, v2 offset:16
	ds_bpermute_b32 v13, v113, v3 offset:16
	v_add_f64 v[18:19], v[28:29], v[24:25]
	;; [unrolled: 3-line block ×3, first 2 shown]
	ds_bpermute_b32 v26, v113, v2 offset:24
	ds_bpermute_b32 v27, v113, v3 offset:24
	s_waitcnt vmcnt(7)
	v_mul_f64 v[14:15], v[120:121], v[14:15]
	ds_bpermute_b32 v2, v113, v2 offset:28
	ds_bpermute_b32 v3, v113, v3 offset:28
	s_waitcnt lgkmcnt(8)
	v_fmac_f64_e32 v[52:53], v[14:15], v[10:11]
	v_add_f64 v[18:19], v[18:19], v[120:121]
	s_waitcnt vmcnt(6)
	v_add_f64 v[8:9], v[30:31], -v[114:115]
	s_waitcnt vmcnt(5)
	v_add_f64 v[6:7], v[6:7], -v[116:117]
	s_waitcnt vmcnt(4)
	v_mul_f64 v[16:17], v[110:111], v[16:17]
	s_waitcnt vmcnt(3)
	v_mul_f64 v[8:9], v[122:123], v[8:9]
	s_waitcnt lgkmcnt(6)
	v_fmac_f64_e32 v[52:53], v[16:17], v[12:13]
	s_waitcnt vmcnt(2)
	v_mul_f64 v[6:7], v[124:125], v[6:7]
	v_add_f64 v[18:19], v[18:19], v[110:111]
	s_waitcnt lgkmcnt(4)
	v_fmac_f64_e32 v[52:53], v[8:9], v[24:25]
	s_waitcnt vmcnt(1)
	v_add_f64 v[8:9], v[22:23], -v[118:119]
	v_add_f64 v[10:11], v[18:19], v[122:123]
	s_waitcnt lgkmcnt(2)
	v_fmac_f64_e32 v[52:53], v[6:7], v[26:27]
	s_waitcnt vmcnt(0)
	v_mul_f64 v[8:9], v[20:21], v[8:9]
	v_add_f64 v[6:7], v[10:11], v[124:125]
	s_waitcnt lgkmcnt(0)
	v_mul_f64 v[8:9], v[8:9], v[2:3]
	v_mov_b64_e32 v[2:3], v[52:53]
.LBB44_55:                              ;   in Loop: Header=BB44_56 Depth=1
	s_add_u32 s34, s34, s3
	v_add_f64 v[52:53], v[2:3], v[8:9]
	s_addc_u32 s35, s35, 0
	v_mov_b64_e32 v[2:3], s[24:25]
	s_add_u32 s22, s22, s3
	v_cmp_ge_i64_e32 vcc, s[34:35], v[2:3]
	v_add_f64 v[50:51], v[6:7], v[20:21]
	s_addc_u32 s23, s23, 0
	v_lshl_add_u64 v[42:43], v[42:43], 0, s[40:41]
	v_lshl_add_u64 v[44:45], v[44:45], 0, s[40:41]
	v_lshl_add_u64 v[46:47], v[46:47], 0, s[40:41]
	v_lshl_add_u64 v[48:49], v[48:49], 0, s[40:41]
	v_lshl_add_u64 v[54:55], v[54:55], 0, s[40:41]
	v_lshl_add_u64 v[60:61], v[60:61], 0, s[40:41]
	v_lshl_add_u64 v[64:65], v[64:65], 0, s[40:41]
	v_lshl_add_u64 v[74:75], v[74:75], 0, s[40:41]
	v_lshl_add_u64 v[56:57], v[56:57], 0, s[40:41]
	v_lshl_add_u64 v[58:59], v[58:59], 0, s[40:41]
	v_lshl_add_u64 v[62:63], v[62:63], 0, s[40:41]
	v_lshl_add_u64 v[66:67], v[66:67], 0, s[40:41]
	v_lshl_add_u64 v[68:69], v[68:69], 0, s[40:41]
	v_lshl_add_u64 v[70:71], v[70:71], 0, s[40:41]
	v_lshl_add_u64 v[72:73], v[72:73], 0, s[40:41]
	v_lshl_add_u64 v[76:77], v[76:77], 0, s[40:41]
	v_lshl_add_u64 v[78:79], v[78:79], 0, s[40:41]
	v_lshl_add_u64 v[80:81], v[80:81], 0, s[40:41]
	v_lshl_add_u64 v[82:83], v[82:83], 0, s[40:41]
	v_lshl_add_u64 v[84:85], v[84:85], 0, s[40:41]
	v_lshl_add_u64 v[86:87], v[86:87], 0, s[40:41]
	v_lshl_add_u64 v[88:89], v[88:89], 0, s[40:41]
	v_lshl_add_u64 v[90:91], v[90:91], 0, s[40:41]
	v_lshl_add_u64 v[92:93], v[92:93], 0, s[40:41]
	v_lshl_add_u64 v[94:95], v[94:95], 0, s[40:41]
	v_lshl_add_u64 v[96:97], v[96:97], 0, s[40:41]
	v_lshl_add_u64 v[98:99], v[98:99], 0, s[40:41]
	v_lshl_add_u64 v[100:101], v[100:101], 0, s[40:41]
	v_lshl_add_u64 v[102:103], v[102:103], 0, s[40:41]
	v_lshl_add_u64 v[104:105], v[104:105], 0, s[40:41]
	s_cbranch_vccnz .LBB44_82
.LBB44_56:                              ; =>This Inner Loop Header: Depth=1
	v_mov_b64_e32 v[2:3], s[24:25]
	v_cmp_ge_i64_e32 vcc, s[22:23], v[2:3]
	v_lshl_add_u64 v[106:107], v[38:39], 0, s[22:23]
	s_cbranch_vccz .LBB44_78
; %bb.57:                               ;   in Loop: Header=BB44_56 Depth=1
	s_load_dword s5, s[20:21], 0xc
	v_mov_b64_e32 v[108:109], 0
	v_mov_b64_e32 v[110:111], v[108:109]
	s_waitcnt lgkmcnt(0)
	s_and_b32 s5, s5, 0xffff
	v_mad_u32_u24 v2, v112, s5, v1
	v_and_b32_e32 v4, 63, v2
	v_cmp_gt_u32_e32 vcc, 8, v4
	s_and_saveexec_b64 s[6:7], vcc
	s_cbranch_execz .LBB44_61
; %bb.58:                               ;   in Loop: Header=BB44_56 Depth=1
	v_lshl_add_u64 v[2:3], v[106:107], 0, v[4:5]
	v_lshl_add_u64 v[2:3], v[2:3], 0, s[28:29]
	v_mov_b64_e32 v[110:111], 0
	v_cmp_gt_i64_e32 vcc, s[24:25], v[2:3]
	v_mov_b64_e32 v[108:109], v[110:111]
	s_and_saveexec_b64 s[8:9], vcc
	s_cbranch_execz .LBB44_60
; %bb.59:                               ;   in Loop: Header=BB44_56 Depth=1
	v_lshlrev_b64 v[2:3], 3, v[2:3]
	v_lshl_add_u64 v[6:7], s[38:39], 0, v[2:3]
	v_lshl_add_u64 v[2:3], s[36:37], 0, v[2:3]
	global_load_dwordx2 v[110:111], v[2:3], off
	global_load_dwordx2 v[108:109], v[6:7], off
.LBB44_60:                              ;   in Loop: Header=BB44_56 Depth=1
	s_or_b64 exec, exec, s[8:9]
.LBB44_61:                              ;   in Loop: Header=BB44_56 Depth=1
	s_or_b64 exec, exec, s[6:7]
	s_mov_b32 s18, s4
	s_mov_b32 s19, s4
	;; [unrolled: 1-line block ×15, first 2 shown]
	v_mov_b64_e32 v[36:37], s[18:19]
	v_mov_b64_e32 v[22:23], s[4:5]
	v_lshl_add_u64 v[2:3], v[106:107], 0, s[28:29]
	v_mov_b64_e32 v[34:35], s[16:17]
	v_mov_b64_e32 v[32:33], s[14:15]
	;; [unrolled: 1-line block ×7, first 2 shown]
	v_cmp_gt_i64_e32 vcc, s[24:25], v[2:3]
	v_mov_b64_e32 v[8:9], v[24:25]
	v_mov_b64_e32 v[10:11], v[26:27]
	;; [unrolled: 1-line block ×7, first 2 shown]
	s_and_saveexec_b64 s[6:7], vcc
	s_cbranch_execz .LBB44_63
; %bb.62:                               ;   in Loop: Header=BB44_56 Depth=1
	v_lshl_add_u64 v[2:3], v[74:75], 0, v[40:41]
	global_load_dwordx2 v[2:3], v[2:3], off
	v_lshl_add_u64 v[6:7], v[76:77], 0, v[40:41]
	global_load_dwordx2 v[22:23], v[6:7], off
	v_mov_b32_e32 v6, v5
	v_mov_b32_e32 v7, v5
	v_mov_b32_e32 v8, v5
	v_mov_b32_e32 v9, v5
	v_mov_b32_e32 v10, v5
	v_mov_b32_e32 v11, v5
	v_mov_b32_e32 v12, v5
	v_mov_b32_e32 v13, v5
	v_mov_b32_e32 v14, v5
	v_mov_b32_e32 v15, v5
	v_mov_b32_e32 v16, v5
	v_mov_b32_e32 v17, v5
	v_mov_b32_e32 v4, v5
	s_waitcnt vmcnt(1)
	v_mov_b64_e32 v[20:21], v[16:17]
	v_mov_b32_e32 v24, v5
	v_mov_b32_e32 v25, v5
	;; [unrolled: 1-line block ×14, first 2 shown]
	v_mov_b64_e32 v[18:19], v[14:15]
	v_mov_b64_e32 v[16:17], v[12:13]
	;; [unrolled: 1-line block ×7, first 2 shown]
.LBB44_63:                              ;   in Loop: Header=BB44_56 Depth=1
	s_or_b64 exec, exec, s[6:7]
	v_lshl_add_u64 v[2:3], v[106:107], 0, s[30:31]
	v_cmp_gt_i64_e32 vcc, s[24:25], v[2:3]
	s_and_saveexec_b64 s[6:7], vcc
	s_cbranch_execz .LBB44_65
; %bb.64:                               ;   in Loop: Header=BB44_56 Depth=1
	v_lshl_add_u64 v[2:3], v[102:103], 0, v[40:41]
	global_load_dwordx2 v[8:9], v[2:3], off
	v_lshl_add_u64 v[2:3], v[104:105], 0, v[40:41]
	global_load_dwordx2 v[24:25], v[2:3], off
.LBB44_65:                              ;   in Loop: Header=BB44_56 Depth=1
	s_or_b64 exec, exec, s[6:7]
	v_lshl_add_u64 v[2:3], v[106:107], 0, s[42:43]
	v_cmp_gt_i64_e32 vcc, s[24:25], v[2:3]
	s_and_saveexec_b64 s[6:7], vcc
	s_cbranch_execz .LBB44_67
; %bb.66:                               ;   in Loop: Header=BB44_56 Depth=1
	v_lshl_add_u64 v[2:3], v[98:99], 0, v[40:41]
	global_load_dwordx2 v[10:11], v[2:3], off
	v_lshl_add_u64 v[2:3], v[100:101], 0, v[40:41]
	global_load_dwordx2 v[26:27], v[2:3], off
.LBB44_67:                              ;   in Loop: Header=BB44_56 Depth=1
	;; [unrolled: 11-line block ×7, first 2 shown]
	s_or_b64 exec, exec, s[6:7]
	s_waitcnt vmcnt(1)
	ds_bpermute_b32 v2, v113, v110
	ds_bpermute_b32 v3, v113, v111
	s_waitcnt vmcnt(0)
	ds_bpermute_b32 v114, v113, v108
	ds_bpermute_b32 v115, v113, v109
	ds_bpermute_b32 v116, v113, v110 offset:4
	ds_bpermute_b32 v117, v113, v111 offset:4
	s_waitcnt lgkmcnt(4)
	v_add_f64 v[2:3], v[22:23], -v[2:3]
	v_mul_f64 v[2:3], v[6:7], v[2:3]
	s_waitcnt lgkmcnt(2)
	v_fma_f64 v[2:3], v[2:3], v[114:115], v[52:53]
	ds_bpermute_b32 v22, v113, v108 offset:4
	ds_bpermute_b32 v23, v113, v109 offset:4
	;; [unrolled: 1-line block ×4, first 2 shown]
	v_add_f64 v[6:7], v[50:51], v[6:7]
	s_waitcnt lgkmcnt(4)
	v_add_f64 v[24:25], v[24:25], -v[116:117]
	v_mul_f64 v[24:25], v[8:9], v[24:25]
	v_add_f64 v[6:7], v[8:9], v[6:7]
	ds_bpermute_b32 v8, v113, v108 offset:8
	ds_bpermute_b32 v9, v113, v109 offset:8
	s_waitcnt lgkmcnt(4)
	v_fmac_f64_e32 v[2:3], v[24:25], v[22:23]
	s_waitcnt lgkmcnt(2)
	v_add_f64 v[22:23], v[26:27], -v[114:115]
	ds_bpermute_b32 v24, v113, v110 offset:12
	ds_bpermute_b32 v25, v113, v111 offset:12
	v_mul_f64 v[22:23], v[10:11], v[22:23]
	s_waitcnt lgkmcnt(2)
	v_fmac_f64_e32 v[2:3], v[22:23], v[8:9]
	ds_bpermute_b32 v8, v113, v108 offset:12
	ds_bpermute_b32 v9, v113, v109 offset:12
	v_add_f64 v[6:7], v[10:11], v[6:7]
	s_waitcnt lgkmcnt(2)
	v_add_f64 v[10:11], v[28:29], -v[24:25]
	ds_bpermute_b32 v22, v113, v110 offset:16
	ds_bpermute_b32 v23, v113, v111 offset:16
	v_mul_f64 v[10:11], v[12:13], v[10:11]
	s_waitcnt lgkmcnt(2)
	v_fmac_f64_e32 v[2:3], v[10:11], v[8:9]
	v_add_f64 v[6:7], v[12:13], v[6:7]
	ds_bpermute_b32 v8, v113, v108 offset:16
	ds_bpermute_b32 v9, v113, v109 offset:16
	;; [unrolled: 1-line block ×4, first 2 shown]
	s_waitcnt lgkmcnt(4)
	v_add_f64 v[10:11], v[30:31], -v[22:23]
	v_mul_f64 v[10:11], v[14:15], v[10:11]
	s_waitcnt lgkmcnt(2)
	v_fmac_f64_e32 v[2:3], v[10:11], v[8:9]
	ds_bpermute_b32 v8, v113, v108 offset:20
	ds_bpermute_b32 v9, v113, v109 offset:20
	s_waitcnt lgkmcnt(2)
	v_add_f64 v[10:11], v[32:33], -v[12:13]
	ds_bpermute_b32 v12, v113, v110 offset:24
	ds_bpermute_b32 v13, v113, v111 offset:24
	v_mul_f64 v[10:11], v[16:17], v[10:11]
	s_waitcnt lgkmcnt(2)
	v_fmac_f64_e32 v[2:3], v[10:11], v[8:9]
	ds_bpermute_b32 v8, v113, v108 offset:24
	ds_bpermute_b32 v9, v113, v109 offset:24
	s_waitcnt lgkmcnt(2)
	v_add_f64 v[10:11], v[34:35], -v[12:13]
	ds_bpermute_b32 v12, v113, v110 offset:28
	ds_bpermute_b32 v13, v113, v111 offset:28
	v_add_f64 v[6:7], v[14:15], v[6:7]
	ds_bpermute_b32 v14, v113, v108 offset:28
	ds_bpermute_b32 v15, v113, v109 offset:28
	v_mul_f64 v[10:11], v[18:19], v[10:11]
	s_waitcnt lgkmcnt(4)
	v_fmac_f64_e32 v[2:3], v[10:11], v[8:9]
	s_waitcnt lgkmcnt(2)
	v_add_f64 v[8:9], v[36:37], -v[12:13]
	v_add_f64 v[6:7], v[16:17], v[6:7]
	v_mul_f64 v[8:9], v[20:21], v[8:9]
	v_add_f64 v[6:7], v[18:19], v[6:7]
	s_waitcnt lgkmcnt(0)
	v_mul_f64 v[8:9], v[8:9], v[14:15]
	s_branch .LBB44_55
.LBB44_78:                              ;   in Loop: Header=BB44_56 Depth=1
                                        ; implicit-def: $vgpr20_vgpr21
                                        ; implicit-def: $vgpr8_vgpr9
                                        ; implicit-def: $vgpr6_vgpr7
                                        ; implicit-def: $vgpr2_vgpr3
	s_cbranch_execz .LBB44_55
; %bb.79:                               ;   in Loop: Header=BB44_56 Depth=1
	s_load_dword s5, s[20:21], 0x0
	v_mov_b64_e32 v[2:3], 0
	v_mov_b64_e32 v[6:7], v[2:3]
	s_waitcnt lgkmcnt(0)
	s_cmp_lt_u32 s2, s5
	s_cselect_b32 s5, 12, 18
	s_add_u32 s6, s20, s5
	s_addc_u32 s7, s21, 0
	global_load_ushort v4, v5, s[6:7]
	s_waitcnt vmcnt(0)
	v_mad_u32_u24 v4, v112, v4, v1
	v_and_b32_e32 v4, 63, v4
	v_cmp_gt_u32_e32 vcc, 8, v4
	s_and_saveexec_b64 s[6:7], vcc
	s_cbranch_execz .LBB44_54
; %bb.80:                               ;   in Loop: Header=BB44_56 Depth=1
	v_lshl_add_u64 v[2:3], v[106:107], 0, v[4:5]
	v_lshl_add_u64 v[8:9], v[2:3], 0, s[28:29]
	v_mov_b64_e32 v[6:7], 0
	v_cmp_gt_i64_e32 vcc, s[24:25], v[8:9]
	v_mov_b64_e32 v[2:3], v[6:7]
	s_and_saveexec_b64 s[8:9], vcc
	s_cbranch_execz .LBB44_53
; %bb.81:                               ;   in Loop: Header=BB44_56 Depth=1
	v_lshlrev_b64 v[2:3], 3, v[8:9]
	v_lshl_add_u64 v[10:11], s[36:37], 0, v[2:3]
	v_lshl_add_u64 v[8:9], s[38:39], 0, v[2:3]
	global_load_dwordx2 v[6:7], v[10:11], off
	global_load_dwordx2 v[2:3], v[8:9], off
	s_branch .LBB44_53
.LBB44_82:
	v_and_b32_e32 v2, 0x3ff, v0
	v_bfe_u32 v0, v0, 10, 10
	v_mad_u32_u24 v1, v0, 33, v2
	v_lshl_add_u32 v3, v1, 3, 0
	v_sub_u32_e32 v1, v1, v0
	s_movk_i32 s4, 0x800
	s_mov_b32 s3, 0
	v_cmp_gt_u32_e32 vcc, s4, v1
	ds_write_b64 v3, v[52:53]
	ds_write_b64 v3, v[50:51] offset:4224
	s_waitcnt lgkmcnt(0)
	s_barrier
	s_and_saveexec_b64 s[4:5], vcc
	s_cbranch_execz .LBB44_92
; %bb.83:
	v_mbcnt_lo_u32_b32 v3, -1, 0
	v_mbcnt_hi_u32_b32 v3, -1, v3
	v_and_b32_e32 v4, 64, v3
	v_add_u32_e32 v4, 64, v4
	v_cmp_eq_u32_e64 s[4:5], 0, v2
	v_xor_b32_e32 v2, 8, v3
	v_cmp_lt_i32_e32 vcc, v2, v4
	s_load_dwordx4 s[16:19], s[0:1], 0x30
	s_lshl_b64 s[6:7], s[2:3], 5
	v_cndmask_b32_e32 v2, v3, v2, vcc
	v_lshlrev_b32_e32 v10, 2, v2
	v_xor_b32_e32 v2, 4, v3
	v_cmp_lt_i32_e32 vcc, v2, v4
	s_waitcnt lgkmcnt(0)
	s_cmp_lg_u64 s[16:17], 0
	v_lshrrev_b32_e32 v0, 6, v1
	v_cndmask_b32_e32 v2, v3, v2, vcc
	v_lshlrev_b32_e32 v11, 2, v2
	v_xor_b32_e32 v2, 2, v3
	v_cmp_lt_i32_e32 vcc, v2, v4
	v_and_b32_e32 v6, 63, v1
	v_mov_b32_e32 v1, 0
	v_cndmask_b32_e32 v2, v3, v2, vcc
	v_lshlrev_b32_e32 v12, 2, v2
	v_xor_b32_e32 v2, 1, v3
	v_cmp_lt_i32_e32 vcc, v2, v4
	s_cselect_b64 s[10:11], -1, 0
	s_cmp_lg_u64 s[18:19], 0
	v_cndmask_b32_e32 v2, v3, v2, vcc
	s_cselect_b64 s[12:13], -1, 0
	v_lshlrev_b32_e32 v13, 2, v2
	s_lshl_b64 s[2:3], s[2:3], 8
	v_lshlrev_b32_e32 v2, 3, v0
	v_mov_b32_e32 v3, v1
	v_cmp_gt_u32_e64 s[0:1], 16, v6
	v_lshl_add_u64 v[4:5], s[2:3], 0, v[2:3]
	v_mad_u32_u24 v6, v6, 33, v0
	s_mov_b64 s[8:9], 0
	v_lshl_add_u64 v[2:3], s[18:19], 0, v[4:5]
	v_lshl_add_u64 v[4:5], s[16:17], 0, v[4:5]
	v_lshl_add_u32 v14, v6, 3, 0
                                        ; implicit-def: $vgpr6_vgpr7
                                        ; implicit-def: $vgpr8_vgpr9
	s_branch .LBB44_85
.LBB44_84:                              ;   in Loop: Header=BB44_85 Depth=1
	s_or_b64 exec, exec, s[2:3]
	v_lshl_add_u64 v[0:1], v[0:1], 0, 8
	v_add_u32_e32 v15, -8, v0
	v_cmp_lt_u32_e32 vcc, 23, v15
	v_lshl_add_u64 v[2:3], v[2:3], 0, 64
	v_lshl_add_u64 v[4:5], v[4:5], 0, 64
	s_or_b64 s[8:9], vcc, s[8:9]
	v_add_u32_e32 v14, 64, v14
	s_andn2_b64 exec, exec, s[8:9]
	s_cbranch_execz .LBB44_92
.LBB44_85:                              ; =>This Inner Loop Header: Depth=1
	s_and_saveexec_b64 s[2:3], s[0:1]
	s_cbranch_execz .LBB44_87
; %bb.86:                               ;   in Loop: Header=BB44_85 Depth=1
	ds_read_b64 v[6:7], v14
	ds_read_b64 v[8:9], v14 offset:4224
.LBB44_87:                              ;   in Loop: Header=BB44_85 Depth=1
	s_or_b64 exec, exec, s[2:3]
	s_waitcnt lgkmcnt(1)
	ds_bpermute_b32 v16, v10, v6
	ds_bpermute_b32 v17, v10, v7
	s_waitcnt lgkmcnt(2)
	ds_bpermute_b32 v18, v10, v8
	ds_bpermute_b32 v19, v10, v9
	s_waitcnt lgkmcnt(2)
	v_add_f64 v[6:7], v[6:7], v[16:17]
	ds_bpermute_b32 v16, v11, v6
	ds_bpermute_b32 v17, v11, v7
	s_waitcnt lgkmcnt(2)
	v_add_f64 v[8:9], v[8:9], v[18:19]
	;; [unrolled: 4-line block ×7, first 2 shown]
	v_lshl_add_u64 v[16:17], s[6:7], 0, v[0:1]
	v_cmp_gt_i64_e32 vcc, s[26:27], v[16:17]
	s_waitcnt lgkmcnt(0)
	v_add_f64 v[8:9], v[8:9], v[18:19]
	s_and_b64 s[14:15], s[4:5], vcc
	s_and_saveexec_b64 s[2:3], s[14:15]
	s_cbranch_execz .LBB44_84
; %bb.88:                               ;   in Loop: Header=BB44_85 Depth=1
	s_andn2_b64 vcc, exec, s[10:11]
	s_cbranch_vccnz .LBB44_90
; %bb.89:                               ;   in Loop: Header=BB44_85 Depth=1
	global_store_dwordx2 v[4:5], v[6:7], off
.LBB44_90:                              ;   in Loop: Header=BB44_85 Depth=1
	s_andn2_b64 vcc, exec, s[12:13]
	s_cbranch_vccnz .LBB44_84
; %bb.91:                               ;   in Loop: Header=BB44_85 Depth=1
	global_store_dwordx2 v[2:3], v[8:9], off
	s_branch .LBB44_84
.LBB44_92:
	s_endpgm
	.section	.rodata,"a",@progbits
	.p2align	6, 0x0
	.amdhsa_kernel _ZN2at6native12_GLOBAL__N_135GammaBetaBackwardCUDAKernelTemplateIddLj32ELj16ELj128ELb0ELb0ELb0EEEvllPKT_S5_PKT0_S8_PS3_S9_
		.amdhsa_group_segment_fixed_size 0
		.amdhsa_private_segment_fixed_size 0
		.amdhsa_kernarg_size 320
		.amdhsa_user_sgpr_count 2
		.amdhsa_user_sgpr_dispatch_ptr 0
		.amdhsa_user_sgpr_queue_ptr 0
		.amdhsa_user_sgpr_kernarg_segment_ptr 1
		.amdhsa_user_sgpr_dispatch_id 0
		.amdhsa_user_sgpr_kernarg_preload_length 0
		.amdhsa_user_sgpr_kernarg_preload_offset 0
		.amdhsa_user_sgpr_private_segment_size 0
		.amdhsa_uses_dynamic_stack 0
		.amdhsa_enable_private_segment 0
		.amdhsa_system_sgpr_workgroup_id_x 1
		.amdhsa_system_sgpr_workgroup_id_y 1
		.amdhsa_system_sgpr_workgroup_id_z 0
		.amdhsa_system_sgpr_workgroup_info 0
		.amdhsa_system_vgpr_workitem_id 1
		.amdhsa_next_free_vgpr 126
		.amdhsa_next_free_sgpr 68
		.amdhsa_accum_offset 128
		.amdhsa_reserve_vcc 1
		.amdhsa_float_round_mode_32 0
		.amdhsa_float_round_mode_16_64 0
		.amdhsa_float_denorm_mode_32 3
		.amdhsa_float_denorm_mode_16_64 3
		.amdhsa_dx10_clamp 1
		.amdhsa_ieee_mode 1
		.amdhsa_fp16_overflow 0
		.amdhsa_tg_split 0
		.amdhsa_exception_fp_ieee_invalid_op 0
		.amdhsa_exception_fp_denorm_src 0
		.amdhsa_exception_fp_ieee_div_zero 0
		.amdhsa_exception_fp_ieee_overflow 0
		.amdhsa_exception_fp_ieee_underflow 0
		.amdhsa_exception_fp_ieee_inexact 0
		.amdhsa_exception_int_div_zero 0
	.end_amdhsa_kernel
	.section	.text._ZN2at6native12_GLOBAL__N_135GammaBetaBackwardCUDAKernelTemplateIddLj32ELj16ELj128ELb0ELb0ELb0EEEvllPKT_S5_PKT0_S8_PS3_S9_,"axG",@progbits,_ZN2at6native12_GLOBAL__N_135GammaBetaBackwardCUDAKernelTemplateIddLj32ELj16ELj128ELb0ELb0ELb0EEEvllPKT_S5_PKT0_S8_PS3_S9_,comdat
.Lfunc_end44:
	.size	_ZN2at6native12_GLOBAL__N_135GammaBetaBackwardCUDAKernelTemplateIddLj32ELj16ELj128ELb0ELb0ELb0EEEvllPKT_S5_PKT0_S8_PS3_S9_, .Lfunc_end44-_ZN2at6native12_GLOBAL__N_135GammaBetaBackwardCUDAKernelTemplateIddLj32ELj16ELj128ELb0ELb0ELb0EEEvllPKT_S5_PKT0_S8_PS3_S9_
                                        ; -- End function
	.section	.AMDGPU.csdata,"",@progbits
; Kernel info:
; codeLenInByte = 8320
; NumSgprs: 74
; NumVgprs: 126
; NumAgprs: 0
; TotalNumVgprs: 126
; ScratchSize: 0
; MemoryBound: 1
; FloatMode: 240
; IeeeMode: 1
; LDSByteSize: 0 bytes/workgroup (compile time only)
; SGPRBlocks: 9
; VGPRBlocks: 15
; NumSGPRsForWavesPerEU: 74
; NumVGPRsForWavesPerEU: 126
; AccumOffset: 128
; Occupancy: 4
; WaveLimiterHint : 0
; COMPUTE_PGM_RSRC2:SCRATCH_EN: 0
; COMPUTE_PGM_RSRC2:USER_SGPR: 2
; COMPUTE_PGM_RSRC2:TRAP_HANDLER: 0
; COMPUTE_PGM_RSRC2:TGID_X_EN: 1
; COMPUTE_PGM_RSRC2:TGID_Y_EN: 1
; COMPUTE_PGM_RSRC2:TGID_Z_EN: 0
; COMPUTE_PGM_RSRC2:TIDIG_COMP_CNT: 1
; COMPUTE_PGM_RSRC3_GFX90A:ACCUM_OFFSET: 31
; COMPUTE_PGM_RSRC3_GFX90A:TG_SPLIT: 0
	.section	.text._ZN2at6native12_GLOBAL__N_135GammaBetaBackwardCUDAKernelTemplateIddLj32ELj32ELj256ELb0ELb1ELb0EEEvllPKT_S5_PKT0_S8_PS3_S9_,"axG",@progbits,_ZN2at6native12_GLOBAL__N_135GammaBetaBackwardCUDAKernelTemplateIddLj32ELj32ELj256ELb0ELb1ELb0EEEvllPKT_S5_PKT0_S8_PS3_S9_,comdat
	.globl	_ZN2at6native12_GLOBAL__N_135GammaBetaBackwardCUDAKernelTemplateIddLj32ELj32ELj256ELb0ELb1ELb0EEEvllPKT_S5_PKT0_S8_PS3_S9_ ; -- Begin function _ZN2at6native12_GLOBAL__N_135GammaBetaBackwardCUDAKernelTemplateIddLj32ELj32ELj256ELb0ELb1ELb0EEEvllPKT_S5_PKT0_S8_PS3_S9_
	.p2align	8
	.type	_ZN2at6native12_GLOBAL__N_135GammaBetaBackwardCUDAKernelTemplateIddLj32ELj32ELj256ELb0ELb1ELb0EEEvllPKT_S5_PKT0_S8_PS3_S9_,@function
_ZN2at6native12_GLOBAL__N_135GammaBetaBackwardCUDAKernelTemplateIddLj32ELj32ELj256ELb0ELb1ELb0EEEvllPKT_S5_PKT0_S8_PS3_S9_: ; @_ZN2at6native12_GLOBAL__N_135GammaBetaBackwardCUDAKernelTemplateIddLj32ELj32ELj256ELb0ELb1ELb0EEEvllPKT_S5_PKT0_S8_PS3_S9_
; %bb.0:
	s_load_dwordx4 s[16:19], s[0:1], 0x0
	s_lshl_b32 s6, s3, 8
	s_mov_b32 s7, 0
	v_bfe_u32 v46, v0, 10, 10
	s_waitcnt lgkmcnt(0)
	v_mov_b64_e32 v[2:3], s[16:17]
	v_cmp_lt_i64_e32 vcc, s[6:7], v[2:3]
	s_cbranch_vccnz .LBB45_2
; %bb.1:
	s_mov_b64 s[4:5], 0
	s_mov_b64 s[8:9], 0
	v_bfe_u32 v1, v0, 10, 10
	s_branch .LBB45_3
.LBB45_2:
	s_mov_b64 s[4:5], -1
                                        ; implicit-def: $sgpr8_sgpr9
                                        ; implicit-def: $vgpr1
.LBB45_3:
	v_and_b32_e32 v44, 0x3ff, v0
	s_andn2_b64 vcc, exec, s[4:5]
	v_mov_b64_e32 v[14:15], s[8:9]
	v_mbcnt_lo_u32_b32 v45, -1, 0
	v_mov_b64_e32 v[4:5], s[8:9]
	s_cbranch_vccnz .LBB45_11
; %bb.4:
	s_load_dword s3, s[0:1], 0x4c
	s_load_dword s20, s[0:1], 0x44
	s_load_dwordx8 s[8:15], s[0:1], 0x10
	v_mbcnt_hi_u32_b32 v6, -1, v45
	v_lshlrev_b32_e32 v0, 3, v46
	s_waitcnt lgkmcnt(0)
	s_and_b32 s3, s3, 0xffff
	v_mad_u32_u24 v1, v46, s3, v44
	v_and_b32_e32 v2, 63, v1
	v_mov_b32_e32 v1, 0
	v_lshlrev_b32_e32 v6, 2, v6
	v_mov_b32_e32 v3, v1
	v_and_b32_e32 v47, 0x100, v6
	v_lshl_add_u64 v[6:7], v[0:1], 0, s[6:7]
	v_mov_b32_e32 v5, v1
	s_lshl_b32 s20, s20, 8
	v_lshl_add_u64 v[0:1], v[6:7], 0, v[2:3]
	v_mul_lo_u32 v8, s19, v6
	v_mul_lo_u32 v9, s18, v7
	v_mad_u64_u32 v[6:7], s[24:25], s18, v6, 0
	v_lshl_add_u32 v4, s2, 5, v44
	s_mul_i32 s3, s19, s20
	s_mul_hi_u32 s24, s18, s20
	s_mov_b32 s21, 0
	v_add3_u32 v7, v7, v9, v8
	v_lshlrev_b64 v[4:5], 3, v[4:5]
	s_add_i32 s25, s24, s3
	s_mul_i32 s24, s18, s20
	v_mov_b64_e32 v[8:9], 0
	v_cmp_gt_u32_e64 s[4:5], 8, v2
	v_or_b32_e32 v48, 4, v47
	v_or_b32_e32 v49, 8, v47
	;; [unrolled: 1-line block ×7, first 2 shown]
	v_lshlrev_b64 v[2:3], 3, v[0:1]
	s_lshl_b64 s[22:23], s[20:21], 3
	v_lshl_add_u64 v[6:7], v[6:7], 3, v[4:5]
	s_lshl_b64 s[24:25], s[24:25], 3
	s_lshl_b64 s[18:19], s[18:19], 3
	v_mov_b64_e32 v[10:11], s[16:17]
	v_mov_b64_e32 v[4:5], v[8:9]
	;; [unrolled: 1-line block ×3, first 2 shown]
	s_branch .LBB45_7
.LBB45_5:                               ;   in Loop: Header=BB45_7 Depth=1
	s_or_b64 exec, exec, s[28:29]
.LBB45_6:                               ;   in Loop: Header=BB45_7 Depth=1
	s_or_b64 exec, exec, s[26:27]
	v_lshl_add_u64 v[16:17], s[10:11], 0, v[6:7]
	global_load_dwordx2 v[56:57], v[16:17], off
	v_lshl_add_u64 v[18:19], s[8:9], 0, v[6:7]
	global_load_dwordx2 v[38:39], v[18:19], off
	;; [unrolled: 2-line block ×6, first 2 shown]
	v_lshl_add_u64 v[16:17], v[16:17], 0, s[18:19]
	v_lshl_add_u64 v[18:19], v[18:19], 0, s[18:19]
	global_load_dwordx2 v[36:37], v[16:17], off
	global_load_dwordx2 v[32:33], v[18:19], off
	v_lshl_add_u64 v[16:17], v[16:17], 0, s[18:19]
	v_lshl_add_u64 v[18:19], v[18:19], 0, s[18:19]
	global_load_dwordx2 v[34:35], v[16:17], off
	global_load_dwordx2 v[22:23], v[18:19], off
	;; [unrolled: 4-line block ×3, first 2 shown]
	v_lshl_add_u64 v[16:17], v[16:17], 0, s[18:19]
	global_load_dwordx2 v[26:27], v[16:17], off
	v_lshl_add_u64 v[20:21], v[18:19], 0, s[18:19]
	global_load_dwordx2 v[18:19], v[20:21], off
	v_lshl_add_u64 v[16:17], v[16:17], 0, s[18:19]
	v_lshl_add_u64 v[62:63], v[20:21], 0, s[18:19]
	global_load_dwordx2 v[20:21], v[16:17], off
	s_nop 0
	global_load_dwordx2 v[16:17], v[62:63], off
	s_waitcnt vmcnt(17)
	ds_bpermute_b32 v62, v47, v30
	ds_bpermute_b32 v63, v47, v31
	s_waitcnt vmcnt(16)
	ds_bpermute_b32 v64, v47, v12
	ds_bpermute_b32 v65, v47, v13
	s_add_u32 s6, s6, s20
	s_addc_u32 s7, s7, 0
	v_cmp_lt_i64_e32 vcc, s[6:7], v[10:11]
	v_lshl_add_u64 v[2:3], v[2:3], 0, s[22:23]
	v_lshl_add_u64 v[0:1], v[0:1], 0, s[20:21]
	;; [unrolled: 1-line block ×3, first 2 shown]
	s_and_b64 vcc, exec, vcc
	s_waitcnt vmcnt(15) lgkmcnt(2)
	v_add_f64 v[56:57], v[56:57], -v[62:63]
	ds_bpermute_b32 v62, v48, v30
	ds_bpermute_b32 v63, v48, v31
	s_waitcnt vmcnt(14)
	v_mul_f64 v[56:57], v[38:39], v[56:57]
	s_waitcnt lgkmcnt(2)
	v_fmac_f64_e32 v[4:5], v[56:57], v[64:65]
	ds_bpermute_b32 v56, v48, v12
	ds_bpermute_b32 v57, v48, v13
	s_waitcnt vmcnt(13) lgkmcnt(2)
	v_add_f64 v[58:59], v[58:59], -v[62:63]
	ds_bpermute_b32 v62, v49, v30
	ds_bpermute_b32 v63, v49, v31
	;; [unrolled: 1-line block ×4, first 2 shown]
	s_waitcnt vmcnt(12)
	v_mul_f64 v[58:59], v[40:41], v[58:59]
	s_waitcnt lgkmcnt(4)
	v_fmac_f64_e32 v[4:5], v[58:59], v[56:57]
	ds_bpermute_b32 v56, v50, v30
	ds_bpermute_b32 v57, v50, v31
	s_waitcnt vmcnt(11) lgkmcnt(4)
	v_add_f64 v[60:61], v[60:61], -v[62:63]
	ds_bpermute_b32 v58, v51, v30
	ds_bpermute_b32 v59, v51, v31
	s_waitcnt vmcnt(10)
	v_mul_f64 v[60:61], v[42:43], v[60:61]
	ds_bpermute_b32 v62, v52, v30
	ds_bpermute_b32 v63, v52, v31
	s_waitcnt lgkmcnt(6)
	v_fmac_f64_e32 v[4:5], v[60:61], v[64:65]
	ds_bpermute_b32 v64, v50, v12
	ds_bpermute_b32 v65, v50, v13
	;; [unrolled: 1-line block ×4, first 2 shown]
	v_add_f64 v[14:15], v[14:15], v[38:39]
	ds_bpermute_b32 v38, v51, v12
	ds_bpermute_b32 v39, v51, v13
	;; [unrolled: 1-line block ×4, first 2 shown]
	v_add_f64 v[14:15], v[14:15], v[40:41]
	ds_bpermute_b32 v40, v52, v12
	ds_bpermute_b32 v41, v52, v13
	v_add_f64 v[14:15], v[14:15], v[42:43]
	ds_bpermute_b32 v42, v53, v12
	ds_bpermute_b32 v43, v53, v13
	s_waitcnt vmcnt(9) lgkmcnt(14)
	v_add_f64 v[36:37], v[36:37], -v[56:57]
	ds_bpermute_b32 v12, v54, v12
	s_waitcnt vmcnt(8)
	v_add_f64 v[14:15], v[14:15], v[32:33]
	v_mul_f64 v[32:33], v[32:33], v[36:37]
	s_waitcnt vmcnt(7)
	v_add_f64 v[34:35], v[34:35], -v[58:59]
	ds_bpermute_b32 v13, v54, v13
	s_waitcnt vmcnt(6)
	v_add_f64 v[14:15], v[14:15], v[22:23]
	s_waitcnt lgkmcnt(12)
	v_fmac_f64_e32 v[4:5], v[32:33], v[64:65]
	v_mul_f64 v[22:23], v[22:23], v[34:35]
	s_waitcnt vmcnt(5)
	v_add_f64 v[28:29], v[28:29], -v[62:63]
	s_waitcnt vmcnt(4)
	v_add_f64 v[14:15], v[14:15], v[24:25]
	s_waitcnt lgkmcnt(8)
	v_fmac_f64_e32 v[4:5], v[22:23], v[38:39]
	v_mul_f64 v[22:23], v[24:25], v[28:29]
	s_waitcnt vmcnt(3)
	v_add_f64 v[24:25], v[26:27], -v[60:61]
	s_waitcnt lgkmcnt(4)
	v_fmac_f64_e32 v[4:5], v[22:23], v[40:41]
	s_waitcnt vmcnt(2)
	v_mul_f64 v[22:23], v[18:19], v[24:25]
	v_add_f64 v[14:15], v[14:15], v[18:19]
	s_waitcnt vmcnt(1)
	v_add_f64 v[18:19], v[20:21], -v[30:31]
	s_waitcnt lgkmcnt(2)
	v_fmac_f64_e32 v[4:5], v[22:23], v[42:43]
	s_waitcnt vmcnt(0)
	v_mul_f64 v[18:19], v[16:17], v[18:19]
	s_waitcnt lgkmcnt(0)
	v_fmac_f64_e32 v[4:5], v[18:19], v[12:13]
	v_add_f64 v[14:15], v[14:15], v[16:17]
	s_cbranch_vccz .LBB45_10
.LBB45_7:                               ; =>This Inner Loop Header: Depth=1
	v_mov_b64_e32 v[12:13], v[8:9]
	v_mov_b64_e32 v[30:31], v[8:9]
	s_and_saveexec_b64 s[26:27], s[4:5]
	s_cbranch_execz .LBB45_6
; %bb.8:                                ;   in Loop: Header=BB45_7 Depth=1
	v_mov_b64_e32 v[30:31], 0
	v_cmp_gt_i64_e32 vcc, s[16:17], v[0:1]
	v_mov_b64_e32 v[12:13], v[30:31]
	s_and_saveexec_b64 s[28:29], vcc
	s_cbranch_execz .LBB45_5
; %bb.9:                                ;   in Loop: Header=BB45_7 Depth=1
	v_lshl_add_u64 v[18:19], s[12:13], 0, v[2:3]
	v_lshl_add_u64 v[16:17], s[14:15], 0, v[2:3]
	global_load_dwordx2 v[30:31], v[18:19], off
	global_load_dwordx2 v[12:13], v[16:17], off
	s_branch .LBB45_5
.LBB45_10:
	v_mov_b32_e32 v1, v46
.LBB45_11:
	s_load_dwordx4 s[8:11], s[0:1], 0x30
	v_mad_u32_u24 v0, v1, 33, v44
	v_lshl_add_u32 v2, v0, 3, 0
	v_sub_u32_e32 v0, v0, v1
	s_movk_i32 s0, 0x800
	s_mov_b32 s3, 0
	v_cmp_gt_u32_e32 vcc, s0, v0
	ds_write_b64 v2, v[4:5]
	ds_write_b64 v2, v[14:15] offset:8448
	s_waitcnt lgkmcnt(0)
	s_barrier
	s_and_saveexec_b64 s[0:1], vcc
	s_cbranch_execz .LBB45_21
; %bb.12:
	v_lshrrev_b32_e32 v4, 6, v0
	v_and_b32_e32 v5, 63, v0
	v_mbcnt_hi_u32_b32 v0, -1, v45
	v_and_b32_e32 v2, 64, v0
	v_add_u32_e32 v2, 64, v2
	v_xor_b32_e32 v3, 16, v0
	v_cmp_lt_i32_e32 vcc, v3, v2
	s_cmp_lg_u64 s[8:9], 0
	s_cselect_b64 s[12:13], -1, 0
	v_cndmask_b32_e32 v3, v0, v3, vcc
	v_lshlrev_b32_e32 v8, 2, v3
	v_xor_b32_e32 v3, 8, v0
	v_cmp_lt_i32_e32 vcc, v3, v2
	s_cmp_lg_u64 s[10:11], 0
	v_mov_b32_e32 v1, 0
	v_cndmask_b32_e32 v3, v0, v3, vcc
	v_lshlrev_b32_e32 v9, 2, v3
	v_xor_b32_e32 v3, 4, v0
	v_cmp_lt_i32_e32 vcc, v3, v2
	s_cselect_b64 s[14:15], -1, 0
	s_lshl_b64 s[2:3], s[2:3], 8
	v_cndmask_b32_e32 v3, v0, v3, vcc
	v_lshlrev_b32_e32 v10, 2, v3
	v_xor_b32_e32 v3, 2, v0
	v_cmp_lt_i32_e32 vcc, v3, v2
	v_add_u32_e32 v13, -16, v4
	v_cmp_gt_u32_e64 s[0:1], 32, v5
	v_cndmask_b32_e32 v3, v0, v3, vcc
	v_lshlrev_b32_e32 v11, 2, v3
	v_xor_b32_e32 v3, 1, v0
	v_cmp_lt_i32_e32 vcc, v3, v2
	v_cmp_eq_u32_e64 s[4:5], 0, v44
	s_mov_b64 s[6:7], 0
	v_cndmask_b32_e32 v0, v0, v3, vcc
	v_lshlrev_b32_e32 v12, 2, v0
	v_lshlrev_b32_e32 v0, 3, v4
	v_lshl_add_u64 v[2:3], s[2:3], 0, v[0:1]
	v_mad_u32_u24 v4, v5, 33, v4
	v_lshl_add_u64 v[0:1], s[10:11], 0, v[2:3]
	v_lshl_add_u64 v[2:3], s[8:9], 0, v[2:3]
	v_lshl_add_u32 v14, v4, 3, 0
	s_mov_b64 s[2:3], 0x80
                                        ; implicit-def: $vgpr4_vgpr5
                                        ; implicit-def: $vgpr6_vgpr7
	s_branch .LBB45_14
.LBB45_13:                              ;   in Loop: Header=BB45_14 Depth=1
	s_or_b64 exec, exec, s[8:9]
	v_add_co_u32_e32 v13, vcc, 16, v13
	s_xor_b64 s[8:9], vcc, -1
	s_and_b64 s[8:9], exec, s[8:9]
	v_lshl_add_u64 v[0:1], v[0:1], 0, s[2:3]
	v_lshl_add_u64 v[2:3], v[2:3], 0, s[2:3]
	s_or_b64 s[6:7], s[8:9], s[6:7]
	v_add_u32_e32 v14, 0x80, v14
	s_andn2_b64 exec, exec, s[6:7]
	s_cbranch_execz .LBB45_21
.LBB45_14:                              ; =>This Inner Loop Header: Depth=1
	s_and_saveexec_b64 s[8:9], s[0:1]
	s_cbranch_execz .LBB45_16
; %bb.15:                               ;   in Loop: Header=BB45_14 Depth=1
	ds_read_b64 v[4:5], v14
	ds_read_b64 v[6:7], v14 offset:8448
.LBB45_16:                              ;   in Loop: Header=BB45_14 Depth=1
	s_or_b64 exec, exec, s[8:9]
	s_waitcnt lgkmcnt(1)
	ds_bpermute_b32 v16, v8, v4
	ds_bpermute_b32 v17, v8, v5
	s_waitcnt lgkmcnt(2)
	ds_bpermute_b32 v18, v8, v6
	ds_bpermute_b32 v19, v8, v7
	s_waitcnt lgkmcnt(2)
	v_add_f64 v[4:5], v[4:5], v[16:17]
	ds_bpermute_b32 v16, v9, v4
	s_waitcnt lgkmcnt(1)
	v_add_f64 v[6:7], v[6:7], v[18:19]
	ds_bpermute_b32 v17, v9, v5
	ds_bpermute_b32 v18, v9, v6
	ds_bpermute_b32 v19, v9, v7
	s_waitcnt lgkmcnt(2)
	v_add_f64 v[4:5], v[4:5], v[16:17]
	ds_bpermute_b32 v16, v10, v4
	s_waitcnt lgkmcnt(1)
	v_add_f64 v[6:7], v[6:7], v[18:19]
	ds_bpermute_b32 v17, v10, v5
	;; [unrolled: 8-line block ×4, first 2 shown]
	ds_bpermute_b32 v18, v12, v6
	ds_bpermute_b32 v19, v12, v7
	s_waitcnt lgkmcnt(2)
	v_add_f64 v[4:5], v[4:5], v[16:17]
	s_waitcnt lgkmcnt(0)
	v_add_f64 v[6:7], v[6:7], v[18:19]
	s_and_saveexec_b64 s[8:9], s[4:5]
	s_cbranch_execz .LBB45_13
; %bb.17:                               ;   in Loop: Header=BB45_14 Depth=1
	s_andn2_b64 vcc, exec, s[12:13]
	s_cbranch_vccnz .LBB45_19
; %bb.18:                               ;   in Loop: Header=BB45_14 Depth=1
	global_store_dwordx2 v[2:3], v[4:5], off
.LBB45_19:                              ;   in Loop: Header=BB45_14 Depth=1
	s_andn2_b64 vcc, exec, s[14:15]
	s_cbranch_vccnz .LBB45_13
; %bb.20:                               ;   in Loop: Header=BB45_14 Depth=1
	global_store_dwordx2 v[0:1], v[6:7], off
	s_branch .LBB45_13
.LBB45_21:
	s_endpgm
	.section	.rodata,"a",@progbits
	.p2align	6, 0x0
	.amdhsa_kernel _ZN2at6native12_GLOBAL__N_135GammaBetaBackwardCUDAKernelTemplateIddLj32ELj32ELj256ELb0ELb1ELb0EEEvllPKT_S5_PKT0_S8_PS3_S9_
		.amdhsa_group_segment_fixed_size 0
		.amdhsa_private_segment_fixed_size 0
		.amdhsa_kernarg_size 320
		.amdhsa_user_sgpr_count 2
		.amdhsa_user_sgpr_dispatch_ptr 0
		.amdhsa_user_sgpr_queue_ptr 0
		.amdhsa_user_sgpr_kernarg_segment_ptr 1
		.amdhsa_user_sgpr_dispatch_id 0
		.amdhsa_user_sgpr_kernarg_preload_length 0
		.amdhsa_user_sgpr_kernarg_preload_offset 0
		.amdhsa_user_sgpr_private_segment_size 0
		.amdhsa_uses_dynamic_stack 0
		.amdhsa_enable_private_segment 0
		.amdhsa_system_sgpr_workgroup_id_x 1
		.amdhsa_system_sgpr_workgroup_id_y 1
		.amdhsa_system_sgpr_workgroup_id_z 0
		.amdhsa_system_sgpr_workgroup_info 0
		.amdhsa_system_vgpr_workitem_id 1
		.amdhsa_next_free_vgpr 66
		.amdhsa_next_free_sgpr 30
		.amdhsa_accum_offset 68
		.amdhsa_reserve_vcc 1
		.amdhsa_float_round_mode_32 0
		.amdhsa_float_round_mode_16_64 0
		.amdhsa_float_denorm_mode_32 3
		.amdhsa_float_denorm_mode_16_64 3
		.amdhsa_dx10_clamp 1
		.amdhsa_ieee_mode 1
		.amdhsa_fp16_overflow 0
		.amdhsa_tg_split 0
		.amdhsa_exception_fp_ieee_invalid_op 0
		.amdhsa_exception_fp_denorm_src 0
		.amdhsa_exception_fp_ieee_div_zero 0
		.amdhsa_exception_fp_ieee_overflow 0
		.amdhsa_exception_fp_ieee_underflow 0
		.amdhsa_exception_fp_ieee_inexact 0
		.amdhsa_exception_int_div_zero 0
	.end_amdhsa_kernel
	.section	.text._ZN2at6native12_GLOBAL__N_135GammaBetaBackwardCUDAKernelTemplateIddLj32ELj32ELj256ELb0ELb1ELb0EEEvllPKT_S5_PKT0_S8_PS3_S9_,"axG",@progbits,_ZN2at6native12_GLOBAL__N_135GammaBetaBackwardCUDAKernelTemplateIddLj32ELj32ELj256ELb0ELb1ELb0EEEvllPKT_S5_PKT0_S8_PS3_S9_,comdat
.Lfunc_end45:
	.size	_ZN2at6native12_GLOBAL__N_135GammaBetaBackwardCUDAKernelTemplateIddLj32ELj32ELj256ELb0ELb1ELb0EEEvllPKT_S5_PKT0_S8_PS3_S9_, .Lfunc_end45-_ZN2at6native12_GLOBAL__N_135GammaBetaBackwardCUDAKernelTemplateIddLj32ELj32ELj256ELb0ELb1ELb0EEEvllPKT_S5_PKT0_S8_PS3_S9_
                                        ; -- End function
	.section	.AMDGPU.csdata,"",@progbits
; Kernel info:
; codeLenInByte = 2020
; NumSgprs: 36
; NumVgprs: 66
; NumAgprs: 0
; TotalNumVgprs: 66
; ScratchSize: 0
; MemoryBound: 0
; FloatMode: 240
; IeeeMode: 1
; LDSByteSize: 0 bytes/workgroup (compile time only)
; SGPRBlocks: 4
; VGPRBlocks: 8
; NumSGPRsForWavesPerEU: 36
; NumVGPRsForWavesPerEU: 66
; AccumOffset: 68
; Occupancy: 7
; WaveLimiterHint : 0
; COMPUTE_PGM_RSRC2:SCRATCH_EN: 0
; COMPUTE_PGM_RSRC2:USER_SGPR: 2
; COMPUTE_PGM_RSRC2:TRAP_HANDLER: 0
; COMPUTE_PGM_RSRC2:TGID_X_EN: 1
; COMPUTE_PGM_RSRC2:TGID_Y_EN: 1
; COMPUTE_PGM_RSRC2:TGID_Z_EN: 0
; COMPUTE_PGM_RSRC2:TIDIG_COMP_CNT: 1
; COMPUTE_PGM_RSRC3_GFX90A:ACCUM_OFFSET: 16
; COMPUTE_PGM_RSRC3_GFX90A:TG_SPLIT: 0
	.section	.text._ZN2at6native12_GLOBAL__N_135GammaBetaBackwardCUDAKernelTemplateIddLj32ELj32ELj256ELb0ELb0ELb0EEEvllPKT_S5_PKT0_S8_PS3_S9_,"axG",@progbits,_ZN2at6native12_GLOBAL__N_135GammaBetaBackwardCUDAKernelTemplateIddLj32ELj32ELj256ELb0ELb0ELb0EEEvllPKT_S5_PKT0_S8_PS3_S9_,comdat
	.globl	_ZN2at6native12_GLOBAL__N_135GammaBetaBackwardCUDAKernelTemplateIddLj32ELj32ELj256ELb0ELb0ELb0EEEvllPKT_S5_PKT0_S8_PS3_S9_ ; -- Begin function _ZN2at6native12_GLOBAL__N_135GammaBetaBackwardCUDAKernelTemplateIddLj32ELj32ELj256ELb0ELb0ELb0EEEvllPKT_S5_PKT0_S8_PS3_S9_
	.p2align	8
	.type	_ZN2at6native12_GLOBAL__N_135GammaBetaBackwardCUDAKernelTemplateIddLj32ELj32ELj256ELb0ELb0ELb0EEEvllPKT_S5_PKT0_S8_PS3_S9_,@function
_ZN2at6native12_GLOBAL__N_135GammaBetaBackwardCUDAKernelTemplateIddLj32ELj32ELj256ELb0ELb0ELb0EEEvllPKT_S5_PKT0_S8_PS3_S9_: ; @_ZN2at6native12_GLOBAL__N_135GammaBetaBackwardCUDAKernelTemplateIddLj32ELj32ELj256ELb0ELb0ELb0EEEvllPKT_S5_PKT0_S8_PS3_S9_
; %bb.0:
	s_load_dwordx8 s[24:31], s[0:1], 0x0
	s_load_dwordx4 s[36:39], s[0:1], 0x20
	s_lshl_b32 s33, s2, 5
	s_or_b32 s34, s33, 31
	s_mov_b32 s35, 0
	s_waitcnt lgkmcnt(0)
	v_mov_b64_e32 v[2:3], s[26:27]
	v_cmp_ge_i64_e32 vcc, s[34:35], v[2:3]
	s_lshl_b32 s34, s3, 8
	v_mov_b64_e32 v[2:3], s[24:25]
	v_cmp_lt_i64_e64 s[4:5], s[34:35], v[2:3]
	s_nop 1
	v_cndmask_b32_e64 v1, 0, 1, s[4:5]
	v_cmp_ne_u32_e64 s[4:5], 1, v1
	s_cbranch_vccz .LBB46_49
; %bb.1:
	v_mov_b64_e32 v[50:51], 0
	s_mov_b64 s[40:41], 0
	s_and_b64 vcc, exec, s[4:5]
	v_mov_b64_e32 v[52:53], v[50:51]
	s_cbranch_vccnz .LBB46_50
; %bb.2:
	v_mov_b32_e32 v5, 0
	v_bfe_u32 v98, v0, 10, 10
	s_load_dword s3, s[0:1], 0x44
	v_lshlrev_b32_e32 v54, 3, v98
	v_mov_b32_e32 v55, v5
	v_and_b32_e32 v1, 0x3ff, v0
	v_lshl_add_u64 v[2:3], v[54:55], 0, s[34:35]
	v_add_u32_e32 v4, s33, v1
	v_lshl_add_u64 v[6:7], v[2:3], 0, 7
	s_add_u32 s42, s0, 64
	v_cmp_gt_i64_e64 s[6:7], s[26:27], v[4:5]
	v_lshlrev_b64 v[56:57], 3, v[4:5]
	v_mul_lo_u32 v4, s27, v6
	v_mul_lo_u32 v8, s26, v7
	v_mad_u64_u32 v[6:7], s[10:11], s26, v6, 0
	s_addc_u32 s43, s1, 0
	s_waitcnt lgkmcnt(0)
	s_lshl_b32 s3, s3, 8
	v_add3_u32 v7, v7, v8, v4
	v_lshlrev_b64 v[6:7], 3, v[6:7]
	s_mul_i32 s9, s27, s3
	s_mul_hi_u32 s10, s26, s3
	v_lshl_add_u64 v[58:59], s[28:29], 0, v[6:7]
	s_add_i32 s11, s10, s9
	s_mul_i32 s10, s26, s3
	v_lshl_add_u64 v[60:61], s[30:31], 0, v[6:7]
	v_lshl_add_u64 v[6:7], v[2:3], 0, 6
	s_lshl_b64 s[44:45], s[10:11], 3
	v_mul_lo_u32 v4, s27, v6
	v_mul_lo_u32 v8, s26, v7
	v_mad_u64_u32 v[6:7], s[10:11], s26, v6, 0
	v_add3_u32 v7, v7, v8, v4
	v_lshlrev_b64 v[6:7], 3, v[6:7]
	v_lshl_add_u64 v[62:63], s[28:29], 0, v[6:7]
	v_lshl_add_u64 v[64:65], s[30:31], 0, v[6:7]
	v_lshl_add_u64 v[6:7], v[2:3], 0, 5
	v_mul_lo_u32 v4, s27, v6
	v_mul_lo_u32 v8, s26, v7
	v_mad_u64_u32 v[6:7], s[10:11], s26, v6, 0
	v_add3_u32 v7, v7, v8, v4
	v_lshlrev_b64 v[6:7], 3, v[6:7]
	v_lshl_add_u64 v[66:67], s[28:29], 0, v[6:7]
	v_lshl_add_u64 v[68:69], s[30:31], 0, v[6:7]
	v_lshl_add_u64 v[6:7], v[2:3], 0, 4
	;; [unrolled: 8-line block ×4, first 2 shown]
	v_mul_lo_u32 v4, s27, v6
	v_mul_lo_u32 v8, s26, v7
	v_mad_u64_u32 v[6:7], s[10:11], s26, v6, 0
	v_add3_u32 v7, v7, v8, v4
	v_lshlrev_b64 v[6:7], 3, v[6:7]
	v_lshl_add_u64 v[78:79], s[28:29], 0, v[6:7]
	v_lshl_add_u64 v[80:81], s[30:31], 0, v[6:7]
	v_mov_b64_e32 v[6:7], s[26:27]
	v_mad_u64_u32 v[6:7], s[10:11], s26, v2, v[6:7]
	v_mul_lo_u32 v4, s26, v3
	v_mul_lo_u32 v8, s27, v2
	v_mad_u64_u32 v[2:3], s[10:11], s26, v2, 0
	v_add3_u32 v3, v3, v4, v8
	v_lshlrev_b64 v[2:3], 3, v[2:3]
	v_lshl_add_u64 v[86:87], s[28:29], 0, v[2:3]
	v_lshl_add_u64 v[88:89], s[30:31], 0, v[2:3]
	v_mbcnt_lo_u32_b32 v2, -1, 0
	v_add3_u32 v7, v8, v7, v4
	v_mbcnt_hi_u32_b32 v2, -1, v2
	v_lshlrev_b64 v[6:7], 3, v[6:7]
	s_add_u32 s46, s34, 0xff
	v_mov_b64_e32 v[90:91], 0
	s_movk_i32 s48, 0xff01
	s_movk_i32 s50, 0xff02
	;; [unrolled: 1-line block ×8, first 2 shown]
	v_lshlrev_b32_e32 v2, 2, v2
	s_mov_b32 s8, 0
	v_lshl_add_u64 v[82:83], s[28:29], 0, v[6:7]
	v_lshl_add_u64 v[84:85], s[30:31], 0, v[6:7]
	s_addc_u32 s47, 0, 0
	s_mov_b32 s49, -1
	s_mov_b32 s51, -1
	;; [unrolled: 1-line block ×8, first 2 shown]
	v_and_b32_e32 v99, 0x100, v2
	v_mov_b64_e32 v[50:51], v[90:91]
	s_mov_b64 s[64:65], s[34:35]
.LBB46_3:                               ; =>This Inner Loop Header: Depth=1
	v_mov_b64_e32 v[2:3], s[24:25]
	v_cmp_ge_i64_e32 vcc, s[46:47], v[2:3]
	v_lshl_add_u64 v[92:93], v[54:55], 0, s[46:47]
	s_cbranch_vccz .LBB46_25
; %bb.4:                                ;   in Loop: Header=BB46_3 Depth=1
	s_load_dword s9, s[42:43], 0xc
	v_mov_b64_e32 v[96:97], 0
	v_mov_b64_e32 v[94:95], v[96:97]
	s_waitcnt lgkmcnt(0)
	s_and_b32 s9, s9, 0xffff
	v_mad_u32_u24 v2, v98, s9, v1
	v_and_b32_e32 v4, 63, v2
	v_cmp_gt_u32_e32 vcc, 8, v4
	s_and_saveexec_b64 s[10:11], vcc
	s_cbranch_execz .LBB46_8
; %bb.5:                                ;   in Loop: Header=BB46_3 Depth=1
	v_lshl_add_u64 v[2:3], v[92:93], 0, v[4:5]
	v_lshl_add_u64 v[2:3], v[2:3], 0, s[48:49]
	v_mov_b64_e32 v[94:95], 0
	v_cmp_gt_i64_e32 vcc, s[24:25], v[2:3]
	v_mov_b64_e32 v[96:97], v[94:95]
	s_and_saveexec_b64 s[12:13], vcc
	s_cbranch_execz .LBB46_7
; %bb.6:                                ;   in Loop: Header=BB46_3 Depth=1
	v_lshlrev_b64 v[2:3], 3, v[2:3]
	v_lshl_add_u64 v[6:7], s[38:39], 0, v[2:3]
	v_lshl_add_u64 v[2:3], s[36:37], 0, v[2:3]
	global_load_dwordx2 v[94:95], v[2:3], off
	global_load_dwordx2 v[96:97], v[6:7], off
.LBB46_7:                               ;   in Loop: Header=BB46_3 Depth=1
	s_or_b64 exec, exec, s[12:13]
.LBB46_8:                               ;   in Loop: Header=BB46_3 Depth=1
	s_or_b64 exec, exec, s[10:11]
	s_mov_b32 s22, s8
	s_mov_b32 s23, s8
	v_lshl_add_u64 v[2:3], v[92:93], 0, s[48:49]
	s_mov_b32 s9, s8
	s_mov_b32 s10, s8
	;; [unrolled: 1-line block ×13, first 2 shown]
	v_mov_b64_e32 v[32:33], s[22:23]
	v_cmp_gt_i64_e32 vcc, s[24:25], v[2:3]
	v_mov_b64_e32 v[30:31], s[20:21]
	v_mov_b64_e32 v[28:29], s[18:19]
	;; [unrolled: 1-line block ×8, first 2 shown]
	s_and_b64 s[66:67], s[6:7], vcc
	v_mov_b64_e32 v[46:47], v[30:31]
	v_mov_b64_e32 v[44:45], v[28:29]
	;; [unrolled: 1-line block ×7, first 2 shown]
	s_and_saveexec_b64 s[10:11], s[66:67]
	s_cbranch_execz .LBB46_10
; %bb.9:                                ;   in Loop: Header=BB46_3 Depth=1
	v_lshl_add_u64 v[2:3], v[86:87], 0, v[56:57]
	global_load_dwordx2 v[2:3], v[2:3], off
	v_lshl_add_u64 v[6:7], v[88:89], 0, v[56:57]
	global_load_dwordx2 v[18:19], v[6:7], off
	v_mov_b32_e32 v16, v5
	v_mov_b32_e32 v17, v5
	;; [unrolled: 1-line block ×13, first 2 shown]
	s_waitcnt vmcnt(1)
	v_mov_b64_e32 v[48:49], v[16:17]
	v_mov_b32_e32 v20, v5
	v_mov_b32_e32 v21, v5
	;; [unrolled: 1-line block ×14, first 2 shown]
	v_mov_b64_e32 v[46:47], v[14:15]
	v_mov_b64_e32 v[44:45], v[12:13]
	;; [unrolled: 1-line block ×7, first 2 shown]
.LBB46_10:                              ;   in Loop: Header=BB46_3 Depth=1
	s_or_b64 exec, exec, s[10:11]
	v_lshl_add_u64 v[2:3], v[92:93], 0, s[50:51]
	v_cmp_gt_i64_e32 vcc, s[24:25], v[2:3]
	s_and_b64 s[12:13], s[6:7], vcc
	s_and_saveexec_b64 s[10:11], s[12:13]
	s_cbranch_execz .LBB46_12
; %bb.11:                               ;   in Loop: Header=BB46_3 Depth=1
	v_lshl_add_u64 v[2:3], v[82:83], 0, v[56:57]
	global_load_dwordx2 v[36:37], v[2:3], off
	v_lshl_add_u64 v[2:3], v[84:85], 0, v[56:57]
	global_load_dwordx2 v[20:21], v[2:3], off
.LBB46_12:                              ;   in Loop: Header=BB46_3 Depth=1
	s_or_b64 exec, exec, s[10:11]
	v_lshl_add_u64 v[2:3], v[92:93], 0, s[52:53]
	v_cmp_gt_i64_e32 vcc, s[24:25], v[2:3]
	s_and_b64 s[12:13], s[6:7], vcc
	s_and_saveexec_b64 s[10:11], s[12:13]
	s_cbranch_execz .LBB46_14
; %bb.13:                               ;   in Loop: Header=BB46_3 Depth=1
	v_lshl_add_u64 v[2:3], v[78:79], 0, v[56:57]
	global_load_dwordx2 v[38:39], v[2:3], off
	v_lshl_add_u64 v[2:3], v[80:81], 0, v[56:57]
	global_load_dwordx2 v[22:23], v[2:3], off
.LBB46_14:                              ;   in Loop: Header=BB46_3 Depth=1
	s_or_b64 exec, exec, s[10:11]
	v_lshl_add_u64 v[2:3], v[92:93], 0, s[54:55]
	v_cmp_gt_i64_e32 vcc, s[24:25], v[2:3]
	s_and_b64 s[12:13], s[6:7], vcc
	s_and_saveexec_b64 s[10:11], s[12:13]
	s_cbranch_execz .LBB46_16
; %bb.15:                               ;   in Loop: Header=BB46_3 Depth=1
	v_lshl_add_u64 v[2:3], v[74:75], 0, v[56:57]
	global_load_dwordx2 v[40:41], v[2:3], off
	v_lshl_add_u64 v[2:3], v[76:77], 0, v[56:57]
	global_load_dwordx2 v[24:25], v[2:3], off
.LBB46_16:                              ;   in Loop: Header=BB46_3 Depth=1
	s_or_b64 exec, exec, s[10:11]
	v_lshl_add_u64 v[2:3], v[92:93], 0, s[56:57]
	v_cmp_gt_i64_e32 vcc, s[24:25], v[2:3]
	s_and_b64 s[12:13], s[6:7], vcc
	s_and_saveexec_b64 s[10:11], s[12:13]
	s_cbranch_execz .LBB46_18
; %bb.17:                               ;   in Loop: Header=BB46_3 Depth=1
	v_lshl_add_u64 v[2:3], v[70:71], 0, v[56:57]
	global_load_dwordx2 v[42:43], v[2:3], off
	v_lshl_add_u64 v[2:3], v[72:73], 0, v[56:57]
	global_load_dwordx2 v[26:27], v[2:3], off
.LBB46_18:                              ;   in Loop: Header=BB46_3 Depth=1
	s_or_b64 exec, exec, s[10:11]
	v_lshl_add_u64 v[2:3], v[92:93], 0, s[58:59]
	v_cmp_gt_i64_e32 vcc, s[24:25], v[2:3]
	s_and_b64 s[12:13], s[6:7], vcc
	s_and_saveexec_b64 s[10:11], s[12:13]
	s_cbranch_execz .LBB46_20
; %bb.19:                               ;   in Loop: Header=BB46_3 Depth=1
	v_lshl_add_u64 v[2:3], v[66:67], 0, v[56:57]
	global_load_dwordx2 v[44:45], v[2:3], off
	v_lshl_add_u64 v[2:3], v[68:69], 0, v[56:57]
	global_load_dwordx2 v[28:29], v[2:3], off
.LBB46_20:                              ;   in Loop: Header=BB46_3 Depth=1
	s_or_b64 exec, exec, s[10:11]
	v_lshl_add_u64 v[2:3], v[92:93], 0, s[60:61]
	v_cmp_gt_i64_e32 vcc, s[24:25], v[2:3]
	s_and_b64 s[12:13], s[6:7], vcc
	s_and_saveexec_b64 s[10:11], s[12:13]
	s_cbranch_execz .LBB46_22
; %bb.21:                               ;   in Loop: Header=BB46_3 Depth=1
	v_lshl_add_u64 v[2:3], v[62:63], 0, v[56:57]
	global_load_dwordx2 v[46:47], v[2:3], off
	v_lshl_add_u64 v[2:3], v[64:65], 0, v[56:57]
	global_load_dwordx2 v[30:31], v[2:3], off
.LBB46_22:                              ;   in Loop: Header=BB46_3 Depth=1
	s_or_b64 exec, exec, s[10:11]
	v_lshl_add_u64 v[2:3], v[92:93], 0, s[62:63]
	v_cmp_gt_i64_e32 vcc, s[24:25], v[2:3]
	s_and_b64 s[12:13], s[6:7], vcc
	s_and_saveexec_b64 s[10:11], s[12:13]
	s_cbranch_execz .LBB46_24
; %bb.23:                               ;   in Loop: Header=BB46_3 Depth=1
	v_lshl_add_u64 v[2:3], v[58:59], 0, v[56:57]
	global_load_dwordx2 v[48:49], v[2:3], off
	v_lshl_add_u64 v[2:3], v[60:61], 0, v[56:57]
	global_load_dwordx2 v[32:33], v[2:3], off
.LBB46_24:                              ;   in Loop: Header=BB46_3 Depth=1
	s_or_b64 exec, exec, s[10:11]
	s_waitcnt vmcnt(1)
	ds_bpermute_b32 v2, v99, v94
	ds_bpermute_b32 v3, v99, v95
	s_waitcnt vmcnt(0)
	ds_bpermute_b32 v6, v99, v96
	ds_bpermute_b32 v7, v99, v97
	ds_bpermute_b32 v8, v99, v94 offset:4
	ds_bpermute_b32 v9, v99, v95 offset:4
	s_waitcnt lgkmcnt(4)
	v_add_f64 v[2:3], v[18:19], -v[2:3]
	v_mul_f64 v[2:3], v[34:35], v[2:3]
	s_waitcnt lgkmcnt(2)
	v_fma_f64 v[52:53], v[2:3], v[6:7], v[90:91]
	ds_bpermute_b32 v6, v99, v96 offset:4
	ds_bpermute_b32 v7, v99, v97 offset:4
	;; [unrolled: 1-line block ×4, first 2 shown]
	s_waitcnt lgkmcnt(4)
	v_add_f64 v[8:9], v[20:21], -v[8:9]
	v_mul_f64 v[8:9], v[36:37], v[8:9]
	s_waitcnt lgkmcnt(2)
	v_fmac_f64_e32 v[52:53], v[8:9], v[6:7]
	ds_bpermute_b32 v6, v99, v96 offset:8
	ds_bpermute_b32 v7, v99, v97 offset:8
	s_waitcnt lgkmcnt(2)
	v_add_f64 v[8:9], v[22:23], -v[10:11]
	ds_bpermute_b32 v10, v99, v94 offset:12
	ds_bpermute_b32 v11, v99, v95 offset:12
	v_mul_f64 v[8:9], v[38:39], v[8:9]
	s_waitcnt lgkmcnt(2)
	v_fmac_f64_e32 v[52:53], v[8:9], v[6:7]
	ds_bpermute_b32 v6, v99, v96 offset:12
	ds_bpermute_b32 v7, v99, v97 offset:12
	s_waitcnt lgkmcnt(2)
	v_add_f64 v[8:9], v[24:25], -v[10:11]
	ds_bpermute_b32 v10, v99, v94 offset:16
	ds_bpermute_b32 v11, v99, v95 offset:16
	;; [unrolled: 9-line block ×3, first 2 shown]
	v_mul_f64 v[8:9], v[42:43], v[8:9]
	v_add_f64 v[2:3], v[50:51], v[34:35]
	s_waitcnt lgkmcnt(2)
	v_fmac_f64_e32 v[52:53], v[8:9], v[6:7]
	ds_bpermute_b32 v6, v99, v96 offset:20
	ds_bpermute_b32 v7, v99, v97 offset:20
	v_add_f64 v[2:3], v[36:37], v[2:3]
	v_add_f64 v[2:3], v[38:39], v[2:3]
	s_waitcnt lgkmcnt(2)
	v_add_f64 v[8:9], v[28:29], -v[10:11]
	ds_bpermute_b32 v10, v99, v94 offset:24
	ds_bpermute_b32 v11, v99, v95 offset:24
	v_add_f64 v[2:3], v[40:41], v[2:3]
	v_add_f64 v[2:3], v[42:43], v[2:3]
	v_mul_f64 v[8:9], v[44:45], v[8:9]
	ds_bpermute_b32 v12, v99, v96 offset:24
	ds_bpermute_b32 v13, v99, v97 offset:24
	s_waitcnt lgkmcnt(4)
	v_fmac_f64_e32 v[52:53], v[8:9], v[6:7]
	v_add_f64 v[8:9], v[44:45], v[2:3]
	ds_bpermute_b32 v2, v99, v96 offset:28
	ds_bpermute_b32 v3, v99, v97 offset:28
	;; [unrolled: 1-line block ×4, first 2 shown]
	s_waitcnt lgkmcnt(6)
	v_add_f64 v[10:11], v[30:31], -v[10:11]
	v_mul_f64 v[10:11], v[46:47], v[10:11]
	s_waitcnt lgkmcnt(4)
	v_fmac_f64_e32 v[52:53], v[10:11], v[12:13]
	v_add_f64 v[8:9], v[46:47], v[8:9]
	s_branch .LBB46_40
.LBB46_25:                              ;   in Loop: Header=BB46_3 Depth=1
                                        ; implicit-def: $vgpr2_vgpr3
                                        ; implicit-def: $vgpr18_vgpr19_vgpr20_vgpr21_vgpr22_vgpr23_vgpr24_vgpr25_vgpr26_vgpr27_vgpr28_vgpr29_vgpr30_vgpr31_vgpr32_vgpr33
                                        ; implicit-def: $vgpr34_vgpr35_vgpr36_vgpr37_vgpr38_vgpr39_vgpr40_vgpr41_vgpr42_vgpr43_vgpr44_vgpr45_vgpr46_vgpr47_vgpr48_vgpr49
                                        ; implicit-def: $vgpr6
                                        ; implicit-def: $vgpr8_vgpr9
                                        ; implicit-def: $vgpr52_vgpr53
	s_cbranch_execz .LBB46_40
; %bb.26:                               ;   in Loop: Header=BB46_3 Depth=1
	s_load_dword s9, s[42:43], 0x0
	v_mov_b64_e32 v[94:95], 0
	v_mov_b64_e32 v[52:53], v[94:95]
	s_waitcnt lgkmcnt(0)
	s_cmp_lt_u32 s2, s9
	s_cselect_b32 s9, 12, 18
	s_add_u32 s10, s42, s9
	s_addc_u32 s11, s43, 0
	global_load_ushort v2, v5, s[10:11]
	s_waitcnt vmcnt(0)
	v_mad_u32_u24 v2, v98, v2, v1
	v_and_b32_e32 v4, 63, v2
	v_cmp_gt_u32_e32 vcc, 8, v4
	s_and_saveexec_b64 s[10:11], vcc
	s_cbranch_execz .LBB46_30
; %bb.27:                               ;   in Loop: Header=BB46_3 Depth=1
	v_lshl_add_u64 v[2:3], v[92:93], 0, v[4:5]
	v_lshl_add_u64 v[2:3], v[2:3], 0, s[48:49]
	v_mov_b64_e32 v[52:53], 0
	v_cmp_gt_i64_e32 vcc, s[24:25], v[2:3]
	v_mov_b64_e32 v[94:95], v[52:53]
	s_and_saveexec_b64 s[12:13], vcc
	s_cbranch_execz .LBB46_29
; %bb.28:                               ;   in Loop: Header=BB46_3 Depth=1
	v_lshlrev_b64 v[2:3], 3, v[2:3]
	v_lshl_add_u64 v[6:7], s[38:39], 0, v[2:3]
	v_lshl_add_u64 v[2:3], s[36:37], 0, v[2:3]
	global_load_dwordx2 v[52:53], v[2:3], off
	global_load_dwordx2 v[94:95], v[6:7], off
.LBB46_29:                              ;   in Loop: Header=BB46_3 Depth=1
	s_or_b64 exec, exec, s[12:13]
.LBB46_30:                              ;   in Loop: Header=BB46_3 Depth=1
	s_or_b64 exec, exec, s[10:11]
	s_mov_b32 s22, s8
	s_mov_b32 s23, s8
	;; [unrolled: 1-line block ×15, first 2 shown]
	v_mov_b64_e32 v[32:33], s[22:23]
	v_mov_b64_e32 v[30:31], s[20:21]
	;; [unrolled: 1-line block ×16, first 2 shown]
	s_and_saveexec_b64 s[10:11], s[6:7]
	s_cbranch_execnz .LBB46_42
; %bb.31:                               ;   in Loop: Header=BB46_3 Depth=1
	s_or_b64 exec, exec, s[10:11]
	s_and_saveexec_b64 s[10:11], s[6:7]
	s_cbranch_execnz .LBB46_43
.LBB46_32:                              ;   in Loop: Header=BB46_3 Depth=1
	s_or_b64 exec, exec, s[10:11]
	s_and_saveexec_b64 s[10:11], s[6:7]
	s_cbranch_execnz .LBB46_44
.LBB46_33:                              ;   in Loop: Header=BB46_3 Depth=1
	s_or_b64 exec, exec, s[10:11]
	s_and_saveexec_b64 s[10:11], s[6:7]
	s_cbranch_execnz .LBB46_45
.LBB46_34:                              ;   in Loop: Header=BB46_3 Depth=1
	s_or_b64 exec, exec, s[10:11]
	s_and_saveexec_b64 s[10:11], s[6:7]
	s_cbranch_execnz .LBB46_46
.LBB46_35:                              ;   in Loop: Header=BB46_3 Depth=1
	s_or_b64 exec, exec, s[10:11]
	s_and_saveexec_b64 s[10:11], s[6:7]
	s_cbranch_execnz .LBB46_47
.LBB46_36:                              ;   in Loop: Header=BB46_3 Depth=1
	s_or_b64 exec, exec, s[10:11]
	s_and_saveexec_b64 s[10:11], s[6:7]
	s_cbranch_execnz .LBB46_48
.LBB46_37:                              ;   in Loop: Header=BB46_3 Depth=1
	s_or_b64 exec, exec, s[10:11]
	s_and_saveexec_b64 s[10:11], s[6:7]
	s_cbranch_execz .LBB46_39
.LBB46_38:                              ;   in Loop: Header=BB46_3 Depth=1
	v_lshl_add_u64 v[2:3], v[58:59], 0, v[56:57]
	global_load_dwordx2 v[48:49], v[2:3], off
	v_lshl_add_u64 v[2:3], v[60:61], 0, v[56:57]
	global_load_dwordx2 v[32:33], v[2:3], off
.LBB46_39:                              ;   in Loop: Header=BB46_3 Depth=1
	s_or_b64 exec, exec, s[10:11]
	s_waitcnt vmcnt(1)
	ds_bpermute_b32 v2, v99, v52
	ds_bpermute_b32 v3, v99, v53
	s_waitcnt vmcnt(0)
	ds_bpermute_b32 v6, v99, v94
	ds_bpermute_b32 v7, v99, v95
	ds_bpermute_b32 v8, v99, v52 offset:4
	ds_bpermute_b32 v9, v99, v53 offset:4
	s_waitcnt lgkmcnt(4)
	v_add_f64 v[2:3], v[18:19], -v[2:3]
	v_mul_f64 v[2:3], v[34:35], v[2:3]
	s_waitcnt lgkmcnt(2)
	v_fmac_f64_e32 v[90:91], v[2:3], v[6:7]
	ds_bpermute_b32 v6, v99, v94 offset:4
	ds_bpermute_b32 v7, v99, v95 offset:4
	;; [unrolled: 1-line block ×4, first 2 shown]
	s_waitcnt lgkmcnt(4)
	v_add_f64 v[8:9], v[20:21], -v[8:9]
	v_mul_f64 v[8:9], v[36:37], v[8:9]
	s_waitcnt lgkmcnt(2)
	v_fmac_f64_e32 v[90:91], v[8:9], v[6:7]
	ds_bpermute_b32 v6, v99, v94 offset:8
	ds_bpermute_b32 v7, v99, v95 offset:8
	s_waitcnt lgkmcnt(2)
	v_add_f64 v[8:9], v[22:23], -v[10:11]
	ds_bpermute_b32 v10, v99, v52 offset:12
	ds_bpermute_b32 v11, v99, v53 offset:12
	v_mul_f64 v[8:9], v[38:39], v[8:9]
	s_waitcnt lgkmcnt(2)
	v_fmac_f64_e32 v[90:91], v[8:9], v[6:7]
	ds_bpermute_b32 v6, v99, v94 offset:12
	ds_bpermute_b32 v7, v99, v95 offset:12
	s_waitcnt lgkmcnt(2)
	v_add_f64 v[8:9], v[24:25], -v[10:11]
	ds_bpermute_b32 v10, v99, v52 offset:16
	ds_bpermute_b32 v11, v99, v53 offset:16
	;; [unrolled: 9-line block ×4, first 2 shown]
	v_add_f64 v[2:3], v[50:51], v[34:35]
	ds_bpermute_b32 v12, v99, v94 offset:24
	ds_bpermute_b32 v13, v99, v95 offset:24
	v_add_f64 v[2:3], v[36:37], v[2:3]
	v_add_f64 v[2:3], v[38:39], v[2:3]
	;; [unrolled: 1-line block ×3, first 2 shown]
	v_mul_f64 v[8:9], v[44:45], v[8:9]
	s_waitcnt lgkmcnt(2)
	v_add_f64 v[10:11], v[30:31], -v[10:11]
	v_add_f64 v[2:3], v[42:43], v[2:3]
	v_fmac_f64_e32 v[90:91], v[8:9], v[6:7]
	v_mul_f64 v[10:11], v[46:47], v[10:11]
	v_add_f64 v[8:9], v[44:45], v[2:3]
	s_waitcnt lgkmcnt(0)
	v_fmac_f64_e32 v[90:91], v[10:11], v[12:13]
	ds_bpermute_b32 v2, v99, v94 offset:28
	ds_bpermute_b32 v3, v99, v95 offset:28
	;; [unrolled: 1-line block ×4, first 2 shown]
	v_add_f64 v[8:9], v[46:47], v[8:9]
	v_mov_b64_e32 v[52:53], v[90:91]
.LBB46_40:                              ;   in Loop: Header=BB46_3 Depth=1
	s_waitcnt lgkmcnt(0)
	v_add_f64 v[6:7], v[32:33], -v[6:7]
	v_mul_f64 v[6:7], v[48:49], v[6:7]
	s_add_u32 s64, s64, s3
	v_fmac_f64_e32 v[52:53], v[6:7], v[2:3]
	s_addc_u32 s65, s65, 0
	v_mov_b64_e32 v[2:3], s[24:25]
	s_add_u32 s46, s46, s3
	v_cmp_lt_i64_e32 vcc, s[64:65], v[2:3]
	v_add_f64 v[50:51], v[8:9], v[48:49]
	v_lshl_add_u64 v[58:59], v[58:59], 0, s[44:45]
	v_lshl_add_u64 v[60:61], v[60:61], 0, s[44:45]
	v_lshl_add_u64 v[62:63], v[62:63], 0, s[44:45]
	v_lshl_add_u64 v[64:65], v[64:65], 0, s[44:45]
	v_lshl_add_u64 v[66:67], v[66:67], 0, s[44:45]
	v_lshl_add_u64 v[68:69], v[68:69], 0, s[44:45]
	v_lshl_add_u64 v[70:71], v[70:71], 0, s[44:45]
	v_lshl_add_u64 v[72:73], v[72:73], 0, s[44:45]
	v_lshl_add_u64 v[74:75], v[74:75], 0, s[44:45]
	v_lshl_add_u64 v[76:77], v[76:77], 0, s[44:45]
	v_lshl_add_u64 v[78:79], v[78:79], 0, s[44:45]
	v_lshl_add_u64 v[80:81], v[80:81], 0, s[44:45]
	v_lshl_add_u64 v[82:83], v[82:83], 0, s[44:45]
	v_lshl_add_u64 v[84:85], v[84:85], 0, s[44:45]
	s_addc_u32 s47, s47, 0
	v_lshl_add_u64 v[86:87], v[86:87], 0, s[44:45]
	v_lshl_add_u64 v[88:89], v[88:89], 0, s[44:45]
	s_cbranch_vccz .LBB46_50
; %bb.41:                               ;   in Loop: Header=BB46_3 Depth=1
	v_mov_b64_e32 v[90:91], v[52:53]
	s_branch .LBB46_3
.LBB46_42:                              ;   in Loop: Header=BB46_3 Depth=1
	v_lshl_add_u64 v[2:3], v[86:87], 0, v[56:57]
	global_load_dwordx2 v[2:3], v[2:3], off
	v_lshl_add_u64 v[6:7], v[88:89], 0, v[56:57]
	global_load_dwordx2 v[18:19], v[6:7], off
	v_mov_b32_e32 v16, v5
	v_mov_b32_e32 v17, v5
	;; [unrolled: 1-line block ×13, first 2 shown]
	s_waitcnt vmcnt(1)
	v_mov_b64_e32 v[48:49], v[16:17]
	v_mov_b32_e32 v20, v5
	v_mov_b32_e32 v21, v5
	;; [unrolled: 1-line block ×14, first 2 shown]
	v_mov_b64_e32 v[46:47], v[14:15]
	v_mov_b64_e32 v[44:45], v[12:13]
	;; [unrolled: 1-line block ×7, first 2 shown]
	s_or_b64 exec, exec, s[10:11]
	s_and_saveexec_b64 s[10:11], s[6:7]
	s_cbranch_execz .LBB46_32
.LBB46_43:                              ;   in Loop: Header=BB46_3 Depth=1
	v_lshl_add_u64 v[2:3], v[82:83], 0, v[56:57]
	global_load_dwordx2 v[36:37], v[2:3], off
	v_lshl_add_u64 v[2:3], v[84:85], 0, v[56:57]
	global_load_dwordx2 v[20:21], v[2:3], off
	s_or_b64 exec, exec, s[10:11]
	s_and_saveexec_b64 s[10:11], s[6:7]
	s_cbranch_execz .LBB46_33
.LBB46_44:                              ;   in Loop: Header=BB46_3 Depth=1
	v_lshl_add_u64 v[2:3], v[78:79], 0, v[56:57]
	global_load_dwordx2 v[38:39], v[2:3], off
	v_lshl_add_u64 v[2:3], v[80:81], 0, v[56:57]
	global_load_dwordx2 v[22:23], v[2:3], off
	s_or_b64 exec, exec, s[10:11]
	s_and_saveexec_b64 s[10:11], s[6:7]
	s_cbranch_execz .LBB46_34
.LBB46_45:                              ;   in Loop: Header=BB46_3 Depth=1
	v_lshl_add_u64 v[2:3], v[74:75], 0, v[56:57]
	global_load_dwordx2 v[40:41], v[2:3], off
	v_lshl_add_u64 v[2:3], v[76:77], 0, v[56:57]
	global_load_dwordx2 v[24:25], v[2:3], off
	s_or_b64 exec, exec, s[10:11]
	s_and_saveexec_b64 s[10:11], s[6:7]
	s_cbranch_execz .LBB46_35
.LBB46_46:                              ;   in Loop: Header=BB46_3 Depth=1
	v_lshl_add_u64 v[2:3], v[70:71], 0, v[56:57]
	global_load_dwordx2 v[42:43], v[2:3], off
	v_lshl_add_u64 v[2:3], v[72:73], 0, v[56:57]
	global_load_dwordx2 v[26:27], v[2:3], off
	s_or_b64 exec, exec, s[10:11]
	s_and_saveexec_b64 s[10:11], s[6:7]
	s_cbranch_execz .LBB46_36
.LBB46_47:                              ;   in Loop: Header=BB46_3 Depth=1
	v_lshl_add_u64 v[2:3], v[66:67], 0, v[56:57]
	global_load_dwordx2 v[44:45], v[2:3], off
	v_lshl_add_u64 v[2:3], v[68:69], 0, v[56:57]
	global_load_dwordx2 v[28:29], v[2:3], off
	s_or_b64 exec, exec, s[10:11]
	s_and_saveexec_b64 s[10:11], s[6:7]
	s_cbranch_execz .LBB46_37
.LBB46_48:                              ;   in Loop: Header=BB46_3 Depth=1
	v_lshl_add_u64 v[2:3], v[62:63], 0, v[56:57]
	global_load_dwordx2 v[46:47], v[2:3], off
	v_lshl_add_u64 v[2:3], v[64:65], 0, v[56:57]
	global_load_dwordx2 v[30:31], v[2:3], off
	s_or_b64 exec, exec, s[10:11]
	s_and_saveexec_b64 s[10:11], s[6:7]
	s_cbranch_execnz .LBB46_38
	s_branch .LBB46_39
.LBB46_49:
	s_mov_b64 s[40:41], -1
                                        ; implicit-def: $vgpr50_vgpr51
                                        ; implicit-def: $vgpr52_vgpr53
.LBB46_50:
	s_andn2_b64 vcc, exec, s[40:41]
	s_cbranch_vccnz .LBB46_82
; %bb.51:
	v_mov_b64_e32 v[50:51], 0
	s_and_b64 vcc, exec, s[4:5]
	v_mov_b64_e32 v[52:53], v[50:51]
	s_cbranch_vccnz .LBB46_82
; %bb.52:
	v_and_b32_e32 v1, 0x3ff, v0
	v_add_u32_e32 v4, s33, v1
	v_mov_b32_e32 v5, 0
	v_bfe_u32 v112, v0, 10, 10
	v_lshlrev_b64 v[40:41], 3, v[4:5]
	v_lshlrev_b32_e32 v4, 6, v112
	v_lshl_add_u64 v[2:3], s[34:35], 3, v[4:5]
	v_lshl_add_u64 v[6:7], v[2:3], 0, 8
	v_mov_b64_e32 v[8:9], s[28:29]
	v_mov_b64_e32 v[18:19], s[30:31]
	v_mad_u64_u32 v[42:43], s[4:5], s26, v6, v[8:9]
	v_mul_lo_u32 v4, s26, v7
	v_mul_lo_u32 v7, s27, v6
	v_mad_u64_u32 v[56:57], s[4:5], s26, v6, v[18:19]
	v_lshlrev_b32_e32 v38, 3, v112
	v_mov_b32_e32 v39, v5
	v_add3_u32 v43, v7, v43, v4
	v_lshl_add_u64 v[10:11], v[2:3], 0, 16
	v_lshl_add_u64 v[12:13], v[2:3], 0, 24
	;; [unrolled: 1-line block ×4, first 2 shown]
	v_add3_u32 v57, v7, v57, v4
	v_lshl_add_u64 v[6:7], v[2:3], 0, 48
	v_lshl_add_u64 v[2:3], v[2:3], 0, 56
	v_mad_u64_u32 v[44:45], s[4:5], s26, v10, v[8:9]
	v_mul_lo_u32 v20, s27, v10
	v_mad_u64_u32 v[46:47], s[4:5], s26, v12, v[8:9]
	v_mad_u64_u32 v[48:49], s[4:5], s26, v14, v[8:9]
	;; [unrolled: 1-line block ×6, first 2 shown]
	v_mul_lo_u32 v3, s26, v3
	v_mul_lo_u32 v10, s27, v2
	v_lshl_add_u64 v[8:9], v[38:39], 0, s[34:35]
	v_mad_u64_u32 v[72:73], s[4:5], s26, v2, v[18:19]
	v_mul_lo_u32 v4, s26, v7
	v_mul_lo_u32 v7, s27, v6
	v_add3_u32 v65, v10, v65, v3
	v_mad_u64_u32 v[70:71], s[4:5], s26, v6, v[18:19]
	v_add3_u32 v73, v10, v73, v3
	v_lshl_add_u64 v[2:3], v[8:9], 0, 7
	v_add3_u32 v61, v7, v61, v4
	v_add3_u32 v71, v7, v71, v4
	v_mul_lo_u32 v4, s27, v2
	v_mul_lo_u32 v6, s26, v3
	v_mad_u64_u32 v[2:3], s[4:5], s26, v2, 0
	v_add3_u32 v3, v3, v6, v4
	v_lshl_add_u64 v[6:7], v[8:9], 0, 6
	v_mul_lo_u32 v11, s26, v11
	v_mul_lo_u32 v4, s27, v6
	v_mul_lo_u32 v10, s26, v7
	v_mad_u64_u32 v[6:7], s[4:5], s26, v6, 0
	v_add3_u32 v45, v20, v45, v11
	v_add3_u32 v59, v20, v59, v11
	v_add3_u32 v7, v7, v10, v4
	v_lshl_add_u64 v[10:11], v[8:9], 0, 5
	v_mul_lo_u32 v13, s26, v13
	v_mul_lo_u32 v21, s27, v12
	v_mad_u64_u32 v[62:63], s[4:5], s26, v12, v[18:19]
	v_mul_lo_u32 v4, s27, v10
	v_mul_lo_u32 v12, s26, v11
	v_mad_u64_u32 v[10:11], s[4:5], s26, v10, 0
	v_add3_u32 v47, v21, v47, v13
	v_add3_u32 v63, v21, v63, v13
	v_add3_u32 v11, v11, v12, v4
	v_lshl_add_u64 v[12:13], v[8:9], 0, 4
	v_mul_lo_u32 v15, s26, v15
	v_mul_lo_u32 v22, s27, v14
	v_mad_u64_u32 v[66:67], s[4:5], s26, v14, v[18:19]
	v_mul_lo_u32 v4, s27, v12
	v_mul_lo_u32 v14, s26, v13
	;; [unrolled: 10-line block ×3, first 2 shown]
	v_mad_u64_u32 v[14:15], s[4:5], s26, v14, 0
	v_lshlrev_b64 v[2:3], 3, v[2:3]
	v_add3_u32 v55, v23, v55, v17
	v_add3_u32 v69, v23, v69, v17
	;; [unrolled: 1-line block ×3, first 2 shown]
	v_lshl_add_u64 v[16:17], v[8:9], 0, 2
	v_lshl_add_u64 v[78:79], s[28:29], 0, v[2:3]
	v_lshl_add_u64 v[80:81], s[30:31], 0, v[2:3]
	v_lshlrev_b64 v[2:3], 3, v[6:7]
	v_mul_lo_u32 v4, s27, v16
	v_mul_lo_u32 v18, s26, v17
	v_mad_u64_u32 v[16:17], s[4:5], s26, v16, 0
	s_load_dword s3, s[0:1], 0x44
	v_lshl_add_u64 v[82:83], s[28:29], 0, v[2:3]
	v_lshl_add_u64 v[84:85], s[30:31], 0, v[2:3]
	v_lshlrev_b64 v[2:3], 3, v[10:11]
	v_add3_u32 v17, v17, v18, v4
	v_mov_b64_e32 v[18:19], s[26:27]
	v_lshl_add_u64 v[86:87], s[28:29], 0, v[2:3]
	v_lshl_add_u64 v[88:89], s[30:31], 0, v[2:3]
	v_lshlrev_b64 v[2:3], 3, v[12:13]
	v_mad_u64_u32 v[18:19], s[4:5], s26, v8, v[18:19]
	v_mul_lo_u32 v4, s27, v8
	v_mul_lo_u32 v20, s26, v9
	v_lshl_add_u64 v[90:91], s[28:29], 0, v[2:3]
	v_lshl_add_u64 v[92:93], s[30:31], 0, v[2:3]
	v_lshlrev_b64 v[2:3], 3, v[14:15]
	v_add3_u32 v19, v4, v19, v20
	v_lshl_add_u64 v[94:95], s[28:29], 0, v[2:3]
	v_lshl_add_u64 v[96:97], s[30:31], 0, v[2:3]
	v_lshlrev_b64 v[2:3], 3, v[16:17]
	v_mad_u64_u32 v[8:9], s[4:5], s26, v8, 0
	s_add_u32 s20, s0, 64
	v_lshl_add_u64 v[98:99], s[28:29], 0, v[2:3]
	v_lshl_add_u64 v[100:101], s[30:31], 0, v[2:3]
	v_lshlrev_b64 v[2:3], 3, v[18:19]
	v_add3_u32 v9, v9, v20, v4
	s_addc_u32 s21, s1, 0
	s_waitcnt lgkmcnt(0)
	s_lshl_b32 s3, s3, 8
	v_lshl_add_u64 v[102:103], s[28:29], 0, v[2:3]
	v_lshl_add_u64 v[104:105], s[30:31], 0, v[2:3]
	v_mbcnt_lo_u32_b32 v2, -1, 0
	s_add_u32 s22, s34, 0xff
	s_mul_i32 s5, s27, s3
	s_mul_hi_u32 s6, s26, s3
	v_lshlrev_b64 v[8:9], 3, v[8:9]
	v_mbcnt_hi_u32_b32 v2, -1, v2
	s_addc_u32 s23, 0, 0
	s_add_i32 s7, s6, s5
	s_mul_i32 s6, s26, s3
	v_lshl_add_u64 v[74:75], s[28:29], 0, v[8:9]
	v_lshl_add_u64 v[76:77], s[30:31], 0, v[8:9]
	s_movk_i32 s28, 0xff01
	s_movk_i32 s30, 0xff02
	;; [unrolled: 1-line block ×8, first 2 shown]
	v_lshlrev_b32_e32 v2, 2, v2
	v_mov_b64_e32 v[52:53], 0
	s_mov_b32 s4, 0
	s_lshl_b64 s[40:41], s[6:7], 3
	s_mov_b32 s29, -1
	s_mov_b32 s31, -1
	;; [unrolled: 1-line block ×8, first 2 shown]
	v_and_b32_e32 v113, 0x100, v2
	v_mov_b64_e32 v[50:51], v[52:53]
	s_branch .LBB46_56
.LBB46_53:                              ;   in Loop: Header=BB46_56 Depth=1
	s_or_b64 exec, exec, s[8:9]
.LBB46_54:                              ;   in Loop: Header=BB46_56 Depth=1
	s_or_b64 exec, exec, s[6:7]
	v_lshl_add_u64 v[6:7], v[76:77], 0, v[40:41]
	global_load_dwordx2 v[14:15], v[6:7], off
	v_lshl_add_u64 v[6:7], v[56:57], 0, v[40:41]
	global_load_dwordx2 v[10:11], v[6:7], off
	v_lshl_add_u64 v[6:7], v[58:59], 0, v[40:41]
	global_load_dwordx2 v[12:13], v[6:7], off
	v_lshl_add_u64 v[6:7], v[62:63], 0, v[40:41]
	global_load_dwordx2 v[24:25], v[6:7], off
	v_lshl_add_u64 v[6:7], v[66:67], 0, v[40:41]
	global_load_dwordx2 v[20:21], v[6:7], off
	v_lshl_add_u64 v[6:7], v[74:75], 0, v[40:41]
	global_load_dwordx2 v[18:19], v[6:7], off
	v_lshl_add_u64 v[16:17], v[42:43], 0, v[40:41]
	v_lshl_add_u64 v[22:23], v[44:45], 0, v[40:41]
	global_load_dwordx2 v[6:7], v[16:17], off
	s_nop 0
	global_load_dwordx2 v[16:17], v[22:23], off
	s_waitcnt vmcnt(9)
	ds_bpermute_b32 v108, v113, v8 offset:8
	ds_bpermute_b32 v109, v113, v9 offset:8
	;; [unrolled: 1-line block ×6, first 2 shown]
	ds_bpermute_b32 v36, v113, v8
	ds_bpermute_b32 v37, v113, v9
	ds_bpermute_b32 v106, v113, v8 offset:4
	ds_bpermute_b32 v107, v113, v9 offset:4
	v_lshl_add_u64 v[118:119], v[70:71], 0, v[40:41]
	global_load_dwordx2 v[118:119], v[118:119], off
	v_lshl_add_u64 v[26:27], v[46:47], 0, v[40:41]
	v_lshl_add_u64 v[32:33], v[68:69], 0, v[40:41]
	global_load_dwordx2 v[26:27], v[26:27], off
	v_lshl_add_u64 v[28:29], v[48:49], 0, v[40:41]
	global_load_dwordx2 v[32:33], v[32:33], off
	v_lshl_add_u64 v[30:31], v[54:55], 0, v[40:41]
	v_lshl_add_u64 v[34:35], v[60:61], 0, v[40:41]
	global_load_dwordx2 v[28:29], v[28:29], off
	s_nop 0
	global_load_dwordx2 v[30:31], v[30:31], off
	s_nop 0
	global_load_dwordx2 v[34:35], v[34:35], off
	ds_bpermute_b32 v22, v113, v8 offset:24
	ds_bpermute_b32 v23, v113, v9 offset:24
	;; [unrolled: 1-line block ×6, first 2 shown]
	s_waitcnt vmcnt(13) lgkmcnt(8)
	v_add_f64 v[14:15], v[14:15], -v[36:37]
	v_lshl_add_u64 v[36:37], v[64:65], 0, v[40:41]
	s_waitcnt vmcnt(12) lgkmcnt(6)
	v_add_f64 v[10:11], v[10:11], -v[106:107]
	v_lshl_add_u64 v[106:107], v[72:73], 0, v[40:41]
	s_waitcnt vmcnt(11)
	v_add_f64 v[12:13], v[12:13], -v[108:109]
	ds_bpermute_b32 v108, v113, v2
	ds_bpermute_b32 v109, v113, v3
	s_waitcnt vmcnt(10)
	v_add_f64 v[24:25], v[24:25], -v[110:111]
	ds_bpermute_b32 v110, v113, v2 offset:4
	ds_bpermute_b32 v111, v113, v3 offset:4
	s_waitcnt vmcnt(9)
	v_add_f64 v[114:115], v[20:21], -v[114:115]
	ds_bpermute_b32 v20, v113, v2 offset:8
	ds_bpermute_b32 v21, v113, v3 offset:8
	s_waitcnt vmcnt(8)
	v_mul_f64 v[14:15], v[18:19], v[14:15]
	s_waitcnt vmcnt(7)
	v_mul_f64 v[10:11], v[6:7], v[10:11]
	s_waitcnt lgkmcnt(4)
	v_fmac_f64_e32 v[52:53], v[14:15], v[108:109]
	global_load_dwordx2 v[106:107], v[106:107], off
	s_waitcnt vmcnt(7)
	v_mul_f64 v[12:13], v[16:17], v[12:13]
	s_waitcnt lgkmcnt(2)
	v_fmac_f64_e32 v[52:53], v[10:11], v[110:111]
	s_waitcnt lgkmcnt(0)
	v_fmac_f64_e32 v[52:53], v[12:13], v[20:21]
	global_load_dwordx2 v[20:21], v[36:37], off
	ds_bpermute_b32 v12, v113, v2 offset:12
	ds_bpermute_b32 v13, v113, v3 offset:12
	v_add_f64 v[50:51], v[50:51], v[18:19]
	ds_bpermute_b32 v18, v113, v2 offset:16
	ds_bpermute_b32 v19, v113, v3 offset:16
	s_waitcnt vmcnt(7)
	v_add_f64 v[14:15], v[118:119], -v[22:23]
	v_add_f64 v[6:7], v[50:51], v[6:7]
	ds_bpermute_b32 v22, v113, v2 offset:20
	ds_bpermute_b32 v23, v113, v3 offset:20
	v_add_f64 v[6:7], v[6:7], v[16:17]
	ds_bpermute_b32 v16, v113, v2 offset:24
	ds_bpermute_b32 v17, v113, v3 offset:24
	s_waitcnt vmcnt(6)
	v_mul_f64 v[24:25], v[26:27], v[24:25]
	ds_bpermute_b32 v2, v113, v2 offset:28
	ds_bpermute_b32 v3, v113, v3 offset:28
	s_waitcnt vmcnt(5)
	v_add_f64 v[10:11], v[32:33], -v[116:117]
	v_add_f64 v[6:7], v[6:7], v[26:27]
	s_waitcnt vmcnt(4)
	v_mul_f64 v[26:27], v[28:29], v[114:115]
	s_waitcnt lgkmcnt(8)
	v_fmac_f64_e32 v[52:53], v[24:25], v[12:13]
	s_waitcnt vmcnt(3)
	v_mul_f64 v[10:11], v[30:31], v[10:11]
	s_waitcnt lgkmcnt(6)
	v_fmac_f64_e32 v[52:53], v[26:27], v[18:19]
	s_waitcnt vmcnt(2)
	v_mul_f64 v[14:15], v[34:35], v[14:15]
	v_add_f64 v[6:7], v[6:7], v[28:29]
	s_waitcnt lgkmcnt(4)
	v_fmac_f64_e32 v[52:53], v[10:11], v[22:23]
	v_add_f64 v[6:7], v[6:7], v[30:31]
	s_waitcnt lgkmcnt(2)
	v_fmac_f64_e32 v[52:53], v[14:15], v[16:17]
	v_add_f64 v[6:7], v[6:7], v[34:35]
	s_waitcnt vmcnt(1)
	v_add_f64 v[8:9], v[106:107], -v[8:9]
	s_waitcnt vmcnt(0)
	v_mul_f64 v[8:9], v[20:21], v[8:9]
	s_waitcnt lgkmcnt(0)
	v_mul_f64 v[8:9], v[8:9], v[2:3]
	v_mov_b64_e32 v[2:3], v[52:53]
.LBB46_55:                              ;   in Loop: Header=BB46_56 Depth=1
	s_add_u32 s34, s34, s3
	v_add_f64 v[52:53], v[2:3], v[8:9]
	s_addc_u32 s35, s35, 0
	v_mov_b64_e32 v[2:3], s[24:25]
	s_add_u32 s22, s22, s3
	v_cmp_ge_i64_e32 vcc, s[34:35], v[2:3]
	v_add_f64 v[50:51], v[6:7], v[20:21]
	s_addc_u32 s23, s23, 0
	v_lshl_add_u64 v[42:43], v[42:43], 0, s[40:41]
	v_lshl_add_u64 v[44:45], v[44:45], 0, s[40:41]
	v_lshl_add_u64 v[46:47], v[46:47], 0, s[40:41]
	v_lshl_add_u64 v[48:49], v[48:49], 0, s[40:41]
	v_lshl_add_u64 v[54:55], v[54:55], 0, s[40:41]
	v_lshl_add_u64 v[60:61], v[60:61], 0, s[40:41]
	v_lshl_add_u64 v[64:65], v[64:65], 0, s[40:41]
	v_lshl_add_u64 v[74:75], v[74:75], 0, s[40:41]
	v_lshl_add_u64 v[56:57], v[56:57], 0, s[40:41]
	v_lshl_add_u64 v[58:59], v[58:59], 0, s[40:41]
	v_lshl_add_u64 v[62:63], v[62:63], 0, s[40:41]
	v_lshl_add_u64 v[66:67], v[66:67], 0, s[40:41]
	v_lshl_add_u64 v[68:69], v[68:69], 0, s[40:41]
	v_lshl_add_u64 v[70:71], v[70:71], 0, s[40:41]
	v_lshl_add_u64 v[72:73], v[72:73], 0, s[40:41]
	v_lshl_add_u64 v[76:77], v[76:77], 0, s[40:41]
	v_lshl_add_u64 v[78:79], v[78:79], 0, s[40:41]
	v_lshl_add_u64 v[80:81], v[80:81], 0, s[40:41]
	v_lshl_add_u64 v[82:83], v[82:83], 0, s[40:41]
	v_lshl_add_u64 v[84:85], v[84:85], 0, s[40:41]
	v_lshl_add_u64 v[86:87], v[86:87], 0, s[40:41]
	v_lshl_add_u64 v[88:89], v[88:89], 0, s[40:41]
	v_lshl_add_u64 v[90:91], v[90:91], 0, s[40:41]
	v_lshl_add_u64 v[92:93], v[92:93], 0, s[40:41]
	v_lshl_add_u64 v[94:95], v[94:95], 0, s[40:41]
	v_lshl_add_u64 v[96:97], v[96:97], 0, s[40:41]
	v_lshl_add_u64 v[98:99], v[98:99], 0, s[40:41]
	v_lshl_add_u64 v[100:101], v[100:101], 0, s[40:41]
	v_lshl_add_u64 v[102:103], v[102:103], 0, s[40:41]
	v_lshl_add_u64 v[104:105], v[104:105], 0, s[40:41]
	s_cbranch_vccnz .LBB46_82
.LBB46_56:                              ; =>This Inner Loop Header: Depth=1
	v_mov_b64_e32 v[2:3], s[24:25]
	v_cmp_ge_i64_e32 vcc, s[22:23], v[2:3]
	v_lshl_add_u64 v[106:107], v[38:39], 0, s[22:23]
	s_cbranch_vccz .LBB46_78
; %bb.57:                               ;   in Loop: Header=BB46_56 Depth=1
	s_load_dword s5, s[20:21], 0xc
	v_mov_b64_e32 v[108:109], 0
	v_mov_b64_e32 v[110:111], v[108:109]
	s_waitcnt lgkmcnt(0)
	s_and_b32 s5, s5, 0xffff
	v_mad_u32_u24 v2, v112, s5, v1
	v_and_b32_e32 v4, 63, v2
	v_cmp_gt_u32_e32 vcc, 8, v4
	s_and_saveexec_b64 s[6:7], vcc
	s_cbranch_execz .LBB46_61
; %bb.58:                               ;   in Loop: Header=BB46_56 Depth=1
	v_lshl_add_u64 v[2:3], v[106:107], 0, v[4:5]
	v_lshl_add_u64 v[2:3], v[2:3], 0, s[28:29]
	v_mov_b64_e32 v[110:111], 0
	v_cmp_gt_i64_e32 vcc, s[24:25], v[2:3]
	v_mov_b64_e32 v[108:109], v[110:111]
	s_and_saveexec_b64 s[8:9], vcc
	s_cbranch_execz .LBB46_60
; %bb.59:                               ;   in Loop: Header=BB46_56 Depth=1
	v_lshlrev_b64 v[2:3], 3, v[2:3]
	v_lshl_add_u64 v[6:7], s[38:39], 0, v[2:3]
	v_lshl_add_u64 v[2:3], s[36:37], 0, v[2:3]
	global_load_dwordx2 v[110:111], v[2:3], off
	global_load_dwordx2 v[108:109], v[6:7], off
.LBB46_60:                              ;   in Loop: Header=BB46_56 Depth=1
	s_or_b64 exec, exec, s[8:9]
.LBB46_61:                              ;   in Loop: Header=BB46_56 Depth=1
	s_or_b64 exec, exec, s[6:7]
	s_mov_b32 s18, s4
	s_mov_b32 s19, s4
	;; [unrolled: 1-line block ×15, first 2 shown]
	v_mov_b64_e32 v[36:37], s[18:19]
	v_mov_b64_e32 v[22:23], s[4:5]
	v_lshl_add_u64 v[2:3], v[106:107], 0, s[28:29]
	v_mov_b64_e32 v[34:35], s[16:17]
	v_mov_b64_e32 v[32:33], s[14:15]
	;; [unrolled: 1-line block ×7, first 2 shown]
	v_cmp_gt_i64_e32 vcc, s[24:25], v[2:3]
	v_mov_b64_e32 v[8:9], v[24:25]
	v_mov_b64_e32 v[10:11], v[26:27]
	;; [unrolled: 1-line block ×7, first 2 shown]
	s_and_saveexec_b64 s[6:7], vcc
	s_cbranch_execz .LBB46_63
; %bb.62:                               ;   in Loop: Header=BB46_56 Depth=1
	v_lshl_add_u64 v[2:3], v[74:75], 0, v[40:41]
	global_load_dwordx2 v[2:3], v[2:3], off
	v_lshl_add_u64 v[6:7], v[76:77], 0, v[40:41]
	global_load_dwordx2 v[22:23], v[6:7], off
	v_mov_b32_e32 v6, v5
	v_mov_b32_e32 v7, v5
	;; [unrolled: 1-line block ×13, first 2 shown]
	s_waitcnt vmcnt(1)
	v_mov_b64_e32 v[20:21], v[16:17]
	v_mov_b32_e32 v24, v5
	v_mov_b32_e32 v25, v5
	v_mov_b32_e32 v26, v5
	v_mov_b32_e32 v27, v5
	v_mov_b32_e32 v28, v5
	v_mov_b32_e32 v29, v5
	v_mov_b32_e32 v30, v5
	v_mov_b32_e32 v31, v5
	v_mov_b32_e32 v32, v5
	v_mov_b32_e32 v33, v5
	v_mov_b32_e32 v34, v5
	v_mov_b32_e32 v35, v5
	v_mov_b32_e32 v36, v5
	v_mov_b32_e32 v37, v5
	v_mov_b64_e32 v[18:19], v[14:15]
	v_mov_b64_e32 v[16:17], v[12:13]
	;; [unrolled: 1-line block ×7, first 2 shown]
.LBB46_63:                              ;   in Loop: Header=BB46_56 Depth=1
	s_or_b64 exec, exec, s[6:7]
	v_lshl_add_u64 v[2:3], v[106:107], 0, s[30:31]
	v_cmp_gt_i64_e32 vcc, s[24:25], v[2:3]
	s_and_saveexec_b64 s[6:7], vcc
	s_cbranch_execz .LBB46_65
; %bb.64:                               ;   in Loop: Header=BB46_56 Depth=1
	v_lshl_add_u64 v[2:3], v[102:103], 0, v[40:41]
	global_load_dwordx2 v[8:9], v[2:3], off
	v_lshl_add_u64 v[2:3], v[104:105], 0, v[40:41]
	global_load_dwordx2 v[24:25], v[2:3], off
.LBB46_65:                              ;   in Loop: Header=BB46_56 Depth=1
	s_or_b64 exec, exec, s[6:7]
	v_lshl_add_u64 v[2:3], v[106:107], 0, s[42:43]
	v_cmp_gt_i64_e32 vcc, s[24:25], v[2:3]
	s_and_saveexec_b64 s[6:7], vcc
	s_cbranch_execz .LBB46_67
; %bb.66:                               ;   in Loop: Header=BB46_56 Depth=1
	v_lshl_add_u64 v[2:3], v[98:99], 0, v[40:41]
	global_load_dwordx2 v[10:11], v[2:3], off
	v_lshl_add_u64 v[2:3], v[100:101], 0, v[40:41]
	global_load_dwordx2 v[26:27], v[2:3], off
.LBB46_67:                              ;   in Loop: Header=BB46_56 Depth=1
	;; [unrolled: 11-line block ×7, first 2 shown]
	s_or_b64 exec, exec, s[6:7]
	s_waitcnt vmcnt(1)
	ds_bpermute_b32 v2, v113, v110
	ds_bpermute_b32 v3, v113, v111
	s_waitcnt vmcnt(0)
	ds_bpermute_b32 v114, v113, v108
	ds_bpermute_b32 v115, v113, v109
	ds_bpermute_b32 v116, v113, v110 offset:4
	ds_bpermute_b32 v117, v113, v111 offset:4
	s_waitcnt lgkmcnt(4)
	v_add_f64 v[2:3], v[22:23], -v[2:3]
	v_mul_f64 v[2:3], v[6:7], v[2:3]
	s_waitcnt lgkmcnt(2)
	v_fma_f64 v[2:3], v[2:3], v[114:115], v[52:53]
	ds_bpermute_b32 v22, v113, v108 offset:4
	ds_bpermute_b32 v23, v113, v109 offset:4
	ds_bpermute_b32 v114, v113, v110 offset:8
	ds_bpermute_b32 v115, v113, v111 offset:8
	v_add_f64 v[6:7], v[50:51], v[6:7]
	s_waitcnt lgkmcnt(4)
	v_add_f64 v[24:25], v[24:25], -v[116:117]
	v_mul_f64 v[24:25], v[8:9], v[24:25]
	v_add_f64 v[6:7], v[8:9], v[6:7]
	ds_bpermute_b32 v8, v113, v108 offset:8
	ds_bpermute_b32 v9, v113, v109 offset:8
	s_waitcnt lgkmcnt(4)
	v_fmac_f64_e32 v[2:3], v[24:25], v[22:23]
	s_waitcnt lgkmcnt(2)
	v_add_f64 v[22:23], v[26:27], -v[114:115]
	ds_bpermute_b32 v24, v113, v110 offset:12
	ds_bpermute_b32 v25, v113, v111 offset:12
	v_mul_f64 v[22:23], v[10:11], v[22:23]
	s_waitcnt lgkmcnt(2)
	v_fmac_f64_e32 v[2:3], v[22:23], v[8:9]
	ds_bpermute_b32 v8, v113, v108 offset:12
	ds_bpermute_b32 v9, v113, v109 offset:12
	v_add_f64 v[6:7], v[10:11], v[6:7]
	s_waitcnt lgkmcnt(2)
	v_add_f64 v[10:11], v[28:29], -v[24:25]
	ds_bpermute_b32 v22, v113, v110 offset:16
	ds_bpermute_b32 v23, v113, v111 offset:16
	v_mul_f64 v[10:11], v[12:13], v[10:11]
	s_waitcnt lgkmcnt(2)
	v_fmac_f64_e32 v[2:3], v[10:11], v[8:9]
	v_add_f64 v[6:7], v[12:13], v[6:7]
	ds_bpermute_b32 v8, v113, v108 offset:16
	ds_bpermute_b32 v9, v113, v109 offset:16
	;; [unrolled: 1-line block ×4, first 2 shown]
	s_waitcnt lgkmcnt(4)
	v_add_f64 v[10:11], v[30:31], -v[22:23]
	v_mul_f64 v[10:11], v[14:15], v[10:11]
	s_waitcnt lgkmcnt(2)
	v_fmac_f64_e32 v[2:3], v[10:11], v[8:9]
	ds_bpermute_b32 v8, v113, v108 offset:20
	ds_bpermute_b32 v9, v113, v109 offset:20
	s_waitcnt lgkmcnt(2)
	v_add_f64 v[10:11], v[32:33], -v[12:13]
	ds_bpermute_b32 v12, v113, v110 offset:24
	ds_bpermute_b32 v13, v113, v111 offset:24
	v_mul_f64 v[10:11], v[16:17], v[10:11]
	s_waitcnt lgkmcnt(2)
	v_fmac_f64_e32 v[2:3], v[10:11], v[8:9]
	ds_bpermute_b32 v8, v113, v108 offset:24
	ds_bpermute_b32 v9, v113, v109 offset:24
	s_waitcnt lgkmcnt(2)
	v_add_f64 v[10:11], v[34:35], -v[12:13]
	ds_bpermute_b32 v12, v113, v110 offset:28
	ds_bpermute_b32 v13, v113, v111 offset:28
	v_add_f64 v[6:7], v[14:15], v[6:7]
	ds_bpermute_b32 v14, v113, v108 offset:28
	ds_bpermute_b32 v15, v113, v109 offset:28
	v_mul_f64 v[10:11], v[18:19], v[10:11]
	s_waitcnt lgkmcnt(4)
	v_fmac_f64_e32 v[2:3], v[10:11], v[8:9]
	s_waitcnt lgkmcnt(2)
	v_add_f64 v[8:9], v[36:37], -v[12:13]
	v_add_f64 v[6:7], v[16:17], v[6:7]
	v_mul_f64 v[8:9], v[20:21], v[8:9]
	v_add_f64 v[6:7], v[18:19], v[6:7]
	s_waitcnt lgkmcnt(0)
	v_mul_f64 v[8:9], v[8:9], v[14:15]
	s_branch .LBB46_55
.LBB46_78:                              ;   in Loop: Header=BB46_56 Depth=1
                                        ; implicit-def: $vgpr20_vgpr21
                                        ; implicit-def: $vgpr8_vgpr9
                                        ; implicit-def: $vgpr6_vgpr7
                                        ; implicit-def: $vgpr2_vgpr3
	s_cbranch_execz .LBB46_55
; %bb.79:                               ;   in Loop: Header=BB46_56 Depth=1
	s_load_dword s5, s[20:21], 0x0
	v_mov_b64_e32 v[2:3], 0
	v_mov_b64_e32 v[8:9], v[2:3]
	s_waitcnt lgkmcnt(0)
	s_cmp_lt_u32 s2, s5
	s_cselect_b32 s5, 12, 18
	s_add_u32 s6, s20, s5
	s_addc_u32 s7, s21, 0
	global_load_ushort v4, v5, s[6:7]
	s_waitcnt vmcnt(0)
	v_mad_u32_u24 v4, v112, v4, v1
	v_and_b32_e32 v4, 63, v4
	v_cmp_gt_u32_e32 vcc, 8, v4
	s_and_saveexec_b64 s[6:7], vcc
	s_cbranch_execz .LBB46_54
; %bb.80:                               ;   in Loop: Header=BB46_56 Depth=1
	v_lshl_add_u64 v[2:3], v[106:107], 0, v[4:5]
	v_lshl_add_u64 v[6:7], v[2:3], 0, s[28:29]
	v_mov_b64_e32 v[8:9], 0
	v_cmp_gt_i64_e32 vcc, s[24:25], v[6:7]
	v_mov_b64_e32 v[2:3], v[8:9]
	s_and_saveexec_b64 s[8:9], vcc
	s_cbranch_execz .LBB46_53
; %bb.81:                               ;   in Loop: Header=BB46_56 Depth=1
	v_lshlrev_b64 v[2:3], 3, v[6:7]
	v_lshl_add_u64 v[6:7], s[38:39], 0, v[2:3]
	v_lshl_add_u64 v[2:3], s[36:37], 0, v[2:3]
	global_load_dwordx2 v[8:9], v[2:3], off
	s_nop 0
	global_load_dwordx2 v[2:3], v[6:7], off
	s_branch .LBB46_53
.LBB46_82:
	v_and_b32_e32 v2, 0x3ff, v0
	v_bfe_u32 v0, v0, 10, 10
	v_mad_u32_u24 v1, v0, 33, v2
	v_lshl_add_u32 v3, v1, 3, 0
	v_sub_u32_e32 v1, v1, v0
	s_movk_i32 s4, 0x800
	s_mov_b32 s3, 0
	v_cmp_gt_u32_e32 vcc, s4, v1
	ds_write_b64 v3, v[52:53]
	ds_write_b64 v3, v[50:51] offset:8448
	s_waitcnt lgkmcnt(0)
	s_barrier
	s_and_saveexec_b64 s[4:5], vcc
	s_cbranch_execz .LBB46_92
; %bb.83:
	v_mbcnt_lo_u32_b32 v3, -1, 0
	v_mbcnt_hi_u32_b32 v3, -1, v3
	v_and_b32_e32 v4, 64, v3
	v_add_u32_e32 v4, 64, v4
	v_cmp_eq_u32_e64 s[4:5], 0, v2
	v_xor_b32_e32 v2, 16, v3
	v_cmp_lt_i32_e32 vcc, v2, v4
	s_load_dwordx4 s[16:19], s[0:1], 0x30
	s_lshl_b64 s[6:7], s[2:3], 5
	v_cndmask_b32_e32 v2, v3, v2, vcc
	v_lshlrev_b32_e32 v10, 2, v2
	v_xor_b32_e32 v2, 8, v3
	v_cmp_lt_i32_e32 vcc, v2, v4
	s_waitcnt lgkmcnt(0)
	s_cmp_lg_u64 s[16:17], 0
	v_lshrrev_b32_e32 v0, 6, v1
	v_cndmask_b32_e32 v2, v3, v2, vcc
	v_lshlrev_b32_e32 v11, 2, v2
	v_xor_b32_e32 v2, 4, v3
	v_cmp_lt_i32_e32 vcc, v2, v4
	v_and_b32_e32 v6, 63, v1
	v_mov_b32_e32 v1, 0
	v_cndmask_b32_e32 v2, v3, v2, vcc
	v_lshlrev_b32_e32 v12, 2, v2
	v_xor_b32_e32 v2, 2, v3
	v_cmp_lt_i32_e32 vcc, v2, v4
	s_cselect_b64 s[10:11], -1, 0
	s_cmp_lg_u64 s[18:19], 0
	v_cndmask_b32_e32 v2, v3, v2, vcc
	v_lshlrev_b32_e32 v13, 2, v2
	v_xor_b32_e32 v2, 1, v3
	v_cmp_lt_i32_e32 vcc, v2, v4
	s_cselect_b64 s[12:13], -1, 0
	s_lshl_b64 s[2:3], s[2:3], 8
	v_cndmask_b32_e32 v2, v3, v2, vcc
	v_lshlrev_b32_e32 v14, 2, v2
	v_lshlrev_b32_e32 v2, 3, v0
	v_mov_b32_e32 v3, v1
	v_cmp_gt_u32_e64 s[0:1], 32, v6
	v_lshl_add_u64 v[4:5], s[2:3], 0, v[2:3]
	v_mad_u32_u24 v6, v6, 33, v0
	s_mov_b64 s[8:9], 0
	v_lshl_add_u64 v[2:3], s[18:19], 0, v[4:5]
	v_lshl_add_u64 v[4:5], s[16:17], 0, v[4:5]
	v_lshl_add_u32 v15, v6, 3, 0
	s_mov_b64 s[2:3], 0x80
                                        ; implicit-def: $vgpr6_vgpr7
                                        ; implicit-def: $vgpr8_vgpr9
	s_branch .LBB46_85
.LBB46_84:                              ;   in Loop: Header=BB46_85 Depth=1
	s_or_b64 exec, exec, s[14:15]
	v_lshl_add_u64 v[0:1], v[0:1], 0, 16
	v_add_u32_e32 v16, -16, v0
	v_cmp_lt_u32_e32 vcc, 15, v16
	v_lshl_add_u64 v[2:3], v[2:3], 0, s[2:3]
	v_lshl_add_u64 v[4:5], v[4:5], 0, s[2:3]
	s_or_b64 s[8:9], vcc, s[8:9]
	v_add_u32_e32 v15, 0x80, v15
	s_andn2_b64 exec, exec, s[8:9]
	s_cbranch_execz .LBB46_92
.LBB46_85:                              ; =>This Inner Loop Header: Depth=1
	s_and_saveexec_b64 s[14:15], s[0:1]
	s_cbranch_execz .LBB46_87
; %bb.86:                               ;   in Loop: Header=BB46_85 Depth=1
	ds_read_b64 v[6:7], v15
	ds_read_b64 v[8:9], v15 offset:8448
.LBB46_87:                              ;   in Loop: Header=BB46_85 Depth=1
	s_or_b64 exec, exec, s[14:15]
	s_waitcnt lgkmcnt(1)
	ds_bpermute_b32 v16, v10, v6
	ds_bpermute_b32 v17, v10, v7
	s_waitcnt lgkmcnt(2)
	ds_bpermute_b32 v18, v10, v8
	ds_bpermute_b32 v19, v10, v9
	s_waitcnt lgkmcnt(2)
	v_add_f64 v[6:7], v[6:7], v[16:17]
	ds_bpermute_b32 v16, v11, v6
	ds_bpermute_b32 v17, v11, v7
	s_waitcnt lgkmcnt(2)
	v_add_f64 v[8:9], v[8:9], v[18:19]
	;; [unrolled: 4-line block ×9, first 2 shown]
	v_lshl_add_u64 v[16:17], s[6:7], 0, v[0:1]
	v_cmp_gt_i64_e32 vcc, s[26:27], v[16:17]
	s_waitcnt lgkmcnt(0)
	v_add_f64 v[8:9], v[8:9], v[18:19]
	s_and_b64 s[16:17], s[4:5], vcc
	s_and_saveexec_b64 s[14:15], s[16:17]
	s_cbranch_execz .LBB46_84
; %bb.88:                               ;   in Loop: Header=BB46_85 Depth=1
	s_andn2_b64 vcc, exec, s[10:11]
	s_cbranch_vccnz .LBB46_90
; %bb.89:                               ;   in Loop: Header=BB46_85 Depth=1
	global_store_dwordx2 v[4:5], v[6:7], off
.LBB46_90:                              ;   in Loop: Header=BB46_85 Depth=1
	s_andn2_b64 vcc, exec, s[12:13]
	s_cbranch_vccnz .LBB46_84
; %bb.91:                               ;   in Loop: Header=BB46_85 Depth=1
	global_store_dwordx2 v[2:3], v[8:9], off
	s_branch .LBB46_84
.LBB46_92:
	s_endpgm
	.section	.rodata,"a",@progbits
	.p2align	6, 0x0
	.amdhsa_kernel _ZN2at6native12_GLOBAL__N_135GammaBetaBackwardCUDAKernelTemplateIddLj32ELj32ELj256ELb0ELb0ELb0EEEvllPKT_S5_PKT0_S8_PS3_S9_
		.amdhsa_group_segment_fixed_size 0
		.amdhsa_private_segment_fixed_size 0
		.amdhsa_kernarg_size 320
		.amdhsa_user_sgpr_count 2
		.amdhsa_user_sgpr_dispatch_ptr 0
		.amdhsa_user_sgpr_queue_ptr 0
		.amdhsa_user_sgpr_kernarg_segment_ptr 1
		.amdhsa_user_sgpr_dispatch_id 0
		.amdhsa_user_sgpr_kernarg_preload_length 0
		.amdhsa_user_sgpr_kernarg_preload_offset 0
		.amdhsa_user_sgpr_private_segment_size 0
		.amdhsa_uses_dynamic_stack 0
		.amdhsa_enable_private_segment 0
		.amdhsa_system_sgpr_workgroup_id_x 1
		.amdhsa_system_sgpr_workgroup_id_y 1
		.amdhsa_system_sgpr_workgroup_id_z 0
		.amdhsa_system_sgpr_workgroup_info 0
		.amdhsa_system_vgpr_workitem_id 1
		.amdhsa_next_free_vgpr 120
		.amdhsa_next_free_sgpr 68
		.amdhsa_accum_offset 120
		.amdhsa_reserve_vcc 1
		.amdhsa_float_round_mode_32 0
		.amdhsa_float_round_mode_16_64 0
		.amdhsa_float_denorm_mode_32 3
		.amdhsa_float_denorm_mode_16_64 3
		.amdhsa_dx10_clamp 1
		.amdhsa_ieee_mode 1
		.amdhsa_fp16_overflow 0
		.amdhsa_tg_split 0
		.amdhsa_exception_fp_ieee_invalid_op 0
		.amdhsa_exception_fp_denorm_src 0
		.amdhsa_exception_fp_ieee_div_zero 0
		.amdhsa_exception_fp_ieee_overflow 0
		.amdhsa_exception_fp_ieee_underflow 0
		.amdhsa_exception_fp_ieee_inexact 0
		.amdhsa_exception_int_div_zero 0
	.end_amdhsa_kernel
	.section	.text._ZN2at6native12_GLOBAL__N_135GammaBetaBackwardCUDAKernelTemplateIddLj32ELj32ELj256ELb0ELb0ELb0EEEvllPKT_S5_PKT0_S8_PS3_S9_,"axG",@progbits,_ZN2at6native12_GLOBAL__N_135GammaBetaBackwardCUDAKernelTemplateIddLj32ELj32ELj256ELb0ELb0ELb0EEEvllPKT_S5_PKT0_S8_PS3_S9_,comdat
.Lfunc_end46:
	.size	_ZN2at6native12_GLOBAL__N_135GammaBetaBackwardCUDAKernelTemplateIddLj32ELj32ELj256ELb0ELb0ELb0EEEvllPKT_S5_PKT0_S8_PS3_S9_, .Lfunc_end46-_ZN2at6native12_GLOBAL__N_135GammaBetaBackwardCUDAKernelTemplateIddLj32ELj32ELj256ELb0ELb0ELb0EEEvllPKT_S5_PKT0_S8_PS3_S9_
                                        ; -- End function
	.section	.AMDGPU.csdata,"",@progbits
; Kernel info:
; codeLenInByte = 8424
; NumSgprs: 74
; NumVgprs: 120
; NumAgprs: 0
; TotalNumVgprs: 120
; ScratchSize: 0
; MemoryBound: 1
; FloatMode: 240
; IeeeMode: 1
; LDSByteSize: 0 bytes/workgroup (compile time only)
; SGPRBlocks: 9
; VGPRBlocks: 14
; NumSGPRsForWavesPerEU: 74
; NumVGPRsForWavesPerEU: 120
; AccumOffset: 120
; Occupancy: 4
; WaveLimiterHint : 0
; COMPUTE_PGM_RSRC2:SCRATCH_EN: 0
; COMPUTE_PGM_RSRC2:USER_SGPR: 2
; COMPUTE_PGM_RSRC2:TRAP_HANDLER: 0
; COMPUTE_PGM_RSRC2:TGID_X_EN: 1
; COMPUTE_PGM_RSRC2:TGID_Y_EN: 1
; COMPUTE_PGM_RSRC2:TGID_Z_EN: 0
; COMPUTE_PGM_RSRC2:TIDIG_COMP_CNT: 1
; COMPUTE_PGM_RSRC3_GFX90A:ACCUM_OFFSET: 29
; COMPUTE_PGM_RSRC3_GFX90A:TG_SPLIT: 0
	.section	.text._ZN2at6native12_GLOBAL__N_118cuComputeGradInputIffLb0EEEvPKT_S5_llPKT0_S8_S5_PS3_,"axG",@progbits,_ZN2at6native12_GLOBAL__N_118cuComputeGradInputIffLb0EEEvPKT_S5_llPKT0_S8_S5_PS3_,comdat
	.globl	_ZN2at6native12_GLOBAL__N_118cuComputeGradInputIffLb0EEEvPKT_S5_llPKT0_S8_S5_PS3_ ; -- Begin function _ZN2at6native12_GLOBAL__N_118cuComputeGradInputIffLb0EEEvPKT_S5_llPKT0_S8_S5_PS3_
	.p2align	8
	.type	_ZN2at6native12_GLOBAL__N_118cuComputeGradInputIffLb0EEEvPKT_S5_llPKT0_S8_S5_PS3_,@function
_ZN2at6native12_GLOBAL__N_118cuComputeGradInputIffLb0EEEvPKT_S5_llPKT0_S8_S5_PS3_: ; @_ZN2at6native12_GLOBAL__N_118cuComputeGradInputIffLb0EEEvPKT_S5_llPKT0_S8_S5_PS3_
; %bb.0:
	s_load_dwordx4 s[24:27], s[0:1], 0x10
	s_mov_b32 s14, s3
	s_ashr_i32 s15, s3, 31
	s_waitcnt lgkmcnt(0)
	v_mov_b64_e32 v[2:3], s[24:25]
	v_cmp_ge_i64_e32 vcc, s[14:15], v[2:3]
	s_cbranch_vccnz .LBB47_47
; %bb.1:
	s_load_dword s2, s[0:1], 0x4c
	s_load_dword s33, s[0:1], 0x44
	s_load_dwordx4 s[28:31], s[0:1], 0x0
	s_load_dwordx8 s[16:23], s[0:1], 0x20
	s_flbit_i32 s0, s27
	s_waitcnt lgkmcnt(0)
	s_lshr_b32 s48, s2, 16
	s_and_b32 s49, s2, 0xffff
	v_cmp_gt_u16_e64 s[36:37], s2, 1
	s_cmp_lg_u64 s[20:21], 0
	s_cselect_b64 s[6:7], -1, 0
	s_xor_b32 s1, s26, s27
	s_ashr_i32 s1, s1, 31
	s_add_i32 s0, s0, -1
	s_add_i32 s1, s1, 32
	s_min_u32 s2, s0, s1
	s_lshl_b64 s[0:1], s[26:27], s2
	s_min_u32 s0, s0, 1
	s_or_b32 s0, s1, s0
	v_cvt_f32_i32_e32 v1, s0
	s_sub_i32 s0, 32, s2
	v_and_b32_e32 v16, 0x3ff, v0
	v_bfe_u32 v17, v0, 10, 10
	v_ldexp_f32 v2, v1, s0
	v_div_scale_f32 v1, s[0:1], v2, v2, 1.0
	v_rcp_f32_e32 v4, v1
	s_mul_i32 s34, s48, s49
	v_mad_u32_u24 v0, v17, s49, v16
	s_ashr_i32 s35, s34, 31
	v_fma_f32 v5, -v1, v4, 1.0
	v_fmac_f32_e32 v4, v5, v4
	v_div_scale_f32 v5, vcc, 1.0, v2, 1.0
	v_mul_f32_e32 v6, v5, v4
	v_fma_f32 v7, -v1, v6, v5
	v_fmac_f32_e32 v6, v7, v4
	v_fma_f32 v1, -v1, v6, v5
	v_div_fmas_f32 v1, v1, v4, v6
	v_add_u32_e32 v4, s34, v0
	v_ashrrev_i32_e32 v5, 31, v4
	v_mov_b32_e32 v6, s35
	v_subrev_co_u32_e32 v4, vcc, s34, v4
	v_lshlrev_b32_e32 v3, 3, v0
	s_nop 0
	v_subb_co_u32_e32 v5, vcc, v5, v6, vcc
	v_cndmask_b32_e64 v6, 0, 1, s[6:7]
	v_cmp_gt_i64_e64 s[6:7], s[26:27], 0
	v_lshlrev_b32_e32 v10, 3, v16
	v_div_fixup_f32 v18, v1, v2, 1.0
	v_mov_b32_e32 v1, 0
	v_cndmask_b32_e64 v7, 0, 1, s[6:7]
	v_add_u32_e32 v19, 0, v3
	v_mbcnt_lo_u32_b32 v3, -1, 0
	v_cmp_gt_u16_e64 s[38:39], s48, 1
	s_mov_b32 s40, 0
	v_cmp_eq_u32_e64 s[0:1], 0, v17
	v_cmp_ne_u32_e64 s[2:3], 0, v17
	v_cmp_gt_i64_e64 s[4:5], s[26:27], v[0:1]
	v_cmp_ne_u32_e64 s[6:7], 1, v6
	v_cmp_ne_u32_e64 s[8:9], 1, v7
	v_mov_b64_e32 v[6:7], s[26:27]
	v_mov_b64_e32 v[8:9], s[26:27]
	v_mbcnt_hi_u32_b32 v20, -1, v3
	v_add_u32_e32 v21, 0, v10
	s_branch .LBB47_4
.LBB47_2:                               ;   in Loop: Header=BB47_4 Depth=1
	s_or_b64 exec, exec, s[12:13]
.LBB47_3:                               ;   in Loop: Header=BB47_4 Depth=1
	s_add_i32 s14, s33, s14
	s_ashr_i32 s15, s14, 31
	v_mov_b64_e32 v[10:11], s[24:25]
	v_cmp_ge_i64_e32 vcc, s[14:15], v[10:11]
	s_barrier
	s_cbranch_vccnz .LBB47_47
.LBB47_4:                               ; =>This Loop Header: Depth=1
                                        ;     Child Loop BB47_8 Depth 2
                                        ;     Child Loop BB47_19 Depth 2
	;; [unrolled: 1-line block ×6, first 2 shown]
	s_mul_i32 s10, s14, s27
	s_mul_hi_u32 s11, s14, s26
	s_add_i32 s10, s11, s10
	s_mul_i32 s11, s15, s26
	s_add_i32 s11, s10, s11
	s_lshl_b64 s[12:13], s[14:15], 2
	s_add_u32 s42, s16, s12
	s_addc_u32 s43, s17, s13
	s_add_u32 s12, s18, s12
	s_mul_i32 s10, s14, s26
	s_addc_u32 s13, s19, s13
	s_load_dword s15, s[42:43], 0x0
	s_load_dword s50, s[12:13], 0x0
	s_lshl_b64 s[46:47], s[10:11], 2
	s_add_u32 s42, s30, s46
	s_addc_u32 s43, s31, s47
	s_add_u32 s44, s28, s46
	s_addc_u32 s45, s29, s47
	s_and_b64 vcc, exec, s[6:7]
	s_cbranch_vccnz .LBB47_15
; %bb.5:                                ;   in Loop: Header=BB47_4 Depth=1
	s_mov_b32 s41, s40
	s_and_b64 vcc, exec, s[8:9]
	v_mov_b64_e32 v[10:11], s[40:41]
	s_cbranch_vccnz .LBB47_14
; %bb.6:                                ;   in Loop: Header=BB47_4 Depth=1
	v_mov_b32_e32 v10, 0
	s_mov_b32 s10, 0
	v_mov_b32_e32 v11, v10
	s_branch .LBB47_8
.LBB47_7:                               ;   in Loop: Header=BB47_8 Depth=2
	s_or_b64 exec, exec, s[12:13]
	s_waitcnt vmcnt(0) lgkmcnt(0)
	v_subrev_f32_e32 v13, s15, v14
	v_mul_f32_e32 v12, v3, v15
	s_add_i32 s10, s10, s34
	v_mul_f32_e32 v3, v13, v12
	s_ashr_i32 s11, s10, 31
	v_mul_f32_e32 v13, s50, v3
	v_cmp_ge_i64_e32 vcc, s[10:11], v[6:7]
	v_pk_add_f32 v[10:11], v[10:11], v[12:13]
	s_cbranch_vccnz .LBB47_14
.LBB47_8:                               ;   Parent Loop BB47_4 Depth=1
                                        ; =>  This Inner Loop Header: Depth=2
	v_add_u32_e32 v12, s10, v0
	v_ashrrev_i32_e32 v13, 31, v12
	v_cmp_gt_i64_e32 vcc, s[26:27], v[12:13]
	v_mov_b32_e32 v3, 0
	s_and_saveexec_b64 s[12:13], vcc
	s_cbranch_execnz .LBB47_11
; %bb.9:                                ;   in Loop: Header=BB47_8 Depth=2
	s_or_b64 exec, exec, s[12:13]
	v_mov_b32_e32 v14, 0
	s_and_saveexec_b64 s[12:13], vcc
	s_cbranch_execnz .LBB47_12
.LBB47_10:                              ;   in Loop: Header=BB47_8 Depth=2
	s_or_b64 exec, exec, s[12:13]
	v_mov_b32_e32 v15, 0
	s_and_saveexec_b64 s[12:13], vcc
	s_cbranch_execz .LBB47_7
	s_branch .LBB47_13
.LBB47_11:                              ;   in Loop: Header=BB47_8 Depth=2
	v_lshl_add_u64 v[14:15], v[12:13], 2, s[20:21]
	global_load_dword v3, v[14:15], off
	s_or_b64 exec, exec, s[12:13]
	v_mov_b32_e32 v14, 0
	s_and_saveexec_b64 s[12:13], vcc
	s_cbranch_execz .LBB47_10
.LBB47_12:                              ;   in Loop: Header=BB47_8 Depth=2
	v_lshl_add_u64 v[14:15], v[12:13], 2, s[42:43]
	global_load_dword v14, v[14:15], off
	s_or_b64 exec, exec, s[12:13]
	v_mov_b32_e32 v15, 0
	s_and_saveexec_b64 s[12:13], vcc
	s_cbranch_execz .LBB47_7
.LBB47_13:                              ;   in Loop: Header=BB47_8 Depth=2
	v_lshl_add_u64 v[12:13], v[12:13], 2, s[44:45]
	global_load_dword v15, v[12:13], off
	s_branch .LBB47_7
.LBB47_14:                              ;   in Loop: Header=BB47_4 Depth=1
	s_cbranch_execz .LBB47_16
	s_branch .LBB47_23
.LBB47_15:                              ;   in Loop: Header=BB47_4 Depth=1
                                        ; implicit-def: $vgpr10_vgpr11
.LBB47_16:                              ;   in Loop: Header=BB47_4 Depth=1
	s_mov_b32 s41, s40
	s_and_b64 vcc, exec, s[8:9]
	v_mov_b64_e32 v[10:11], s[40:41]
	s_cbranch_vccnz .LBB47_23
; %bb.17:                               ;   in Loop: Header=BB47_4 Depth=1
	v_mov_b32_e32 v10, 0
	s_mov_b32 s10, 0
	v_mov_b32_e32 v11, v10
	s_branch .LBB47_19
.LBB47_18:                              ;   in Loop: Header=BB47_19 Depth=2
	s_or_b64 exec, exec, s[12:13]
	s_waitcnt vmcnt(0) lgkmcnt(0)
	v_subrev_f32_e32 v3, s15, v3
	s_add_i32 s10, s10, s34
	v_mul_f32_e32 v3, v3, v14
	s_ashr_i32 s11, s10, 31
	v_mul_f32_e32 v15, s50, v3
	v_cmp_ge_i64_e32 vcc, s[10:11], v[8:9]
	v_pk_add_f32 v[10:11], v[10:11], v[14:15]
	s_cbranch_vccnz .LBB47_23
.LBB47_19:                              ;   Parent Loop BB47_4 Depth=1
                                        ; =>  This Inner Loop Header: Depth=2
	v_add_u32_e32 v12, s10, v0
	v_ashrrev_i32_e32 v13, 31, v12
	v_cmp_gt_i64_e32 vcc, s[26:27], v[12:13]
	v_mov_b32_e32 v3, 0
	s_and_saveexec_b64 s[12:13], vcc
	s_cbranch_execz .LBB47_21
; %bb.20:                               ;   in Loop: Header=BB47_19 Depth=2
	v_lshl_add_u64 v[14:15], v[12:13], 2, s[42:43]
	global_load_dword v3, v[14:15], off
.LBB47_21:                              ;   in Loop: Header=BB47_19 Depth=2
	s_or_b64 exec, exec, s[12:13]
	v_mov_b32_e32 v14, 0
	s_and_saveexec_b64 s[12:13], vcc
	s_cbranch_execz .LBB47_18
; %bb.22:                               ;   in Loop: Header=BB47_19 Depth=2
	v_lshl_add_u64 v[12:13], v[12:13], 2, s[44:45]
	global_load_dword v14, v[12:13], off
	s_branch .LBB47_18
.LBB47_23:                              ;   in Loop: Header=BB47_4 Depth=1
	s_andn2_b64 vcc, exec, s[36:37]
	s_cbranch_vccnz .LBB47_26
; %bb.24:                               ;   in Loop: Header=BB47_4 Depth=1
	v_and_b32_e32 v3, 64, v20
	v_add_u32_e32 v3, 64, v3
	s_mov_b32 s10, s49
.LBB47_25:                              ;   Parent Loop BB47_4 Depth=1
                                        ; =>  This Inner Loop Header: Depth=2
	s_lshr_b32 s11, s10, 1
	v_xor_b32_e32 v12, s11, v20
	v_cmp_lt_i32_e32 vcc, v12, v3
	s_cmp_lt_u32 s10, 4
	s_mov_b32 s10, s11
	v_cndmask_b32_e32 v12, v20, v12, vcc
	v_lshlrev_b32_e32 v13, 2, v12
	ds_bpermute_b32 v12, v13, v10
	ds_bpermute_b32 v13, v13, v11
	s_waitcnt lgkmcnt(0)
	v_pk_add_f32 v[10:11], v[10:11], v[12:13]
	s_cbranch_scc0 .LBB47_25
.LBB47_26:                              ;   in Loop: Header=BB47_4 Depth=1
	s_andn2_b64 vcc, exec, s[38:39]
	s_mov_b32 s41, s48
	s_cbranch_vccnz .LBB47_38
.LBB47_27:                              ;   Parent Loop BB47_4 Depth=1
                                        ; =>  This Inner Loop Header: Depth=2
	s_lshr_b32 s51, s41, 1
	s_and_b32 s12, s41, 0xfffe
	v_cmp_le_u32_e64 s[10:11], s51, v17
	v_cmp_gt_u32_e64 s[12:13], s12, v17
	v_cmp_gt_u32_e32 vcc, s51, v17
	s_and_b64 s[12:13], s[10:11], s[12:13]
	s_and_saveexec_b64 s[10:11], s[12:13]
	s_cbranch_execz .LBB47_29
; %bb.28:                               ;   in Loop: Header=BB47_27 Depth=2
	v_subrev_u32_e32 v3, s51, v17
	v_mad_i32_i24 v3, v3, s49, v16
	v_lshl_add_u32 v3, v3, 3, 0
	ds_write_b64 v3, v[10:11]
.LBB47_29:                              ;   in Loop: Header=BB47_27 Depth=2
	s_or_b64 exec, exec, s[10:11]
	s_waitcnt lgkmcnt(0)
	s_barrier
	s_and_saveexec_b64 s[10:11], vcc
	s_cbranch_execz .LBB47_31
; %bb.30:                               ;   in Loop: Header=BB47_27 Depth=2
	ds_read_b64 v[12:13], v19
	s_waitcnt lgkmcnt(0)
	v_pk_add_f32 v[10:11], v[10:11], v[12:13]
.LBB47_31:                              ;   in Loop: Header=BB47_27 Depth=2
	s_or_b64 exec, exec, s[10:11]
	s_cmp_lt_u32 s41, 4
	s_barrier
	s_cbranch_scc1 .LBB47_33
; %bb.32:                               ;   in Loop: Header=BB47_27 Depth=2
	s_mov_b32 s41, s51
	s_branch .LBB47_27
.LBB47_33:                              ;   in Loop: Header=BB47_4 Depth=1
	s_and_saveexec_b64 s[10:11], s[0:1]
	s_cbranch_execz .LBB47_35
; %bb.34:                               ;   in Loop: Header=BB47_4 Depth=1
	ds_write_b64 v21, v[10:11]
.LBB47_35:                              ;   in Loop: Header=BB47_4 Depth=1
	s_or_b64 exec, exec, s[10:11]
	s_waitcnt lgkmcnt(0)
	s_barrier
	s_and_saveexec_b64 s[10:11], s[2:3]
	s_cbranch_execz .LBB47_37
; %bb.36:                               ;   in Loop: Header=BB47_4 Depth=1
	ds_read_b64 v[10:11], v21
.LBB47_37:                              ;   in Loop: Header=BB47_4 Depth=1
	s_or_b64 exec, exec, s[10:11]
.LBB47_38:                              ;   in Loop: Header=BB47_4 Depth=1
	s_add_u32 s10, s22, s46
	s_addc_u32 s11, s23, s47
	s_and_b64 vcc, exec, s[6:7]
	s_waitcnt lgkmcnt(0)
	v_mul_f32_e32 v22, s50, v18
	s_cbranch_vccnz .LBB47_43
; %bb.39:                               ;   in Loop: Header=BB47_4 Depth=1
	s_and_saveexec_b64 s[12:13], s[4:5]
	s_cbranch_execz .LBB47_42
; %bb.40:                               ;   in Loop: Header=BB47_4 Depth=1
	s_mov_b64 s[46:47], 0
	v_mov_b64_e32 v[12:13], v[4:5]
	v_mov_b64_e32 v[14:15], v[0:1]
.LBB47_41:                              ;   Parent Loop BB47_4 Depth=1
                                        ; =>  This Inner Loop Header: Depth=2
	v_lshlrev_b64 v[14:15], 2, v[14:15]
	v_lshl_add_u64 v[26:27], s[44:45], 0, v[14:15]
	v_lshl_add_u64 v[24:25], s[42:43], 0, v[14:15]
	;; [unrolled: 1-line block ×3, first 2 shown]
	global_load_dword v3, v[26:27], off
	global_load_dword v23, v[24:25], off
	;; [unrolled: 1-line block ×3, first 2 shown]
	v_lshl_add_u64 v[12:13], v[12:13], 0, s[34:35]
	v_cmp_le_i64_e32 vcc, s[26:27], v[12:13]
	v_lshl_add_u64 v[24:25], s[10:11], 0, v[14:15]
	v_ashrrev_i32_e32 v15, 31, v12
	v_mov_b32_e32 v14, v12
	s_or_b64 s[46:47], vcc, s[46:47]
	s_waitcnt vmcnt(2)
	v_mul_f32_e32 v3, v3, v2
	s_waitcnt vmcnt(1)
	v_subrev_f32_e32 v23, s15, v23
	s_waitcnt vmcnt(0)
	v_fma_f32 v3, v3, v30, -v10
	v_mul_f32_e32 v23, s50, v23
	v_fma_f32 v3, -v11, v23, v3
	v_mul_f32_e32 v3, v22, v3
	global_store_dword v[24:25], v3, off
	s_andn2_b64 exec, exec, s[46:47]
	s_cbranch_execnz .LBB47_41
.LBB47_42:                              ;   in Loop: Header=BB47_4 Depth=1
	s_or_b64 exec, exec, s[12:13]
	s_cbranch_execnz .LBB47_3
	s_branch .LBB47_44
.LBB47_43:                              ;   in Loop: Header=BB47_4 Depth=1
.LBB47_44:                              ;   in Loop: Header=BB47_4 Depth=1
	s_and_saveexec_b64 s[12:13], s[4:5]
	s_cbranch_execz .LBB47_2
; %bb.45:                               ;   in Loop: Header=BB47_4 Depth=1
	s_mov_b64 s[46:47], 0
	v_mov_b64_e32 v[12:13], v[4:5]
	v_mov_b64_e32 v[14:15], v[0:1]
.LBB47_46:                              ;   Parent Loop BB47_4 Depth=1
                                        ; =>  This Inner Loop Header: Depth=2
	v_lshlrev_b64 v[14:15], 2, v[14:15]
	v_lshl_add_u64 v[24:25], s[42:43], 0, v[14:15]
	v_lshl_add_u64 v[26:27], s[44:45], 0, v[14:15]
	global_load_dword v3, v[24:25], off
	global_load_dword v28, v[26:27], off
	v_mov_b32_e32 v29, s50
	v_lshl_add_u64 v[12:13], v[12:13], 0, s[34:35]
	v_cmp_le_i64_e32 vcc, s[26:27], v[12:13]
	v_lshl_add_u64 v[24:25], s[10:11], 0, v[14:15]
	v_ashrrev_i32_e32 v15, 31, v12
	v_mov_b32_e32 v14, v12
	s_or_b64 s[46:47], vcc, s[46:47]
	s_waitcnt vmcnt(1)
	v_subrev_f32_e32 v3, s15, v3
	s_waitcnt vmcnt(0)
	v_pk_mul_f32 v[26:27], v[28:29], v[2:3]
	s_nop 0
	v_sub_f32_e32 v3, v26, v10
	v_fma_f32 v3, -v27, v11, v3
	v_mul_f32_e32 v3, v22, v3
	global_store_dword v[24:25], v3, off
	s_andn2_b64 exec, exec, s[46:47]
	s_cbranch_execnz .LBB47_46
	s_branch .LBB47_2
.LBB47_47:
	s_endpgm
	.section	.rodata,"a",@progbits
	.p2align	6, 0x0
	.amdhsa_kernel _ZN2at6native12_GLOBAL__N_118cuComputeGradInputIffLb0EEEvPKT_S5_llPKT0_S8_S5_PS3_
		.amdhsa_group_segment_fixed_size 0
		.amdhsa_private_segment_fixed_size 0
		.amdhsa_kernarg_size 320
		.amdhsa_user_sgpr_count 2
		.amdhsa_user_sgpr_dispatch_ptr 0
		.amdhsa_user_sgpr_queue_ptr 0
		.amdhsa_user_sgpr_kernarg_segment_ptr 1
		.amdhsa_user_sgpr_dispatch_id 0
		.amdhsa_user_sgpr_kernarg_preload_length 0
		.amdhsa_user_sgpr_kernarg_preload_offset 0
		.amdhsa_user_sgpr_private_segment_size 0
		.amdhsa_uses_dynamic_stack 0
		.amdhsa_enable_private_segment 0
		.amdhsa_system_sgpr_workgroup_id_x 1
		.amdhsa_system_sgpr_workgroup_id_y 1
		.amdhsa_system_sgpr_workgroup_id_z 0
		.amdhsa_system_sgpr_workgroup_info 0
		.amdhsa_system_vgpr_workitem_id 1
		.amdhsa_next_free_vgpr 31
		.amdhsa_next_free_sgpr 52
		.amdhsa_accum_offset 32
		.amdhsa_reserve_vcc 1
		.amdhsa_float_round_mode_32 0
		.amdhsa_float_round_mode_16_64 0
		.amdhsa_float_denorm_mode_32 3
		.amdhsa_float_denorm_mode_16_64 3
		.amdhsa_dx10_clamp 1
		.amdhsa_ieee_mode 1
		.amdhsa_fp16_overflow 0
		.amdhsa_tg_split 0
		.amdhsa_exception_fp_ieee_invalid_op 0
		.amdhsa_exception_fp_denorm_src 0
		.amdhsa_exception_fp_ieee_div_zero 0
		.amdhsa_exception_fp_ieee_overflow 0
		.amdhsa_exception_fp_ieee_underflow 0
		.amdhsa_exception_fp_ieee_inexact 0
		.amdhsa_exception_int_div_zero 0
	.end_amdhsa_kernel
	.section	.text._ZN2at6native12_GLOBAL__N_118cuComputeGradInputIffLb0EEEvPKT_S5_llPKT0_S8_S5_PS3_,"axG",@progbits,_ZN2at6native12_GLOBAL__N_118cuComputeGradInputIffLb0EEEvPKT_S5_llPKT0_S8_S5_PS3_,comdat
.Lfunc_end47:
	.size	_ZN2at6native12_GLOBAL__N_118cuComputeGradInputIffLb0EEEvPKT_S5_llPKT0_S8_S5_PS3_, .Lfunc_end47-_ZN2at6native12_GLOBAL__N_118cuComputeGradInputIffLb0EEEvPKT_S5_llPKT0_S8_S5_PS3_
                                        ; -- End function
	.section	.AMDGPU.csdata,"",@progbits
; Kernel info:
; codeLenInByte = 1540
; NumSgprs: 58
; NumVgprs: 31
; NumAgprs: 0
; TotalNumVgprs: 31
; ScratchSize: 0
; MemoryBound: 0
; FloatMode: 240
; IeeeMode: 1
; LDSByteSize: 0 bytes/workgroup (compile time only)
; SGPRBlocks: 7
; VGPRBlocks: 3
; NumSGPRsForWavesPerEU: 58
; NumVGPRsForWavesPerEU: 31
; AccumOffset: 32
; Occupancy: 8
; WaveLimiterHint : 0
; COMPUTE_PGM_RSRC2:SCRATCH_EN: 0
; COMPUTE_PGM_RSRC2:USER_SGPR: 2
; COMPUTE_PGM_RSRC2:TRAP_HANDLER: 0
; COMPUTE_PGM_RSRC2:TGID_X_EN: 1
; COMPUTE_PGM_RSRC2:TGID_Y_EN: 1
; COMPUTE_PGM_RSRC2:TGID_Z_EN: 0
; COMPUTE_PGM_RSRC2:TIDIG_COMP_CNT: 1
; COMPUTE_PGM_RSRC3_GFX90A:ACCUM_OFFSET: 7
; COMPUTE_PGM_RSRC3_GFX90A:TG_SPLIT: 0
	.section	.text._ZN2at6native12_GLOBAL__N_128layer_norm_grad_input_kernelIffLb0EEEvPKT_S5_PKT0_S8_S5_PS3_i,"axG",@progbits,_ZN2at6native12_GLOBAL__N_128layer_norm_grad_input_kernelIffLb0EEEvPKT_S5_PKT0_S8_S5_PS3_i,comdat
	.globl	_ZN2at6native12_GLOBAL__N_128layer_norm_grad_input_kernelIffLb0EEEvPKT_S5_PKT0_S8_S5_PS3_i ; -- Begin function _ZN2at6native12_GLOBAL__N_128layer_norm_grad_input_kernelIffLb0EEEvPKT_S5_PKT0_S8_S5_PS3_i
	.p2align	8
	.type	_ZN2at6native12_GLOBAL__N_128layer_norm_grad_input_kernelIffLb0EEEvPKT_S5_PKT0_S8_S5_PS3_i,@function
_ZN2at6native12_GLOBAL__N_128layer_norm_grad_input_kernelIffLb0EEEvPKT_S5_PKT0_S8_S5_PS3_i: ; @_ZN2at6native12_GLOBAL__N_128layer_norm_grad_input_kernelIffLb0EEEvPKT_S5_PKT0_S8_S5_PS3_i
; %bb.0:
	s_load_dword s30, s[0:1], 0x30
	s_load_dwordx2 s[12:13], s[0:1], 0x20
	s_load_dwordx8 s[4:11], s[0:1], 0x0
	s_mov_b32 s3, 0
	v_lshlrev_b32_e32 v4, 2, v0
	s_waitcnt lgkmcnt(0)
	s_ashr_i32 s14, s30, 31
	s_mul_hi_u32 s15, s30, s2
	s_mul_i32 s14, s14, s2
	s_add_i32 s17, s15, s14
	s_lshl_b64 s[14:15], s[2:3], 2
	s_add_u32 s8, s8, s14
	s_addc_u32 s9, s9, s15
	s_load_dword s31, s[8:9], 0x0
	s_add_u32 s8, s10, s14
	s_mul_i32 s16, s30, s2
	s_addc_u32 s9, s11, s15
	s_load_dword s33, s[8:9], 0x0
	s_lshl_b64 s[14:15], s[16:17], 2
	s_add_u32 s8, s6, s14
	s_addc_u32 s9, s7, s15
	s_add_u32 s10, s4, s14
	v_or_b32_e32 v1, 3, v4
	s_mov_b32 s2, s3
	s_addc_u32 s11, s5, s15
	v_cmp_gt_u32_e32 vcc, s30, v1
	v_mov_b64_e32 v[2:3], s[2:3]
	s_and_saveexec_b64 s[18:19], vcc
	s_cbranch_execz .LBB48_12
; %bb.1:
	s_load_dword s2, s[0:1], 0x44
	s_cmp_lg_u64 s[12:13], 0
	s_cselect_b64 s[22:23], -1, 0
	v_mov_b32_e32 v2, 0
	v_cndmask_b32_e64 v1, 0, 1, s[22:23]
	s_waitcnt lgkmcnt(0)
	s_and_b32 s2, s2, 0xffff
	s_lshl_b32 s34, s2, 2
	s_add_u32 s24, s12, 4
	s_addc_u32 s25, s13, 0
	s_add_u32 s26, s12, 8
	s_addc_u32 s27, s13, 0
	s_add_u32 s28, s12, 12
	s_mov_b64 s[20:21], 0
	s_addc_u32 s29, s13, 0
	v_mov_b32_e32 v5, 0
	v_cmp_ne_u32_e64 s[2:3], 1, v1
	v_mov_b32_e32 v3, v2
	s_branch .LBB48_3
.LBB48_2:                               ;   in Loop: Header=BB48_3 Depth=1
	global_load_dword v19, v[6:7], off offset:12
	global_load_dword v20, v[8:9], off offset:12
	s_waitcnt vmcnt(7)
	v_subrev_f32_e32 v6, s31, v12
	s_waitcnt vmcnt(6)
	v_mul_f32_e32 v7, v10, v13
	s_waitcnt vmcnt(5)
	v_subrev_f32_e32 v8, s31, v14
	s_waitcnt vmcnt(4)
	v_mul_f32_e32 v9, v1, v15
	;; [unrolled: 4-line block ×3, first 2 shown]
	v_mul_f32_e32 v6, v6, v7
	v_mul_f32_e32 v8, v8, v9
	;; [unrolled: 1-line block ×4, first 2 shown]
	v_add_u32_e32 v4, s34, v4
	v_mul_f32_e32 v8, s33, v8
	v_mul_f32_e32 v12, s33, v1
	v_pk_add_f32 v[2:3], v[2:3], v[6:7]
	v_add_u32_e32 v10, 3, v4
	v_pk_add_f32 v[2:3], v[2:3], v[8:9]
	v_cmp_le_u32_e32 vcc, s30, v10
	v_pk_add_f32 v[2:3], v[2:3], v[12:13]
	s_or_b64 s[20:21], vcc, s[20:21]
	s_waitcnt vmcnt(1)
	v_subrev_f32_e32 v1, s31, v19
	s_waitcnt vmcnt(0)
	v_mul_f32_e32 v7, v11, v20
	v_mul_f32_e32 v1, v1, v7
	;; [unrolled: 1-line block ×3, first 2 shown]
	v_pk_add_f32 v[2:3], v[2:3], v[6:7]
	s_andn2_b64 exec, exec, s[20:21]
	s_cbranch_execz .LBB48_11
.LBB48_3:                               ; =>This Inner Loop Header: Depth=1
	s_and_b64 vcc, exec, s[22:23]
	v_mov_b32_e32 v1, 1.0
	v_mov_b32_e32 v10, 1.0
	s_cbranch_vccz .LBB48_5
; %bb.4:                                ;   in Loop: Header=BB48_3 Depth=1
	v_lshl_add_u64 v[6:7], v[4:5], 2, s[12:13]
	global_load_dword v10, v[6:7], off
.LBB48_5:                               ;   in Loop: Header=BB48_3 Depth=1
	v_lshlrev_b64 v[8:9], 2, v[4:5]
	v_lshl_add_u64 v[6:7], s[8:9], 0, v[8:9]
	v_lshl_add_u64 v[8:9], s[10:11], 0, v[8:9]
	global_load_dword v12, v[6:7], off
	global_load_dword v13, v[8:9], off
	s_and_b64 vcc, exec, s[2:3]
	s_cbranch_vccnz .LBB48_7
; %bb.6:                                ;   in Loop: Header=BB48_3 Depth=1
	v_lshl_add_u64 v[14:15], v[4:5], 2, s[24:25]
	global_load_dword v1, v[14:15], off
.LBB48_7:                               ;   in Loop: Header=BB48_3 Depth=1
	s_nop 0
	global_load_dword v14, v[6:7], off offset:4
	global_load_dword v15, v[8:9], off offset:4
	s_and_b64 vcc, exec, s[2:3]
	v_mov_b32_e32 v11, 1.0
	v_mov_b32_e32 v16, 1.0
	s_cbranch_vccnz .LBB48_9
; %bb.8:                                ;   in Loop: Header=BB48_3 Depth=1
	v_lshl_add_u64 v[16:17], v[4:5], 2, s[26:27]
	global_load_dword v16, v[16:17], off
.LBB48_9:                               ;   in Loop: Header=BB48_3 Depth=1
	s_nop 0
	global_load_dword v17, v[6:7], off offset:8
	global_load_dword v18, v[8:9], off offset:8
	s_and_b64 vcc, exec, s[2:3]
	s_cbranch_vccnz .LBB48_2
; %bb.10:                               ;   in Loop: Header=BB48_3 Depth=1
	v_lshl_add_u64 v[20:21], v[4:5], 2, s[28:29]
	global_load_dword v11, v[20:21], off
	s_branch .LBB48_2
.LBB48_11:
	s_or_b64 exec, exec, s[20:21]
.LBB48_12:
	s_or_b64 exec, exec, s[18:19]
	v_cmp_gt_u32_e32 vcc, s30, v4
	s_and_saveexec_b64 s[18:19], vcc
	s_cbranch_execz .LBB48_19
; %bb.13:
	s_cmp_lg_u64 s[12:13], 0
	v_mov_b32_e32 v5, 0
	v_lshlrev_b64 v[8:9], 2, v[4:5]
	s_cselect_b64 s[2:3], -1, 0
	v_lshl_add_u64 v[10:11], s[16:17], 2, v[8:9]
	v_cndmask_b32_e64 v1, 0, 1, s[2:3]
	s_mov_b64 s[20:21], 0
	v_lshl_add_u64 v[6:7], s[12:13], 0, v[8:9]
	v_lshl_add_u64 v[8:9], s[6:7], 0, v[10:11]
	;; [unrolled: 1-line block ×3, first 2 shown]
	v_cmp_ne_u32_e64 s[2:3], 1, v1
	s_branch .LBB48_16
.LBB48_14:                              ;   in Loop: Header=BB48_16 Depth=1
	global_load_dword v1, v[6:7], off
.LBB48_15:                              ;   in Loop: Header=BB48_16 Depth=1
	global_load_dword v5, v[8:9], off
	global_load_dword v12, v[10:11], off
	v_add_u32_e32 v4, 1, v4
	v_cmp_le_u32_e32 vcc, s30, v4
	v_lshl_add_u64 v[6:7], v[6:7], 0, 4
	v_lshl_add_u64 v[8:9], v[8:9], 0, 4
	s_or_b64 s[20:21], vcc, s[20:21]
	v_lshl_add_u64 v[10:11], v[10:11], 0, 4
	s_waitcnt vmcnt(1) lgkmcnt(0)
	v_subrev_f32_e32 v5, s31, v5
	s_waitcnt vmcnt(0)
	v_mul_f32_e32 v13, v1, v12
	v_mul_f32_e32 v1, v5, v13
	;; [unrolled: 1-line block ×3, first 2 shown]
	v_pk_add_f32 v[2:3], v[2:3], v[12:13]
	s_andn2_b64 exec, exec, s[20:21]
	s_cbranch_execz .LBB48_18
.LBB48_16:                              ; =>This Inner Loop Header: Depth=1
	s_and_b64 vcc, exec, s[2:3]
	s_cbranch_vccz .LBB48_14
; %bb.17:                               ;   in Loop: Header=BB48_16 Depth=1
	v_mov_b32_e32 v1, 1.0
	s_branch .LBB48_15
.LBB48_18:
	s_or_b64 exec, exec, s[20:21]
.LBB48_19:
	s_or_b64 exec, exec, s[18:19]
	v_mbcnt_lo_u32_b32 v1, -1, 0
	v_mbcnt_hi_u32_b32 v5, -1, v1
	v_and_b32_e32 v9, 63, v5
	v_cmp_gt_u32_e32 vcc, 32, v9
	s_waitcnt lgkmcnt(0)
	s_barrier
	v_cndmask_b32_e64 v1, 0, 1, vcc
	v_lshlrev_b32_e32 v1, 5, v1
	v_add_lshl_u32 v1, v1, v5, 2
	ds_bpermute_b32 v4, v1, v3
	v_cmp_gt_u32_e32 vcc, 48, v9
	s_waitcnt lgkmcnt(0)
	v_add_f32_e32 v4, v3, v4
	v_cndmask_b32_e64 v6, 0, 1, vcc
	v_lshlrev_b32_e32 v6, 4, v6
	v_add_lshl_u32 v3, v6, v5, 2
	ds_bpermute_b32 v6, v3, v4
	v_cmp_gt_u32_e32 vcc, 56, v9
	s_waitcnt lgkmcnt(0)
	v_add_f32_e32 v4, v4, v6
	;; [unrolled: 7-line block ×4, first 2 shown]
	v_cndmask_b32_e64 v10, 0, 1, vcc
	v_lshlrev_b32_e32 v10, 1, v10
	v_add_lshl_u32 v8, v10, v5, 2
	ds_bpermute_b32 v11, v8, v4
	v_cmp_ne_u32_e32 vcc, 63, v9
	v_and_b32_e32 v10, 63, v0
	s_waitcnt lgkmcnt(0)
	v_add_f32_e32 v4, v4, v11
	v_addc_co_u32_e32 v5, vcc, 0, v5, vcc
	v_lshlrev_b32_e32 v9, 2, v5
	ds_bpermute_b32 v11, v9, v4
	v_cmp_eq_u32_e32 vcc, 0, v10
	v_lshrrev_b32_e32 v5, 4, v0
	s_and_saveexec_b64 s[2:3], vcc
	s_cbranch_execz .LBB48_21
; %bb.20:
	v_add_u32_e32 v12, 0, v5
	s_waitcnt lgkmcnt(0)
	v_add_f32_e32 v4, v4, v11
	ds_write_b32 v12, v4
.LBB48_21:
	s_or_b64 exec, exec, s[2:3]
	s_waitcnt lgkmcnt(0)
	s_barrier
	s_load_dword s16, s[0:1], 0x44
	v_mov_b32_e32 v4, 0
	v_lshl_add_u32 v10, v10, 2, 0
	s_waitcnt lgkmcnt(0)
	s_bfe_u32 s2, s16, 0xa0006
	v_cmp_gt_u32_e64 s[2:3], s2, v0
	s_and_saveexec_b64 s[4:5], s[2:3]
	s_cbranch_execz .LBB48_23
; %bb.22:
	ds_read_b32 v4, v10
.LBB48_23:
	s_or_b64 exec, exec, s[4:5]
	v_cmp_gt_u32_e64 s[4:5], 64, v0
	s_and_saveexec_b64 s[6:7], s[4:5]
	s_cbranch_execz .LBB48_25
; %bb.24:
	s_waitcnt lgkmcnt(0)
	ds_bpermute_b32 v11, v1, v4
	s_waitcnt lgkmcnt(0)
	v_add_f32_e32 v4, v4, v11
	ds_bpermute_b32 v11, v3, v4
	s_waitcnt lgkmcnt(0)
	v_add_f32_e32 v4, v4, v11
	;; [unrolled: 3-line block ×6, first 2 shown]
.LBB48_25:
	s_or_b64 exec, exec, s[6:7]
	ds_bpermute_b32 v11, v1, v2
	s_waitcnt lgkmcnt(0)
	s_barrier
	v_add_f32_e32 v2, v2, v11
	ds_bpermute_b32 v11, v3, v2
	s_waitcnt lgkmcnt(0)
	v_add_f32_e32 v2, v2, v11
	ds_bpermute_b32 v11, v6, v2
	s_waitcnt lgkmcnt(0)
	v_add_f32_e32 v2, v2, v11
	ds_bpermute_b32 v11, v7, v2
	s_waitcnt lgkmcnt(0)
	v_add_f32_e32 v2, v2, v11
	ds_bpermute_b32 v11, v8, v2
	s_waitcnt lgkmcnt(0)
	v_add_f32_e32 v2, v2, v11
	ds_bpermute_b32 v11, v9, v2
	s_and_saveexec_b64 s[6:7], vcc
	s_cbranch_execz .LBB48_27
; %bb.26:
	v_add_u32_e32 v5, 0, v5
	s_waitcnt lgkmcnt(0)
	v_add_f32_e32 v2, v2, v11
	ds_write_b32 v5, v2
.LBB48_27:
	s_or_b64 exec, exec, s[6:7]
	v_mov_b32_e32 v5, 0
	s_waitcnt lgkmcnt(0)
	s_barrier
	s_and_saveexec_b64 s[6:7], s[2:3]
	s_cbranch_execnz .LBB48_38
; %bb.28:
	s_or_b64 exec, exec, s[6:7]
	s_and_saveexec_b64 s[2:3], s[4:5]
	s_cbranch_execnz .LBB48_39
.LBB48_29:
	s_or_b64 exec, exec, s[2:3]
	v_cmp_eq_u32_e32 vcc, 0, v0
	s_and_saveexec_b64 s[2:3], vcc
	s_cbranch_execz .LBB48_31
.LBB48_30:
	v_mov_b32_e32 v1, 0
	s_waitcnt lgkmcnt(0)
	ds_write_b64 v1, v[4:5]
.LBB48_31:
	s_or_b64 exec, exec, s[2:3]
	v_cmp_gt_i32_e32 vcc, s30, v0
	s_waitcnt lgkmcnt(0)
	s_barrier
	s_and_saveexec_b64 s[2:3], vcc
	s_cbranch_execz .LBB48_37
; %bb.32:
	v_cvt_f32_i32_e32 v4, s30
	s_load_dwordx2 s[0:1], s[0:1], 0x28
	v_mov_b32_e32 v1, 0
	ds_read_b64 v[2:3], v1
	v_div_scale_f32 v5, s[2:3], v4, v4, 1.0
	v_rcp_f32_e32 v6, v5
	v_div_scale_f32 v1, vcc, 1.0, v4, 1.0
	s_and_b32 s6, s16, 0xffff
	v_fma_f32 v7, -v5, v6, 1.0
	v_fmac_f32_e32 v6, v7, v6
	v_mul_f32_e32 v7, v1, v6
	v_fma_f32 v8, -v5, v7, v1
	v_fmac_f32_e32 v7, v8, v6
	s_waitcnt lgkmcnt(0)
	s_add_u32 s2, s0, s14
	v_fma_f32 v1, -v5, v7, v1
	s_addc_u32 s3, s1, s15
	v_div_fmas_f32 v1, v1, v6, v7
	s_cmp_lg_u64 s[12:13], 0
	v_div_fixup_f32 v1, v1, v4, 1.0
	s_cselect_b64 s[0:1], -1, 0
	v_mul_f32_e32 v5, s33, v1
	v_cndmask_b32_e64 v1, 0, 1, s[0:1]
	s_mov_b64 s[4:5], 0
	v_cmp_ne_u32_e64 s[0:1], 1, v1
	s_branch .LBB48_35
.LBB48_33:                              ;   in Loop: Header=BB48_35 Depth=1
	v_lshl_add_u64 v[8:9], v[0:1], 2, s[12:13]
	global_load_dword v8, v[8:9], off
.LBB48_34:                              ;   in Loop: Header=BB48_35 Depth=1
	s_waitcnt vmcnt(1)
	v_subrev_f32_e32 v7, s31, v7
	v_mul_f32_e32 v7, s33, v7
	s_waitcnt vmcnt(0)
	v_mul_f32_e32 v8, v8, v4
	v_mul_f32_e32 v7, v3, v7
	v_fma_f32 v6, v6, v8, -v7
	v_sub_f32_e32 v6, v6, v2
	v_mul_f32_e32 v8, v5, v6
	v_lshl_add_u64 v[6:7], v[0:1], 2, s[2:3]
	v_add_u32_e32 v0, s6, v0
	v_cmp_le_i32_e32 vcc, s30, v0
	s_or_b64 s[4:5], vcc, s[4:5]
	global_store_dword v[6:7], v8, off
	s_andn2_b64 exec, exec, s[4:5]
	s_cbranch_execz .LBB48_37
.LBB48_35:                              ; =>This Inner Loop Header: Depth=1
	v_ashrrev_i32_e32 v1, 31, v0
	v_lshlrev_b64 v[8:9], 2, v[0:1]
	v_lshl_add_u64 v[6:7], s[8:9], 0, v[8:9]
	v_lshl_add_u64 v[8:9], s[10:11], 0, v[8:9]
	global_load_dword v7, v[6:7], off
	s_and_b64 vcc, exec, s[0:1]
	global_load_dword v6, v[8:9], off
	s_cbranch_vccz .LBB48_33
; %bb.36:                               ;   in Loop: Header=BB48_35 Depth=1
	v_mov_b32_e32 v8, 1.0
	s_branch .LBB48_34
.LBB48_37:
	s_endpgm
.LBB48_38:
	ds_read_b32 v5, v10
	s_or_b64 exec, exec, s[6:7]
	s_and_saveexec_b64 s[2:3], s[4:5]
	s_cbranch_execz .LBB48_29
.LBB48_39:
	s_waitcnt lgkmcnt(0)
	ds_bpermute_b32 v1, v1, v5
	s_waitcnt lgkmcnt(0)
	v_add_f32_e32 v1, v5, v1
	ds_bpermute_b32 v2, v3, v1
	s_waitcnt lgkmcnt(0)
	v_add_f32_e32 v1, v1, v2
	;; [unrolled: 3-line block ×6, first 2 shown]
	s_or_b64 exec, exec, s[2:3]
	v_cmp_eq_u32_e32 vcc, 0, v0
	s_and_saveexec_b64 s[2:3], vcc
	s_cbranch_execnz .LBB48_30
	s_branch .LBB48_31
	.section	.rodata,"a",@progbits
	.p2align	6, 0x0
	.amdhsa_kernel _ZN2at6native12_GLOBAL__N_128layer_norm_grad_input_kernelIffLb0EEEvPKT_S5_PKT0_S8_S5_PS3_i
		.amdhsa_group_segment_fixed_size 0
		.amdhsa_private_segment_fixed_size 0
		.amdhsa_kernarg_size 312
		.amdhsa_user_sgpr_count 2
		.amdhsa_user_sgpr_dispatch_ptr 0
		.amdhsa_user_sgpr_queue_ptr 0
		.amdhsa_user_sgpr_kernarg_segment_ptr 1
		.amdhsa_user_sgpr_dispatch_id 0
		.amdhsa_user_sgpr_kernarg_preload_length 0
		.amdhsa_user_sgpr_kernarg_preload_offset 0
		.amdhsa_user_sgpr_private_segment_size 0
		.amdhsa_uses_dynamic_stack 0
		.amdhsa_enable_private_segment 0
		.amdhsa_system_sgpr_workgroup_id_x 1
		.amdhsa_system_sgpr_workgroup_id_y 0
		.amdhsa_system_sgpr_workgroup_id_z 0
		.amdhsa_system_sgpr_workgroup_info 0
		.amdhsa_system_vgpr_workitem_id 0
		.amdhsa_next_free_vgpr 22
		.amdhsa_next_free_sgpr 35
		.amdhsa_accum_offset 24
		.amdhsa_reserve_vcc 1
		.amdhsa_float_round_mode_32 0
		.amdhsa_float_round_mode_16_64 0
		.amdhsa_float_denorm_mode_32 3
		.amdhsa_float_denorm_mode_16_64 3
		.amdhsa_dx10_clamp 1
		.amdhsa_ieee_mode 1
		.amdhsa_fp16_overflow 0
		.amdhsa_tg_split 0
		.amdhsa_exception_fp_ieee_invalid_op 0
		.amdhsa_exception_fp_denorm_src 0
		.amdhsa_exception_fp_ieee_div_zero 0
		.amdhsa_exception_fp_ieee_overflow 0
		.amdhsa_exception_fp_ieee_underflow 0
		.amdhsa_exception_fp_ieee_inexact 0
		.amdhsa_exception_int_div_zero 0
	.end_amdhsa_kernel
	.section	.text._ZN2at6native12_GLOBAL__N_128layer_norm_grad_input_kernelIffLb0EEEvPKT_S5_PKT0_S8_S5_PS3_i,"axG",@progbits,_ZN2at6native12_GLOBAL__N_128layer_norm_grad_input_kernelIffLb0EEEvPKT_S5_PKT0_S8_S5_PS3_i,comdat
.Lfunc_end48:
	.size	_ZN2at6native12_GLOBAL__N_128layer_norm_grad_input_kernelIffLb0EEEvPKT_S5_PKT0_S8_S5_PS3_i, .Lfunc_end48-_ZN2at6native12_GLOBAL__N_128layer_norm_grad_input_kernelIffLb0EEEvPKT_S5_PKT0_S8_S5_PS3_i
                                        ; -- End function
	.section	.AMDGPU.csdata,"",@progbits
; Kernel info:
; codeLenInByte = 1952
; NumSgprs: 41
; NumVgprs: 22
; NumAgprs: 0
; TotalNumVgprs: 22
; ScratchSize: 0
; MemoryBound: 0
; FloatMode: 240
; IeeeMode: 1
; LDSByteSize: 0 bytes/workgroup (compile time only)
; SGPRBlocks: 5
; VGPRBlocks: 2
; NumSGPRsForWavesPerEU: 41
; NumVGPRsForWavesPerEU: 22
; AccumOffset: 24
; Occupancy: 8
; WaveLimiterHint : 0
; COMPUTE_PGM_RSRC2:SCRATCH_EN: 0
; COMPUTE_PGM_RSRC2:USER_SGPR: 2
; COMPUTE_PGM_RSRC2:TRAP_HANDLER: 0
; COMPUTE_PGM_RSRC2:TGID_X_EN: 1
; COMPUTE_PGM_RSRC2:TGID_Y_EN: 0
; COMPUTE_PGM_RSRC2:TGID_Z_EN: 0
; COMPUTE_PGM_RSRC2:TIDIG_COMP_CNT: 0
; COMPUTE_PGM_RSRC3_GFX90A:ACCUM_OFFSET: 5
; COMPUTE_PGM_RSRC3_GFX90A:TG_SPLIT: 0
	.section	.text._ZN2at6native12_GLOBAL__N_133GammaBetaBackwardSimpleCUDAKernelIffLb0EEEvllPKT_S5_PKT0_S8_PS3_S9_,"axG",@progbits,_ZN2at6native12_GLOBAL__N_133GammaBetaBackwardSimpleCUDAKernelIffLb0EEEvllPKT_S5_PKT0_S8_PS3_S9_,comdat
	.globl	_ZN2at6native12_GLOBAL__N_133GammaBetaBackwardSimpleCUDAKernelIffLb0EEEvllPKT_S5_PKT0_S8_PS3_S9_ ; -- Begin function _ZN2at6native12_GLOBAL__N_133GammaBetaBackwardSimpleCUDAKernelIffLb0EEEvllPKT_S5_PKT0_S8_PS3_S9_
	.p2align	8
	.type	_ZN2at6native12_GLOBAL__N_133GammaBetaBackwardSimpleCUDAKernelIffLb0EEEvllPKT_S5_PKT0_S8_PS3_S9_,@function
_ZN2at6native12_GLOBAL__N_133GammaBetaBackwardSimpleCUDAKernelIffLb0EEEvllPKT_S5_PKT0_S8_PS3_S9_: ; @_ZN2at6native12_GLOBAL__N_133GammaBetaBackwardSimpleCUDAKernelIffLb0EEEvllPKT_S5_PKT0_S8_PS3_S9_
; %bb.0:
	s_load_dword s3, s[0:1], 0x4c
	s_load_dwordx16 s[4:19], s[0:1], 0x0
	v_mov_b32_e32 v1, 0
	v_mov_b32_e32 v2, s2
	s_waitcnt lgkmcnt(0)
	s_and_b32 s0, s3, 0xffff
	v_mad_u64_u32 v[2:3], s[0:1], s0, v2, v[0:1]
	v_cmp_gt_i64_e32 vcc, s[6:7], v[2:3]
	s_and_saveexec_b64 s[0:1], vcc
	s_cbranch_execz .LBB49_12
; %bb.1:
	v_cmp_lt_i64_e64 s[0:1], s[4:5], 1
	s_and_b64 vcc, exec, s[0:1]
	v_mov_b32_e32 v0, 0
	s_cbranch_vccnz .LBB49_8
; %bb.2:
	s_cmp_lg_u64 s[16:17], 0
	s_cselect_b64 s[0:1], -1, 0
	s_cmp_lg_u64 s[18:19], 0
	s_cselect_b64 s[2:3], -1, 0
	v_cndmask_b32_e64 v0, 0, 1, s[0:1]
	v_cmp_ne_u32_e64 s[0:1], 1, v0
	v_cndmask_b32_e64 v0, 0, 1, s[2:3]
	v_lshlrev_b64 v[4:5], 2, v[2:3]
	s_lshl_b64 s[6:7], s[6:7], 2
	v_mov_b32_e32 v1, 0
	v_cmp_ne_u32_e64 s[2:3], 1, v0
	v_mov_b32_e32 v0, 0
	s_branch .LBB49_4
.LBB49_3:                               ;   in Loop: Header=BB49_4 Depth=1
	s_add_u32 s4, s4, -1
	s_addc_u32 s5, s5, -1
	s_add_u32 s14, s14, 4
	s_addc_u32 s15, s15, 0
	s_add_u32 s12, s12, 4
	s_addc_u32 s13, s13, 0
	v_add_f32_e32 v1, v1, v8
	s_waitcnt vmcnt(0)
	v_add_f32_e32 v0, v0, v9
	s_cmp_eq_u64 s[4:5], 0
	v_lshl_add_u64 v[4:5], v[4:5], 0, s[6:7]
	s_cbranch_scc1 .LBB49_8
.LBB49_4:                               ; =>This Inner Loop Header: Depth=1
	s_and_b64 vcc, exec, s[0:1]
	v_lshl_add_u64 v[6:7], s[8:9], 0, v[4:5]
	v_mov_b32_e32 v8, 0
	s_cbranch_vccnz .LBB49_6
; %bb.5:                                ;   in Loop: Header=BB49_4 Depth=1
	v_lshl_add_u64 v[8:9], s[10:11], 0, v[4:5]
	global_load_dword v10, v[8:9], off
	global_load_dword v11, v[6:7], off
	s_load_dword s20, s[12:13], 0x0
	s_load_dword s21, s[14:15], 0x0
	s_waitcnt vmcnt(1) lgkmcnt(0)
	v_subrev_f32_e32 v8, s20, v10
	s_waitcnt vmcnt(0)
	v_mul_f32_e32 v8, v11, v8
	v_mul_f32_e32 v8, s21, v8
.LBB49_6:                               ;   in Loop: Header=BB49_4 Depth=1
	s_and_b64 vcc, exec, s[2:3]
	v_mov_b32_e32 v9, 0
	s_cbranch_vccnz .LBB49_3
; %bb.7:                                ;   in Loop: Header=BB49_4 Depth=1
	global_load_dword v9, v[6:7], off
	s_branch .LBB49_3
.LBB49_8:
	s_cmp_lg_u64 s[16:17], 0
	s_cbranch_scc0 .LBB49_10
; %bb.9:
	v_lshl_add_u64 v[4:5], v[2:3], 2, s[16:17]
	global_store_dword v[4:5], v1, off
.LBB49_10:
	s_cmp_eq_u64 s[18:19], 0
	s_cbranch_scc1 .LBB49_12
; %bb.11:
	v_lshl_add_u64 v[2:3], v[2:3], 2, s[18:19]
	global_store_dword v[2:3], v0, off
.LBB49_12:
	s_endpgm
	.section	.rodata,"a",@progbits
	.p2align	6, 0x0
	.amdhsa_kernel _ZN2at6native12_GLOBAL__N_133GammaBetaBackwardSimpleCUDAKernelIffLb0EEEvllPKT_S5_PKT0_S8_PS3_S9_
		.amdhsa_group_segment_fixed_size 0
		.amdhsa_private_segment_fixed_size 0
		.amdhsa_kernarg_size 320
		.amdhsa_user_sgpr_count 2
		.amdhsa_user_sgpr_dispatch_ptr 0
		.amdhsa_user_sgpr_queue_ptr 0
		.amdhsa_user_sgpr_kernarg_segment_ptr 1
		.amdhsa_user_sgpr_dispatch_id 0
		.amdhsa_user_sgpr_kernarg_preload_length 0
		.amdhsa_user_sgpr_kernarg_preload_offset 0
		.amdhsa_user_sgpr_private_segment_size 0
		.amdhsa_uses_dynamic_stack 0
		.amdhsa_enable_private_segment 0
		.amdhsa_system_sgpr_workgroup_id_x 1
		.amdhsa_system_sgpr_workgroup_id_y 0
		.amdhsa_system_sgpr_workgroup_id_z 0
		.amdhsa_system_sgpr_workgroup_info 0
		.amdhsa_system_vgpr_workitem_id 0
		.amdhsa_next_free_vgpr 12
		.amdhsa_next_free_sgpr 22
		.amdhsa_accum_offset 12
		.amdhsa_reserve_vcc 1
		.amdhsa_float_round_mode_32 0
		.amdhsa_float_round_mode_16_64 0
		.amdhsa_float_denorm_mode_32 3
		.amdhsa_float_denorm_mode_16_64 3
		.amdhsa_dx10_clamp 1
		.amdhsa_ieee_mode 1
		.amdhsa_fp16_overflow 0
		.amdhsa_tg_split 0
		.amdhsa_exception_fp_ieee_invalid_op 0
		.amdhsa_exception_fp_denorm_src 0
		.amdhsa_exception_fp_ieee_div_zero 0
		.amdhsa_exception_fp_ieee_overflow 0
		.amdhsa_exception_fp_ieee_underflow 0
		.amdhsa_exception_fp_ieee_inexact 0
		.amdhsa_exception_int_div_zero 0
	.end_amdhsa_kernel
	.section	.text._ZN2at6native12_GLOBAL__N_133GammaBetaBackwardSimpleCUDAKernelIffLb0EEEvllPKT_S5_PKT0_S8_PS3_S9_,"axG",@progbits,_ZN2at6native12_GLOBAL__N_133GammaBetaBackwardSimpleCUDAKernelIffLb0EEEvllPKT_S5_PKT0_S8_PS3_S9_,comdat
.Lfunc_end49:
	.size	_ZN2at6native12_GLOBAL__N_133GammaBetaBackwardSimpleCUDAKernelIffLb0EEEvllPKT_S5_PKT0_S8_PS3_S9_, .Lfunc_end49-_ZN2at6native12_GLOBAL__N_133GammaBetaBackwardSimpleCUDAKernelIffLb0EEEvllPKT_S5_PKT0_S8_PS3_S9_
                                        ; -- End function
	.section	.AMDGPU.csdata,"",@progbits
; Kernel info:
; codeLenInByte = 356
; NumSgprs: 28
; NumVgprs: 12
; NumAgprs: 0
; TotalNumVgprs: 12
; ScratchSize: 0
; MemoryBound: 0
; FloatMode: 240
; IeeeMode: 1
; LDSByteSize: 0 bytes/workgroup (compile time only)
; SGPRBlocks: 3
; VGPRBlocks: 1
; NumSGPRsForWavesPerEU: 28
; NumVGPRsForWavesPerEU: 12
; AccumOffset: 12
; Occupancy: 8
; WaveLimiterHint : 0
; COMPUTE_PGM_RSRC2:SCRATCH_EN: 0
; COMPUTE_PGM_RSRC2:USER_SGPR: 2
; COMPUTE_PGM_RSRC2:TRAP_HANDLER: 0
; COMPUTE_PGM_RSRC2:TGID_X_EN: 1
; COMPUTE_PGM_RSRC2:TGID_Y_EN: 0
; COMPUTE_PGM_RSRC2:TGID_Z_EN: 0
; COMPUTE_PGM_RSRC2:TIDIG_COMP_CNT: 0
; COMPUTE_PGM_RSRC3_GFX90A:ACCUM_OFFSET: 2
; COMPUTE_PGM_RSRC3_GFX90A:TG_SPLIT: 0
	.section	.text._ZN2at6native12_GLOBAL__N_135GammaBetaBackwardCUDAKernelTemplateIffLj64ELj1ELj32ELb1ELb1ELb0EEEvllPKT_S5_PKT0_S8_PS3_S9_,"axG",@progbits,_ZN2at6native12_GLOBAL__N_135GammaBetaBackwardCUDAKernelTemplateIffLj64ELj1ELj32ELb1ELb1ELb0EEEvllPKT_S5_PKT0_S8_PS3_S9_,comdat
	.globl	_ZN2at6native12_GLOBAL__N_135GammaBetaBackwardCUDAKernelTemplateIffLj64ELj1ELj32ELb1ELb1ELb0EEEvllPKT_S5_PKT0_S8_PS3_S9_ ; -- Begin function _ZN2at6native12_GLOBAL__N_135GammaBetaBackwardCUDAKernelTemplateIffLj64ELj1ELj32ELb1ELb1ELb0EEEvllPKT_S5_PKT0_S8_PS3_S9_
	.p2align	8
	.type	_ZN2at6native12_GLOBAL__N_135GammaBetaBackwardCUDAKernelTemplateIffLj64ELj1ELj32ELb1ELb1ELb0EEEvllPKT_S5_PKT0_S8_PS3_S9_,@function
_ZN2at6native12_GLOBAL__N_135GammaBetaBackwardCUDAKernelTemplateIffLj64ELj1ELj32ELb1ELb1ELb0EEEvllPKT_S5_PKT0_S8_PS3_S9_: ; @_ZN2at6native12_GLOBAL__N_135GammaBetaBackwardCUDAKernelTemplateIffLj64ELj1ELj32ELb1ELb1ELb0EEEvllPKT_S5_PKT0_S8_PS3_S9_
; %bb.0:
	s_load_dwordx4 s[16:19], s[0:1], 0x0
	s_lshl_b32 s6, s3, 5
	s_mov_b32 s7, 0
	s_mov_b32 s4, s3
	v_bfe_u32 v1, v0, 10, 10
	s_waitcnt lgkmcnt(0)
	v_mov_b64_e32 v[2:3], s[16:17]
	v_cmp_lt_i64_e32 vcc, s[6:7], v[2:3]
	s_cbranch_vccnz .LBB50_2
; %bb.1:
	s_add_u32 s24, s0, 64
	s_addc_u32 s25, s1, 0
	s_mov_b64 s[8:9], 0
	v_bfe_u32 v2, v0, 10, 10
	s_branch .LBB50_3
.LBB50_2:
	s_mov_b64 s[8:9], -1
                                        ; implicit-def: $sgpr24_sgpr25
                                        ; implicit-def: $vgpr2
.LBB50_3:
	s_load_dwordx4 s[20:23], s[0:1], 0x30
	v_and_b32_e32 v0, 0x3ff, v0
	s_andn2_b64 vcc, exec, s[8:9]
	v_mov_b32_e32 v9, s7
	v_mov_b32_e32 v8, s7
	s_cbranch_vccnz .LBB50_11
; %bb.4:
	s_load_dword s3, s[0:1], 0x4c
	s_load_dword s5, s[0:1], 0x44
	s_load_dwordx8 s[8:15], s[0:1], 0x10
	s_add_u32 s24, s0, 64
	s_addc_u32 s25, s1, 0
	s_waitcnt lgkmcnt(0)
	s_and_b32 s0, s3, 0xffff
	v_mad_u32_u24 v2, v1, s0, v0
	v_lshlrev_b32_e32 v8, 5, v1
	v_mov_b32_e32 v9, 0
	v_mbcnt_lo_u32_b32 v4, -1, 0
	v_and_b32_e32 v2, 63, v2
	v_mov_b32_e32 v3, v9
	v_mbcnt_hi_u32_b32 v4, -1, v4
	s_lshl_b32 s26, s5, 5
	v_lshl_add_u64 v[10:11], v[8:9], 0, s[6:7]
	v_cmp_gt_u32_e64 s[0:1], 32, v2
	v_lshl_add_u32 v6, s2, 6, v0
	v_mov_b32_e32 v7, v9
	v_lshlrev_b32_e32 v4, 2, v4
	v_lshl_add_u64 v[2:3], v[10:11], 0, v[2:3]
	v_mul_lo_u32 v8, s19, v10
	v_mul_lo_u32 v12, s18, v11
	v_mad_u64_u32 v[10:11], s[30:31], s18, v10, 0
	s_mul_i32 s3, s19, s26
	s_mul_hi_u32 s5, s18, s26
	s_mov_b32 s27, 0
	v_and_b32_e32 v14, 0x100, v4
	v_add3_u32 v11, v11, v12, v8
	v_lshlrev_b64 v[6:7], 2, v[6:7]
	s_add_i32 s31, s5, s3
	s_mul_i32 s30, s18, s26
	v_or_b32_e32 v15, 4, v14
	v_or_b32_e32 v16, 8, v14
	v_or_b32_e32 v17, 12, v14
	v_or_b32_e32 v18, 16, v14
	v_or_b32_e32 v19, 20, v14
	v_or_b32_e32 v20, 24, v14
	v_or_b32_e32 v21, 28, v14
	v_or_b32_e32 v22, 32, v14
	v_or_b32_e32 v23, 36, v14
	v_or_b32_e32 v24, 40, v14
	v_or_b32_e32 v25, 44, v14
	v_or_b32_e32 v26, 48, v14
	v_or_b32_e32 v27, 52, v14
	v_or_b32_e32 v28, 56, v14
	v_or_b32_e32 v29, 60, v14
	v_or_b32_e32 v30, 64, v14
	v_or_b32_e32 v31, 0x44, v14
	v_or_b32_e32 v32, 0x48, v14
	v_or_b32_e32 v33, 0x4c, v14
	v_or_b32_e32 v34, 0x50, v14
	v_or_b32_e32 v35, 0x54, v14
	v_or_b32_e32 v36, 0x58, v14
	v_or_b32_e32 v37, 0x5c, v14
	v_or_b32_e32 v38, 0x60, v14
	v_or_b32_e32 v39, 0x64, v14
	v_or_b32_e32 v40, 0x68, v14
	v_or_b32_e32 v41, 0x6c, v14
	v_or_b32_e32 v42, 0x70, v14
	v_or_b32_e32 v43, 0x74, v14
	v_or_b32_e32 v44, 0x78, v14
	v_or_b32_e32 v45, 0x7c, v14
	v_lshlrev_b64 v[4:5], 2, v[2:3]
	s_lshl_b64 s[28:29], s[26:27], 2
	v_lshl_add_u64 v[6:7], v[10:11], 2, v[6:7]
	s_lshl_b64 s[30:31], s[30:31], 2
	s_lshl_b64 s[34:35], s[18:19], 2
	v_mov_b32_e32 v8, v9
	s_branch .LBB50_7
.LBB50_5:                               ;   in Loop: Header=BB50_7 Depth=1
	s_or_b64 exec, exec, s[38:39]
.LBB50_6:                               ;   in Loop: Header=BB50_7 Depth=1
	s_or_b64 exec, exec, s[36:37]
	v_lshl_add_u64 v[10:11], s[10:11], 0, v[6:7]
	v_lshl_add_u64 v[48:49], v[10:11], 0, s[34:35]
	global_load_dword v12, v[10:11], off
	global_load_dword v52, v[48:49], off
	v_lshl_add_u64 v[10:11], s[8:9], 0, v[6:7]
	global_load_dword v13, v[10:11], off
	v_lshl_add_u64 v[50:51], v[10:11], 0, s[34:35]
	;; [unrolled: 2-line block ×3, first 2 shown]
	v_lshl_add_u64 v[50:51], v[50:51], 0, s[34:35]
	global_load_dword v54, v[48:49], off
	global_load_dword v53, v[50:51], off
	v_lshl_add_u64 v[48:49], v[48:49], 0, s[34:35]
	global_load_dword v56, v[48:49], off
	v_lshl_add_u64 v[50:51], v[50:51], 0, s[34:35]
	;; [unrolled: 2-line block ×3, first 2 shown]
	v_lshl_add_u64 v[50:51], v[50:51], 0, s[34:35]
	global_load_dword v65, v[48:49], off
	s_waitcnt vmcnt(10)
	ds_bpermute_b32 v10, v14, v47
	ds_bpermute_b32 v59, v15, v47
	global_load_dword v57, v[50:51], off
	s_waitcnt vmcnt(10)
	ds_bpermute_b32 v58, v14, v46
	ds_bpermute_b32 v60, v15, v46
	v_lshl_add_u64 v[48:49], v[48:49], 0, s[34:35]
	v_lshl_add_u64 v[50:51], v[50:51], 0, s[34:35]
	global_load_dword v66, v[48:49], off
	ds_bpermute_b32 v61, v16, v47
	ds_bpermute_b32 v62, v16, v46
	v_lshl_add_u64 v[48:49], v[48:49], 0, s[34:35]
	ds_bpermute_b32 v63, v17, v47
	ds_bpermute_b32 v64, v17, v46
	;; [unrolled: 1-line block ×4, first 2 shown]
	s_add_u32 s6, s6, s26
	s_addc_u32 s7, s7, 0
	v_lshl_add_u64 v[4:5], v[4:5], 0, s[28:29]
	v_lshl_add_u64 v[2:3], v[2:3], 0, s[26:27]
	;; [unrolled: 1-line block ×3, first 2 shown]
	s_waitcnt vmcnt(10) lgkmcnt(9)
	v_sub_f32_e32 v10, v12, v10
	s_waitcnt vmcnt(9) lgkmcnt(8)
	v_sub_f32_e32 v52, v52, v59
	global_load_dword v59, v[50:51], off
	s_waitcnt vmcnt(9)
	v_mul_f32_e32 v10, v13, v10
	s_waitcnt lgkmcnt(7)
	v_mul_f32_e32 v12, v10, v58
	s_waitcnt vmcnt(8)
	v_mul_f32_e32 v10, v11, v52
	s_waitcnt lgkmcnt(6)
	v_mul_f32_e32 v10, v10, v60
	global_load_dword v60, v[48:49], off
	v_lshl_add_u64 v[50:51], v[50:51], 0, s[34:35]
	v_pk_add_f32 v[8:9], v[8:9], v[12:13]
	global_load_dword v13, v[50:51], off
	v_lshl_add_u64 v[48:49], v[48:49], 0, s[34:35]
	s_waitcnt vmcnt(9) lgkmcnt(5)
	v_sub_f32_e32 v12, v54, v61
	v_lshl_add_u64 v[50:51], v[50:51], 0, s[34:35]
	global_load_dword v67, v[48:49], off
	s_waitcnt vmcnt(9)
	v_mul_f32_e32 v12, v53, v12
	v_lshl_add_u64 v[48:49], v[48:49], 0, s[34:35]
	s_waitcnt lgkmcnt(4)
	v_mul_f32_e32 v52, v12, v62
	global_load_dword v61, v[50:51], off
	v_lshl_add_u64 v[50:51], v[50:51], 0, s[34:35]
	global_load_dword v62, v[48:49], off
	v_lshl_add_u64 v[48:49], v[48:49], 0, s[34:35]
	v_pk_add_f32 v[8:9], v[8:9], v[10:11]
	global_load_dword v11, v[50:51], off
	v_lshl_add_u64 v[50:51], v[50:51], 0, s[34:35]
	global_load_dword v68, v[48:49], off
	s_waitcnt vmcnt(12) lgkmcnt(3)
	v_sub_f32_e32 v10, v56, v63
	global_load_dword v63, v[50:51], off
	s_waitcnt vmcnt(12)
	v_mul_f32_e32 v10, v55, v10
	s_waitcnt lgkmcnt(2)
	v_mul_f32_e32 v54, v10, v64
	ds_bpermute_b32 v10, v18, v47
	ds_bpermute_b32 v12, v18, v46
	v_pk_add_f32 v[8:9], v[8:9], v[52:53]
	ds_bpermute_b32 v52, v19, v47
	ds_bpermute_b32 v53, v20, v46
	s_waitcnt vmcnt(11) lgkmcnt(3)
	v_sub_f32_e32 v10, v65, v10
	s_waitcnt vmcnt(10)
	v_mul_f32_e32 v10, v57, v10
	s_waitcnt lgkmcnt(2)
	v_mul_f32_e32 v56, v10, v12
	ds_bpermute_b32 v10, v19, v46
	ds_bpermute_b32 v12, v20, v47
	s_waitcnt vmcnt(9) lgkmcnt(3)
	v_sub_f32_e32 v52, v66, v52
	ds_bpermute_b32 v64, v23, v47
	ds_bpermute_b32 v65, v23, v46
	v_lshl_add_u64 v[48:49], v[48:49], 0, s[34:35]
	v_lshl_add_u64 v[50:51], v[50:51], 0, s[34:35]
	v_pk_add_f32 v[8:9], v[8:9], v[54:55]
	s_waitcnt vmcnt(8)
	v_mul_f32_e32 v52, v59, v52
	s_waitcnt lgkmcnt(3)
	v_mul_f32_e32 v58, v52, v10
	ds_bpermute_b32 v10, v21, v47
	ds_bpermute_b32 v52, v21, v46
	v_pk_add_f32 v[8:9], v[8:9], v[56:57]
	s_waitcnt vmcnt(7) lgkmcnt(4)
	v_sub_f32_e32 v12, v60, v12
	ds_bpermute_b32 v60, v22, v47
	v_pk_add_f32 v[8:9], v[8:9], v[58:59]
	s_waitcnt vmcnt(6)
	v_mul_f32_e32 v12, v13, v12
	v_mul_f32_e32 v12, v12, v53
	ds_bpermute_b32 v53, v22, v46
	v_pk_add_f32 v[8:9], v[8:9], v[12:13]
	s_waitcnt vmcnt(5) lgkmcnt(3)
	v_sub_f32_e32 v10, v67, v10
	ds_bpermute_b32 v67, v31, v46
	s_waitcnt vmcnt(4)
	v_mul_f32_e32 v10, v61, v10
	s_waitcnt vmcnt(3) lgkmcnt(2)
	v_sub_f32_e32 v62, v62, v60
	v_mul_f32_e32 v60, v10, v52
	v_pk_add_f32 v[8:9], v[8:9], v[60:61]
	s_waitcnt vmcnt(2)
	v_mul_f32_e32 v10, v11, v62
	s_waitcnt lgkmcnt(1)
	v_mul_f32_e32 v10, v10, v53
	s_waitcnt vmcnt(1)
	v_sub_f32_e32 v52, v68, v64
	global_load_dword v53, v[50:51], off
	s_waitcnt vmcnt(1)
	v_mul_f32_e32 v52, v63, v52
	v_mul_f32_e32 v62, v52, v65
	global_load_dword v52, v[48:49], off
	v_lshl_add_u64 v[48:49], v[48:49], 0, s[34:35]
	global_load_dword v64, v[48:49], off
	v_lshl_add_u64 v[50:51], v[50:51], 0, s[34:35]
	;; [unrolled: 2-line block ×10, first 2 shown]
	global_load_dword v59, v[12:13], off
	v_pk_add_f32 v[8:9], v[8:9], v[10:11]
	ds_bpermute_b32 v10, v24, v47
	ds_bpermute_b32 v11, v24, v46
	;; [unrolled: 1-line block ×3, first 2 shown]
	v_pk_add_f32 v[8:9], v[8:9], v[62:63]
	ds_bpermute_b32 v61, v26, v46
	ds_bpermute_b32 v62, v27, v47
	v_lshl_add_u64 v[12:13], v[12:13], 0, s[34:35]
	s_waitcnt vmcnt(10) lgkmcnt(4)
	v_sub_f32_e32 v10, v52, v10
	v_mul_f32_e32 v10, v53, v10
	s_waitcnt lgkmcnt(3)
	v_mul_f32_e32 v52, v10, v11
	s_waitcnt vmcnt(9) lgkmcnt(2)
	v_sub_f32_e32 v10, v64, v50
	ds_bpermute_b32 v11, v25, v46
	ds_bpermute_b32 v50, v26, v47
	s_waitcnt vmcnt(8)
	v_mul_f32_e32 v10, v55, v10
	v_pk_add_f32 v[8:9], v[8:9], v[52:53]
	s_waitcnt lgkmcnt(1)
	v_mul_f32_e32 v54, v10, v11
	s_waitcnt vmcnt(7) lgkmcnt(0)
	v_sub_f32_e32 v10, v56, v50
	s_waitcnt vmcnt(6)
	v_mul_f32_e32 v10, v57, v10
	v_mul_f32_e32 v56, v10, v61
	s_waitcnt vmcnt(5)
	v_sub_f32_e32 v10, v66, v62
	ds_bpermute_b32 v50, v27, v46
	s_waitcnt vmcnt(4)
	v_mul_f32_e32 v61, v65, v10
	v_lshl_add_u64 v[10:11], v[48:49], 0, s[34:35]
	global_load_dword v48, v[10:11], off
	ds_bpermute_b32 v62, v28, v47
	s_waitcnt lgkmcnt(1)
	v_mul_f32_e32 v64, v61, v50
	ds_bpermute_b32 v50, v28, v46
	global_load_dword v49, v[12:13], off
	v_lshl_add_u64 v[10:11], v[10:11], 0, s[34:35]
	s_waitcnt vmcnt(5) lgkmcnt(1)
	v_sub_f32_e32 v58, v58, v62
	s_waitcnt vmcnt(4)
	v_mul_f32_e32 v58, v51, v58
	s_waitcnt lgkmcnt(0)
	v_mul_f32_e32 v50, v58, v50
	ds_bpermute_b32 v58, v29, v47
	ds_bpermute_b32 v62, v29, v46
	global_load_dword v66, v[10:11], off
	v_lshl_add_u64 v[12:13], v[12:13], 0, s[34:35]
	global_load_dword v61, v[12:13], off
	s_waitcnt vmcnt(5) lgkmcnt(1)
	v_sub_f32_e32 v58, v60, v58
	s_waitcnt vmcnt(4)
	v_mul_f32_e32 v58, v59, v58
	v_lshl_add_u64 v[10:11], v[10:11], 0, s[34:35]
	s_waitcnt lgkmcnt(0)
	v_mul_f32_e32 v58, v58, v62
	global_load_dword v62, v[10:11], off
	v_lshl_add_u64 v[12:13], v[12:13], 0, s[34:35]
	global_load_dword v63, v[12:13], off
	ds_bpermute_b32 v60, v30, v47
	v_lshl_add_u64 v[10:11], v[10:11], 0, s[34:35]
	global_load_dword v68, v[10:11], off
	v_lshl_add_u64 v[12:13], v[12:13], 0, s[34:35]
	v_lshl_add_u64 v[10:11], v[10:11], 0, s[34:35]
	v_pk_add_f32 v[8:9], v[8:9], v[54:55]
	s_waitcnt vmcnt(6) lgkmcnt(0)
	v_sub_f32_e32 v48, v48, v60
	ds_bpermute_b32 v60, v30, v46
	v_pk_add_f32 v[8:9], v[8:9], v[56:57]
	ds_bpermute_b32 v57, v36, v47
	s_waitcnt vmcnt(5)
	v_mul_f32_e32 v48, v49, v48
	v_pk_add_f32 v[8:9], v[8:9], v[64:65]
	s_waitcnt lgkmcnt(1)
	v_mul_f32_e32 v48, v48, v60
	ds_bpermute_b32 v60, v31, v47
	v_pk_add_f32 v[8:9], v[8:9], v[50:51]
	ds_bpermute_b32 v65, v39, v46
	v_pk_add_f32 v[8:9], v[8:9], v[58:59]
	s_waitcnt vmcnt(4) lgkmcnt(1)
	v_sub_f32_e32 v60, v66, v60
	ds_bpermute_b32 v66, v32, v47
	s_waitcnt vmcnt(3)
	v_mul_f32_e32 v60, v61, v60
	v_mul_f32_e32 v60, v60, v67
	ds_bpermute_b32 v67, v32, v46
	v_pk_add_f32 v[8:9], v[8:9], v[48:49]
	s_waitcnt vmcnt(2) lgkmcnt(1)
	v_sub_f32_e32 v62, v62, v66
	ds_bpermute_b32 v66, v33, v47
	s_waitcnt vmcnt(1)
	v_mul_f32_e32 v62, v63, v62
	s_waitcnt lgkmcnt(1)
	v_mul_f32_e32 v62, v62, v67
	global_load_dword v67, v[12:13], off
	v_lshl_add_u64 v[12:13], v[12:13], 0, s[34:35]
	s_waitcnt vmcnt(1) lgkmcnt(0)
	v_sub_f32_e32 v66, v68, v66
	ds_bpermute_b32 v68, v33, v46
	ds_bpermute_b32 v48, v35, v47
	v_pk_add_f32 v[8:9], v[8:9], v[60:61]
	s_waitcnt vmcnt(0)
	v_mul_f32_e32 v66, v67, v66
	s_waitcnt lgkmcnt(1)
	v_mul_f32_e32 v66, v66, v68
	global_load_dword v68, v[10:11], off
	v_lshl_add_u64 v[10:11], v[10:11], 0, s[34:35]
	global_load_dword v52, v[10:11], off
	v_lshl_add_u64 v[10:11], v[10:11], 0, s[34:35]
	;; [unrolled: 2-line block ×7, first 2 shown]
	v_pk_add_f32 v[8:9], v[8:9], v[62:63]
	global_load_dword v62, v[10:11], off
	ds_bpermute_b32 v63, v37, v46
	v_lshl_add_u64 v[10:11], v[10:11], 0, s[34:35]
	global_load_dword v64, v[10:11], off
	v_pk_add_f32 v[8:9], v[8:9], v[66:67]
	ds_bpermute_b32 v66, v41, v47
	v_lshl_add_u64 v[10:11], v[10:11], 0, s[34:35]
	ds_bpermute_b32 v67, v42, v46
	s_waitcnt vmcnt(8)
	v_sub_f32_e32 v68, v68, v69
	global_load_dword v69, v[12:13], off
	v_lshl_add_u64 v[12:13], v[12:13], 0, s[34:35]
	global_load_dword v53, v[12:13], off
	v_lshl_add_u64 v[12:13], v[12:13], 0, s[34:35]
	;; [unrolled: 2-line block ×4, first 2 shown]
	global_load_dword v49, v[12:13], off
	s_waitcnt vmcnt(12) lgkmcnt(3)
	v_sub_f32_e32 v48, v52, v48
	ds_bpermute_b32 v52, v35, v46
	v_lshl_add_u64 v[12:13], v[12:13], 0, s[34:35]
	s_waitcnt vmcnt(6) lgkmcnt(2)
	v_sub_f32_e32 v62, v62, v66
	global_load_dword v66, v[10:11], off
	v_lshl_add_u64 v[10:11], v[10:11], 0, s[34:35]
	s_waitcnt vmcnt(5)
	v_mul_f32_e32 v68, v69, v68
	v_mul_f32_e32 v68, v68, v70
	s_waitcnt vmcnt(4)
	v_mul_f32_e32 v48, v53, v48
	s_waitcnt lgkmcnt(0)
	v_mul_f32_e32 v52, v48, v52
	v_sub_f32_e32 v48, v54, v57
	ds_bpermute_b32 v54, v36, v46
	global_load_dword v57, v[12:13], off
	v_lshl_add_u64 v[12:13], v[12:13], 0, s[34:35]
	s_waitcnt vmcnt(4)
	v_mul_f32_e32 v48, v55, v48
	global_load_dword v59, v[12:13], off
	v_lshl_add_u64 v[12:13], v[12:13], 0, s[34:35]
	s_waitcnt lgkmcnt(0)
	v_mul_f32_e32 v54, v48, v54
	ds_bpermute_b32 v48, v37, v47
	global_load_dword v61, v[12:13], off
	v_lshl_add_u64 v[12:13], v[12:13], 0, s[34:35]
	v_pk_add_f32 v[8:9], v[8:9], v[68:69]
	global_load_dword v68, v[10:11], off
	s_waitcnt lgkmcnt(0)
	v_sub_f32_e32 v48, v50, v48
	s_waitcnt vmcnt(6)
	v_mul_f32_e32 v48, v51, v48
	v_mul_f32_e32 v50, v48, v63
	global_load_dword v63, v[12:13], off
	ds_bpermute_b32 v48, v38, v47
	v_lshl_add_u64 v[12:13], v[12:13], 0, s[34:35]
	v_lshl_add_u64 v[10:11], v[10:11], 0, s[34:35]
	global_load_dword v69, v[10:11], off
	v_pk_add_f32 v[8:9], v[8:9], v[52:53]
	s_waitcnt lgkmcnt(0)
	v_sub_f32_e32 v48, v56, v48
	ds_bpermute_b32 v56, v38, v46
	s_waitcnt vmcnt(7)
	v_mul_f32_e32 v48, v49, v48
	v_pk_add_f32 v[8:9], v[8:9], v[54:55]
	s_waitcnt lgkmcnt(0)
	v_mul_f32_e32 v48, v48, v56
	ds_bpermute_b32 v56, v39, v47
	v_pk_add_f32 v[8:9], v[8:9], v[50:51]
	s_waitcnt lgkmcnt(0)
	v_sub_f32_e32 v56, v58, v56
	ds_bpermute_b32 v58, v40, v47
	v_pk_add_f32 v[8:9], v[8:9], v[48:49]
	s_waitcnt lgkmcnt(0)
	v_sub_f32_e32 v58, v60, v58
	ds_bpermute_b32 v60, v41, v46
	s_waitcnt vmcnt(5)
	v_mul_f32_e32 v56, v57, v56
	v_mul_f32_e32 v56, v56, v65
	ds_bpermute_b32 v65, v40, v46
	s_waitcnt vmcnt(4)
	v_mul_f32_e32 v58, v59, v58
	v_pk_add_f32 v[8:9], v[8:9], v[56:57]
	s_waitcnt vmcnt(3)
	v_mul_f32_e32 v62, v61, v62
	s_waitcnt lgkmcnt(0)
	v_mul_f32_e32 v58, v58, v65
	v_mul_f32_e32 v60, v62, v60
	ds_bpermute_b32 v62, v42, v47
	global_load_dword v65, v[12:13], off
	v_lshl_add_u64 v[12:13], v[12:13], 0, s[34:35]
	v_lshl_add_u64 v[10:11], v[12:13], 0, s[34:35]
	global_load_dword v11, v[10:11], off
	s_waitcnt lgkmcnt(0)
	v_sub_f32_e32 v62, v64, v62
	s_waitcnt vmcnt(3)
	v_mul_f32_e32 v62, v63, v62
	v_mul_f32_e32 v62, v62, v67
	global_load_dword v67, v[12:13], off
	ds_bpermute_b32 v10, v43, v47
	ds_bpermute_b32 v12, v43, v46
	v_pk_add_f32 v[8:9], v[8:9], v[58:59]
	s_waitcnt lgkmcnt(1)
	v_sub_f32_e32 v10, v66, v10
	v_pk_add_f32 v[8:9], v[8:9], v[60:61]
	s_waitcnt vmcnt(2)
	v_mul_f32_e32 v10, v65, v10
	s_waitcnt lgkmcnt(0)
	v_mul_f32_e32 v64, v10, v12
	ds_bpermute_b32 v10, v44, v47
	ds_bpermute_b32 v12, v44, v46
	v_pk_add_f32 v[8:9], v[8:9], v[62:63]
	s_waitcnt lgkmcnt(1)
	v_sub_f32_e32 v10, v68, v10
	s_waitcnt vmcnt(0)
	v_mul_f32_e32 v10, v67, v10
	s_waitcnt lgkmcnt(0)
	v_mul_f32_e32 v66, v10, v12
	ds_bpermute_b32 v10, v45, v47
	ds_bpermute_b32 v12, v45, v46
	v_pk_add_f32 v[8:9], v[8:9], v[64:65]
	s_waitcnt lgkmcnt(1)
	v_sub_f32_e32 v10, v69, v10
	v_mul_f32_e32 v10, v11, v10
	v_pk_add_f32 v[8:9], v[8:9], v[66:67]
	s_waitcnt lgkmcnt(0)
	v_mul_f32_e32 v10, v10, v12
	v_pk_add_f32 v[8:9], v[8:9], v[10:11]
	v_mov_b64_e32 v[10:11], s[16:17]
	v_cmp_lt_i64_e32 vcc, s[6:7], v[10:11]
	s_cbranch_vccz .LBB50_10
.LBB50_7:                               ; =>This Inner Loop Header: Depth=1
	v_mov_b32_e32 v46, 0
	v_mov_b32_e32 v47, 0
	s_and_saveexec_b64 s[36:37], s[0:1]
	s_cbranch_execz .LBB50_6
; %bb.8:                                ;   in Loop: Header=BB50_7 Depth=1
	v_cmp_gt_i64_e32 vcc, s[16:17], v[2:3]
	v_mov_b32_e32 v47, 0
	v_mov_b32_e32 v46, 0
	s_and_saveexec_b64 s[38:39], vcc
	s_cbranch_execz .LBB50_5
; %bb.9:                                ;   in Loop: Header=BB50_7 Depth=1
	v_lshl_add_u64 v[12:13], s[12:13], 0, v[4:5]
	v_lshl_add_u64 v[10:11], s[14:15], 0, v[4:5]
	global_load_dword v47, v[12:13], off
	global_load_dword v46, v[10:11], off
	s_branch .LBB50_5
.LBB50_10:
	v_mov_b32_e32 v2, v1
.LBB50_11:
	s_load_dword s5, s[24:25], 0xc
	s_mov_b32 s3, 0
	v_mov_b32_e32 v1, 0
	s_lshl_b64 s[0:1], s[2:3], 6
	v_lshl_add_u64 v[4:5], s[0:1], 0, v[0:1]
	s_waitcnt lgkmcnt(0)
	s_lshr_b32 s0, s5, 16
	v_mov_b32_e32 v3, v1
	v_mov_b32_e32 v0, s4
	v_mad_u64_u32 v[0:1], s[0:1], s0, v0, v[2:3]
	s_cmp_eq_u64 s[20:21], 0
	v_mul_lo_u32 v1, v1, s18
	v_mul_lo_u32 v2, v0, s19
	s_cbranch_scc1 .LBB50_13
; %bb.12:
	v_mad_u64_u32 v[6:7], s[0:1], v0, s18, 0
	v_add3_u32 v7, v7, v2, v1
	v_lshl_add_u64 v[6:7], v[6:7], 2, s[20:21]
	v_lshl_add_u64 v[6:7], v[4:5], 2, v[6:7]
	global_store_dword v[6:7], v8, off
.LBB50_13:
	s_cmp_eq_u64 s[22:23], 0
	s_cbranch_scc1 .LBB50_15
; %bb.14:
	v_mad_u64_u32 v[6:7], s[0:1], v0, s18, 0
	v_add3_u32 v7, v7, v2, v1
	v_lshl_add_u64 v[0:1], v[6:7], 2, s[22:23]
	v_lshl_add_u64 v[0:1], v[4:5], 2, v[0:1]
	global_store_dword v[0:1], v9, off
.LBB50_15:
	s_endpgm
	.section	.rodata,"a",@progbits
	.p2align	6, 0x0
	.amdhsa_kernel _ZN2at6native12_GLOBAL__N_135GammaBetaBackwardCUDAKernelTemplateIffLj64ELj1ELj32ELb1ELb1ELb0EEEvllPKT_S5_PKT0_S8_PS3_S9_
		.amdhsa_group_segment_fixed_size 0
		.amdhsa_private_segment_fixed_size 0
		.amdhsa_kernarg_size 320
		.amdhsa_user_sgpr_count 2
		.amdhsa_user_sgpr_dispatch_ptr 0
		.amdhsa_user_sgpr_queue_ptr 0
		.amdhsa_user_sgpr_kernarg_segment_ptr 1
		.amdhsa_user_sgpr_dispatch_id 0
		.amdhsa_user_sgpr_kernarg_preload_length 0
		.amdhsa_user_sgpr_kernarg_preload_offset 0
		.amdhsa_user_sgpr_private_segment_size 0
		.amdhsa_uses_dynamic_stack 0
		.amdhsa_enable_private_segment 0
		.amdhsa_system_sgpr_workgroup_id_x 1
		.amdhsa_system_sgpr_workgroup_id_y 1
		.amdhsa_system_sgpr_workgroup_id_z 0
		.amdhsa_system_sgpr_workgroup_info 0
		.amdhsa_system_vgpr_workitem_id 1
		.amdhsa_next_free_vgpr 71
		.amdhsa_next_free_sgpr 40
		.amdhsa_accum_offset 72
		.amdhsa_reserve_vcc 1
		.amdhsa_float_round_mode_32 0
		.amdhsa_float_round_mode_16_64 0
		.amdhsa_float_denorm_mode_32 3
		.amdhsa_float_denorm_mode_16_64 3
		.amdhsa_dx10_clamp 1
		.amdhsa_ieee_mode 1
		.amdhsa_fp16_overflow 0
		.amdhsa_tg_split 0
		.amdhsa_exception_fp_ieee_invalid_op 0
		.amdhsa_exception_fp_denorm_src 0
		.amdhsa_exception_fp_ieee_div_zero 0
		.amdhsa_exception_fp_ieee_overflow 0
		.amdhsa_exception_fp_ieee_underflow 0
		.amdhsa_exception_fp_ieee_inexact 0
		.amdhsa_exception_int_div_zero 0
	.end_amdhsa_kernel
	.section	.text._ZN2at6native12_GLOBAL__N_135GammaBetaBackwardCUDAKernelTemplateIffLj64ELj1ELj32ELb1ELb1ELb0EEEvllPKT_S5_PKT0_S8_PS3_S9_,"axG",@progbits,_ZN2at6native12_GLOBAL__N_135GammaBetaBackwardCUDAKernelTemplateIffLj64ELj1ELj32ELb1ELb1ELb0EEEvllPKT_S5_PKT0_S8_PS3_S9_,comdat
.Lfunc_end50:
	.size	_ZN2at6native12_GLOBAL__N_135GammaBetaBackwardCUDAKernelTemplateIffLj64ELj1ELj32ELb1ELb1ELb0EEEvllPKT_S5_PKT0_S8_PS3_S9_, .Lfunc_end50-_ZN2at6native12_GLOBAL__N_135GammaBetaBackwardCUDAKernelTemplateIffLj64ELj1ELj32ELb1ELb1ELb0EEEvllPKT_S5_PKT0_S8_PS3_S9_
                                        ; -- End function
	.section	.AMDGPU.csdata,"",@progbits
; Kernel info:
; codeLenInByte = 3332
; NumSgprs: 46
; NumVgprs: 71
; NumAgprs: 0
; TotalNumVgprs: 71
; ScratchSize: 0
; MemoryBound: 0
; FloatMode: 240
; IeeeMode: 1
; LDSByteSize: 0 bytes/workgroup (compile time only)
; SGPRBlocks: 5
; VGPRBlocks: 8
; NumSGPRsForWavesPerEU: 46
; NumVGPRsForWavesPerEU: 71
; AccumOffset: 72
; Occupancy: 7
; WaveLimiterHint : 0
; COMPUTE_PGM_RSRC2:SCRATCH_EN: 0
; COMPUTE_PGM_RSRC2:USER_SGPR: 2
; COMPUTE_PGM_RSRC2:TRAP_HANDLER: 0
; COMPUTE_PGM_RSRC2:TGID_X_EN: 1
; COMPUTE_PGM_RSRC2:TGID_Y_EN: 1
; COMPUTE_PGM_RSRC2:TGID_Z_EN: 0
; COMPUTE_PGM_RSRC2:TIDIG_COMP_CNT: 1
; COMPUTE_PGM_RSRC3_GFX90A:ACCUM_OFFSET: 17
; COMPUTE_PGM_RSRC3_GFX90A:TG_SPLIT: 0
	.section	.text._ZN2at6native12_GLOBAL__N_135GammaBetaBackwardCUDAKernelTemplateIffLj64ELj1ELj32ELb1ELb0ELb0EEEvllPKT_S5_PKT0_S8_PS3_S9_,"axG",@progbits,_ZN2at6native12_GLOBAL__N_135GammaBetaBackwardCUDAKernelTemplateIffLj64ELj1ELj32ELb1ELb0ELb0EEEvllPKT_S5_PKT0_S8_PS3_S9_,comdat
	.globl	_ZN2at6native12_GLOBAL__N_135GammaBetaBackwardCUDAKernelTemplateIffLj64ELj1ELj32ELb1ELb0ELb0EEEvllPKT_S5_PKT0_S8_PS3_S9_ ; -- Begin function _ZN2at6native12_GLOBAL__N_135GammaBetaBackwardCUDAKernelTemplateIffLj64ELj1ELj32ELb1ELb0ELb0EEEvllPKT_S5_PKT0_S8_PS3_S9_
	.p2align	8
	.type	_ZN2at6native12_GLOBAL__N_135GammaBetaBackwardCUDAKernelTemplateIffLj64ELj1ELj32ELb1ELb0ELb0EEEvllPKT_S5_PKT0_S8_PS3_S9_,@function
_ZN2at6native12_GLOBAL__N_135GammaBetaBackwardCUDAKernelTemplateIffLj64ELj1ELj32ELb1ELb0ELb0EEEvllPKT_S5_PKT0_S8_PS3_S9_: ; @_ZN2at6native12_GLOBAL__N_135GammaBetaBackwardCUDAKernelTemplateIffLj64ELj1ELj32ELb1ELb0ELb0EEEvllPKT_S5_PKT0_S8_PS3_S9_
; %bb.0:
	s_load_dwordx8 s[12:19], s[0:1], 0x0
	s_load_dwordx4 s[20:23], s[0:1], 0x20
	s_mov_b32 s8, s3
	s_lshl_b32 s3, s2, 6
	s_or_b32 s10, s3, 63
	s_mov_b32 s11, 0
	s_waitcnt lgkmcnt(0)
	v_mov_b64_e32 v[2:3], s[14:15]
	v_cmp_ge_i64_e32 vcc, s[10:11], v[2:3]
	s_lshl_b32 s10, s8, 5
	v_mov_b64_e32 v[2:3], s[12:13]
	v_cmp_lt_i64_e64 s[4:5], s[10:11], v[2:3]
	s_nop 1
	v_cndmask_b32_e64 v1, 0, 1, s[4:5]
	v_cmp_ne_u32_e64 s[4:5], 1, v1
	s_cbranch_vccz .LBB51_144
; %bb.1:
	v_mov_b32_e32 v3, 0
	s_and_b64 vcc, exec, s[4:5]
	v_mov_b32_e32 v2, v3
	s_cbranch_vccnz .LBB51_146
; %bb.2:
	v_mov_b32_e32 v215, 0
	v_bfe_u32 v203, v0, 10, 10
	v_lshlrev_b32_e32 v4, 5, v203
	v_mov_b32_e32 v5, v215
	v_lshl_add_u64 v[2:3], v[4:5], 0, s[10:11]
	v_lshl_add_u64 v[8:9], v[2:3], 0, 31
	v_and_b32_e32 v202, 0x3ff, v0
	v_mov_b32_e32 v212, v0
	v_mul_lo_u32 v0, s15, v8
	v_mul_lo_u32 v10, s14, v9
	v_mad_u64_u32 v[8:9], s[30:31], s14, v8, 0
	v_lshl_add_u64 v[12:13], v[2:3], 0, 30
	v_add3_u32 v9, v9, v10, v0
	v_mul_lo_u32 v0, s15, v12
	v_mul_lo_u32 v14, s14, v13
	v_mad_u64_u32 v[12:13], s[34:35], s14, v12, 0
	v_lshl_add_u64 v[16:17], v[2:3], 0, 29
	v_add3_u32 v13, v13, v14, v0
	;; [unrolled: 5-line block ×25, first 2 shown]
	v_mul_lo_u32 v0, s15, v108
	v_mul_lo_u32 v110, s14, v109
	v_mad_u64_u32 v[108:109], s[34:35], s14, v108, 0
	v_lshl_add_u64 v[112:113], v[2:3], 0, 5
	s_load_dword s9, s[0:1], 0x44
	v_add3_u32 v109, v109, v110, v0
	v_mul_lo_u32 v0, s15, v112
	v_mul_lo_u32 v114, s14, v113
	v_mad_u64_u32 v[112:113], s[34:35], s14, v112, 0
	v_lshl_add_u64 v[116:117], v[2:3], 0, 4
	v_add3_u32 v113, v113, v114, v0
	v_mul_lo_u32 v0, s15, v116
	v_mul_lo_u32 v118, s14, v117
	v_mad_u64_u32 v[116:117], s[34:35], s14, v116, 0
	v_lshl_add_u64 v[120:121], v[2:3], 0, 3
	;; [unrolled: 5-line block ×3, first 2 shown]
	v_add3_u32 v121, v121, v122, v0
	v_mul_lo_u32 v0, s15, v124
	v_mul_lo_u32 v126, s14, v125
	v_mad_u64_u32 v[124:125], s[34:35], s14, v124, 0
	v_mov_b64_e32 v[128:129], s[14:15]
	s_add_u32 s24, s0, 64
	v_add3_u32 v125, v125, v126, v0
	v_mad_u64_u32 v[128:129], s[34:35], s14, v2, v[128:129]
	v_mul_lo_u32 v0, s14, v3
	v_mul_lo_u32 v132, s15, v2
	v_mad_u64_u32 v[2:3], s[34:35], s14, v2, 0
	s_addc_u32 s25, s1, 0
	s_waitcnt lgkmcnt(0)
	s_lshl_b32 s26, s9, 5
	v_add3_u32 v129, v132, v129, v0
	v_add3_u32 v3, v3, v0, v132
	v_mbcnt_lo_u32_b32 v0, -1, 0
	s_mul_i32 s9, s15, s26
	s_mul_hi_u32 s30, s14, s26
	v_mbcnt_hi_u32_b32 v0, -1, v0
	v_add_u32_e32 v214, s3, v202
	v_lshlrev_b64 v[10:11], 2, v[8:9]
	s_add_i32 s31, s30, s9
	s_mul_i32 s30, s14, s26
	v_lshlrev_b64 v[14:15], 2, v[12:13]
	v_lshlrev_b64 v[18:19], 2, v[16:17]
	;; [unrolled: 1-line block ×31, first 2 shown]
	v_lshlrev_b32_e32 v0, 2, v0
	v_cmp_gt_i64_e64 s[6:7], s[14:15], v[214:215]
	s_mov_b32 s27, s11
	v_lshlrev_b64 v[6:7], 2, v[214:215]
	s_mov_b64 s[28:29], 31
	v_lshl_add_u64 v[8:9], s[16:17], 0, v[10:11]
	s_lshl_b64 s[30:31], s[30:31], 2
	v_lshl_add_u64 v[10:11], s[18:19], 0, v[10:11]
	v_lshl_add_u64 v[12:13], s[16:17], 0, v[14:15]
	;; [unrolled: 1-line block ×63, first 2 shown]
	v_and_b32_e32 v204, 0x100, v0
	v_mov_b32_e32 v2, v215
	v_mov_b32_e32 v3, v215
	s_mov_b64 s[34:35], s[10:11]
	s_branch .LBB51_5
.LBB51_3:                               ;   in Loop: Header=BB51_5 Depth=1
	s_or_b64 exec, exec, s[36:37]
	s_waitcnt vmcnt(1)
	ds_bpermute_b32 v138, v204, v196
	s_waitcnt vmcnt(0)
	ds_bpermute_b32 v154, v204, v140
	ds_bpermute_b32 v166, v204, v196 offset:4
	ds_bpermute_b32 v162, v204, v140 offset:4
	;; [unrolled: 1-line block ×3, first 2 shown]
	s_waitcnt lgkmcnt(4)
	v_sub_f32_e32 v136, v136, v138
	v_mul_f32_e32 v136, v139, v136
	s_waitcnt lgkmcnt(3)
	v_mul_f32_e32 v138, v136, v154
	ds_bpermute_b32 v154, v204, v140 offset:8
	s_waitcnt lgkmcnt(3)
	v_sub_f32_e32 v136, v142, v166
	v_mul_f32_e32 v136, v143, v136
	s_waitcnt lgkmcnt(2)
	v_mul_f32_e32 v142, v136, v162
	s_waitcnt lgkmcnt(1)
	v_sub_f32_e32 v136, v144, v208
	ds_bpermute_b32 v144, v204, v196 offset:12
	v_mul_f32_e32 v136, v137, v136
	s_waitcnt lgkmcnt(1)
	v_mul_f32_e32 v136, v136, v154
	ds_bpermute_b32 v154, v204, v140 offset:12
	ds_bpermute_b32 v162, v204, v196 offset:16
	s_waitcnt lgkmcnt(2)
	v_sub_f32_e32 v144, v146, v144
	v_mul_f32_e32 v144, v147, v144
	ds_bpermute_b32 v166, v204, v140 offset:16
	s_waitcnt lgkmcnt(2)
	v_mul_f32_e32 v146, v144, v154
	s_waitcnt lgkmcnt(1)
	v_sub_f32_e32 v144, v148, v162
	ds_bpermute_b32 v148, v204, v196 offset:20
	ds_bpermute_b32 v154, v204, v140 offset:20
	;; [unrolled: 1-line block ×3, first 2 shown]
	v_mul_f32_e32 v144, v145, v144
	s_waitcnt lgkmcnt(3)
	v_mul_f32_e32 v144, v144, v166
	s_waitcnt lgkmcnt(2)
	v_sub_f32_e32 v148, v150, v148
	ds_bpermute_b32 v150, v204, v140 offset:24
	v_mul_f32_e32 v148, v155, v148
	s_waitcnt lgkmcnt(2)
	v_mul_f32_e32 v154, v148, v154
	s_waitcnt lgkmcnt(1)
	v_sub_f32_e32 v148, v152, v162
	ds_bpermute_b32 v152, v204, v196 offset:28
	v_mul_f32_e32 v148, v151, v148
	s_waitcnt lgkmcnt(1)
	v_mul_f32_e32 v150, v148, v150
	ds_bpermute_b32 v148, v204, v140 offset:28
	ds_bpermute_b32 v166, v204, v196 offset:32
	s_waitcnt lgkmcnt(2)
	v_sub_f32_e32 v152, v156, v152
	ds_bpermute_b32 v156, v204, v140 offset:32
	v_pk_add_f32 v[2:3], v[2:3], v[138:139]
	v_mul_f32_e32 v152, v163, v152
	v_pk_add_f32 v[2:3], v[2:3], v[142:143]
	s_waitcnt lgkmcnt(2)
	v_mul_f32_e32 v162, v152, v148
	s_waitcnt lgkmcnt(1)
	v_sub_f32_e32 v148, v160, v166
	ds_bpermute_b32 v152, v204, v196 offset:36
	v_pk_add_f32 v[2:3], v[2:3], v[136:137]
	ds_bpermute_b32 v136, v204, v196 offset:44
	v_mul_f32_e32 v148, v157, v148
	s_waitcnt lgkmcnt(2)
	v_mul_f32_e32 v156, v148, v156
	ds_bpermute_b32 v148, v204, v140 offset:36
	ds_bpermute_b32 v137, v204, v140 offset:44
	;; [unrolled: 1-line block ×3, first 2 shown]
	s_waitcnt lgkmcnt(4)
	v_sub_f32_e32 v152, v164, v152
	s_waitcnt lgkmcnt(3)
	v_sub_f32_e32 v136, v158, v136
	ds_bpermute_b32 v138, v204, v196 offset:48
	v_mul_f32_e32 v152, v167, v152
	v_mul_f32_e32 v136, v153, v136
	ds_bpermute_b32 v164, v204, v140 offset:40
	s_waitcnt lgkmcnt(4)
	v_mul_f32_e32 v166, v152, v148
	s_waitcnt lgkmcnt(3)
	v_mul_f32_e32 v152, v136, v137
	ds_bpermute_b32 v136, v204, v140 offset:48
	ds_bpermute_b32 v137, v204, v196 offset:52
	;; [unrolled: 1-line block ×3, first 2 shown]
	s_waitcnt lgkmcnt(5)
	v_sub_f32_e32 v148, v172, v160
	s_waitcnt lgkmcnt(4)
	v_sub_f32_e32 v138, v168, v138
	v_mul_f32_e32 v148, v165, v148
	v_mul_f32_e32 v138, v149, v138
	s_waitcnt lgkmcnt(3)
	v_mul_f32_e32 v164, v148, v164
	s_waitcnt lgkmcnt(2)
	v_mul_f32_e32 v148, v138, v136
	s_waitcnt lgkmcnt(1)
	v_sub_f32_e32 v136, v170, v137
	ds_bpermute_b32 v137, v204, v196 offset:56
	v_mul_f32_e32 v136, v161, v136
	s_waitcnt lgkmcnt(1)
	v_mul_f32_e32 v160, v136, v139
	ds_bpermute_b32 v136, v204, v140 offset:56
	ds_bpermute_b32 v138, v204, v196 offset:60
	ds_bpermute_b32 v139, v204, v140 offset:60
	s_waitcnt lgkmcnt(3)
	v_sub_f32_e32 v137, v174, v137
	v_mul_f32_e32 v137, v159, v137
	s_waitcnt lgkmcnt(2)
	v_mul_f32_e32 v158, v137, v136
	s_waitcnt lgkmcnt(1)
	v_sub_f32_e32 v136, v176, v138
	ds_bpermute_b32 v137, v204, v196 offset:64
	v_mul_f32_e32 v136, v171, v136
	s_waitcnt lgkmcnt(1)
	v_mul_f32_e32 v170, v136, v139
	ds_bpermute_b32 v136, v204, v140 offset:64
	ds_bpermute_b32 v138, v204, v196 offset:68
	ds_bpermute_b32 v139, v204, v140 offset:68
	s_waitcnt lgkmcnt(3)
	v_sub_f32_e32 v137, v178, v137
	v_mul_f32_e32 v137, v169, v137
	s_waitcnt lgkmcnt(2)
	v_mul_f32_e32 v168, v137, v136
	s_waitcnt lgkmcnt(1)
	;; [unrolled: 14-line block ×4, first 2 shown]
	v_sub_f32_e32 v136, v190, v138
	v_mul_f32_e32 v136, v191, v136
	s_waitcnt lgkmcnt(0)
	v_mul_f32_e32 v190, v136, v139
	ds_bpermute_b32 v136, v204, v196 offset:88
	ds_bpermute_b32 v137, v204, v140 offset:88
	;; [unrolled: 1-line block ×4, first 2 shown]
	v_pk_add_f32 v[2:3], v[2:3], v[146:147]
	s_waitcnt lgkmcnt(3)
	v_sub_f32_e32 v136, v186, v136
	v_mul_f32_e32 v136, v173, v136
	s_waitcnt lgkmcnt(2)
	v_mul_f32_e32 v172, v136, v137
	s_waitcnt lgkmcnt(1)
	v_sub_f32_e32 v136, v192, v138
	ds_bpermute_b32 v137, v204, v196 offset:96
	v_mul_f32_e32 v136, v183, v136
	s_waitcnt lgkmcnt(1)
	v_mul_f32_e32 v182, v136, v139
	ds_bpermute_b32 v136, v204, v140 offset:96
	ds_bpermute_b32 v138, v204, v196 offset:100
	;; [unrolled: 1-line block ×3, first 2 shown]
	v_pk_add_f32 v[2:3], v[2:3], v[144:145]
	s_waitcnt lgkmcnt(3)
	v_sub_f32_e32 v137, v194, v137
	v_pk_add_f32 v[2:3], v[2:3], v[154:155]
	v_mul_f32_e32 v137, v179, v137
	v_pk_add_f32 v[2:3], v[2:3], v[150:151]
	s_waitcnt lgkmcnt(2)
	v_mul_f32_e32 v178, v137, v136
	s_waitcnt lgkmcnt(1)
	v_sub_f32_e32 v136, v198, v138
	ds_bpermute_b32 v137, v204, v196 offset:104
	v_pk_add_f32 v[2:3], v[2:3], v[162:163]
	v_mul_f32_e32 v136, v189, v136
	v_pk_add_f32 v[2:3], v[2:3], v[156:157]
	s_waitcnt lgkmcnt(1)
	v_mul_f32_e32 v188, v136, v139
	ds_bpermute_b32 v136, v204, v140 offset:104
	ds_bpermute_b32 v138, v204, v196 offset:108
	v_pk_add_f32 v[2:3], v[2:3], v[166:167]
	ds_bpermute_b32 v139, v204, v140 offset:108
	v_pk_add_f32 v[2:3], v[2:3], v[164:165]
	s_waitcnt lgkmcnt(3)
	v_sub_f32_e32 v137, v200, v137
	v_pk_add_f32 v[2:3], v[2:3], v[152:153]
	v_mul_f32_e32 v137, v187, v137
	v_pk_add_f32 v[2:3], v[2:3], v[148:149]
	s_waitcnt lgkmcnt(2)
	v_mul_f32_e32 v186, v137, v136
	v_pk_add_f32 v[2:3], v[2:3], v[160:161]
	s_waitcnt lgkmcnt(1)
	v_sub_f32_e32 v136, v205, v138
	ds_bpermute_b32 v137, v204, v196 offset:112
	v_pk_add_f32 v[2:3], v[2:3], v[158:159]
	v_mul_f32_e32 v136, v195, v136
	v_pk_add_f32 v[2:3], v[2:3], v[170:171]
	s_waitcnt lgkmcnt(1)
	v_mul_f32_e32 v194, v136, v139
	ds_bpermute_b32 v136, v204, v140 offset:112
	ds_bpermute_b32 v138, v204, v196 offset:116
	v_pk_add_f32 v[2:3], v[2:3], v[168:169]
	ds_bpermute_b32 v139, v204, v140 offset:116
	v_pk_add_f32 v[2:3], v[2:3], v[176:177]
	s_waitcnt lgkmcnt(3)
	v_sub_f32_e32 v137, v206, v137
	v_pk_add_f32 v[2:3], v[2:3], v[174:175]
	v_mul_f32_e32 v137, v193, v137
	v_pk_add_f32 v[2:3], v[2:3], v[184:185]
	s_waitcnt lgkmcnt(2)
	v_mul_f32_e32 v192, v137, v136
	v_pk_add_f32 v[2:3], v[2:3], v[180:181]
	s_waitcnt lgkmcnt(1)
	v_sub_f32_e32 v136, v207, v138
	v_pk_add_f32 v[2:3], v[2:3], v[190:191]
	v_mul_f32_e32 v136, v199, v136
	s_waitcnt lgkmcnt(0)
	v_mul_f32_e32 v198, v136, v139
	v_pk_add_f32 v[2:3], v[2:3], v[172:173]
	ds_bpermute_b32 v136, v204, v196 offset:120
	v_pk_add_f32 v[2:3], v[2:3], v[182:183]
	ds_bpermute_b32 v137, v204, v140 offset:120
	;; [unrolled: 2-line block ×3, first 2 shown]
	v_pk_add_f32 v[2:3], v[2:3], v[188:189]
	s_waitcnt lgkmcnt(2)
	v_sub_f32_e32 v136, v201, v136
	v_pk_add_f32 v[2:3], v[2:3], v[186:187]
	v_mul_f32_e32 v136, v197, v136
	v_pk_add_f32 v[2:3], v[2:3], v[194:195]
	s_waitcnt lgkmcnt(1)
	v_mul_f32_e32 v196, v136, v137
	v_pk_add_f32 v[2:3], v[2:3], v[192:193]
	ds_bpermute_b32 v140, v204, v140 offset:124
	v_pk_add_f32 v[2:3], v[2:3], v[198:199]
	s_nop 0
	v_pk_add_f32 v[138:139], v[2:3], v[196:197]
.LBB51_4:                               ;   in Loop: Header=BB51_5 Depth=1
	s_waitcnt lgkmcnt(1)
	v_sub_f32_e32 v0, v0, v142
	s_add_u32 s34, s34, s26
	v_mul_f32_e32 v0, v141, v0
	s_addc_u32 s35, s35, 0
	v_mov_b64_e32 v[136:137], s[12:13]
	s_waitcnt lgkmcnt(0)
	v_mul_f32_e32 v140, v0, v140
	s_add_u32 s28, s28, s26
	v_cmp_lt_i64_e32 vcc, s[34:35], v[136:137]
	v_pk_add_f32 v[2:3], v[138:139], v[140:141]
	v_lshl_add_u64 v[8:9], v[8:9], 0, s[30:31]
	v_lshl_add_u64 v[10:11], v[10:11], 0, s[30:31]
	;; [unrolled: 1-line block ×65, first 2 shown]
	s_addc_u32 s29, s29, 0
	s_cbranch_vccz .LBB51_145
.LBB51_5:                               ; =>This Inner Loop Header: Depth=1
	s_add_u32 s36, s10, s28
	s_addc_u32 s37, 0, s29
	v_mov_b64_e32 v[136:137], s[12:13]
	v_cmp_ge_i64_e32 vcc, s[36:37], v[136:137]
	v_lshl_add_u64 v[136:137], s[10:11], 0, v[4:5]
	s_cbranch_vccz .LBB51_75
; %bb.6:                                ;   in Loop: Header=BB51_5 Depth=1
	s_load_dword s9, s[24:25], 0xc
	v_mov_b32_e32 v139, 0
	v_mov_b32_e32 v198, 0
	;; [unrolled: 1-line block ×3, first 2 shown]
	s_waitcnt lgkmcnt(0)
	s_and_b32 s9, s9, 0xffff
	v_mad_u32_u24 v0, v203, s9, v202
	v_and_b32_e32 v214, 63, v0
	v_cmp_gt_u32_e32 vcc, 32, v214
	s_and_saveexec_b64 s[36:37], vcc
	s_cbranch_execz .LBB51_10
; %bb.7:                                ;   in Loop: Header=BB51_5 Depth=1
	v_lshl_add_u64 v[140:141], v[136:137], 0, v[214:215]
	v_cmp_gt_i64_e32 vcc, s[12:13], v[140:141]
	v_mov_b32_e32 v205, 0
	v_mov_b32_e32 v198, 0
	s_and_saveexec_b64 s[38:39], vcc
	s_cbranch_execz .LBB51_9
; %bb.8:                                ;   in Loop: Header=BB51_5 Depth=1
	v_lshlrev_b64 v[140:141], 2, v[140:141]
	v_lshl_add_u64 v[142:143], s[22:23], 0, v[140:141]
	v_lshl_add_u64 v[140:141], s[20:21], 0, v[140:141]
	global_load_dword v205, v[140:141], off
	global_load_dword v198, v[142:143], off
.LBB51_9:                               ;   in Loop: Header=BB51_5 Depth=1
	s_or_b64 exec, exec, s[38:39]
.LBB51_10:                              ;   in Loop: Header=BB51_5 Depth=1
	s_or_b64 exec, exec, s[36:37]
	v_cmp_gt_i64_e32 vcc, s[12:13], v[136:137]
	s_and_b64 s[38:39], s[6:7], vcc
	v_mov_b32_e32 v138, 0
	s_and_saveexec_b64 s[36:37], s[38:39]
	s_cbranch_execz .LBB51_12
; %bb.11:                               ;   in Loop: Header=BB51_5 Depth=1
	v_lshl_add_u64 v[138:139], v[132:133], 0, v[6:7]
	v_lshl_add_u64 v[140:141], v[134:135], 0, v[6:7]
	global_load_dword v139, v[138:139], off
	s_nop 0
	global_load_dword v138, v[140:141], off
.LBB51_12:                              ;   in Loop: Header=BB51_5 Depth=1
	s_or_b64 exec, exec, s[36:37]
	v_lshl_add_u64 v[140:141], v[136:137], 0, 1
	v_cmp_gt_i64_e32 vcc, s[12:13], v[140:141]
	s_and_b64 s[38:39], s[6:7], vcc
	v_mov_b32_e32 v143, 0
	v_mov_b32_e32 v145, 0
	;; [unrolled: 1-line block ×3, first 2 shown]
	s_and_saveexec_b64 s[36:37], s[38:39]
	s_cbranch_execz .LBB51_14
; %bb.13:                               ;   in Loop: Header=BB51_5 Depth=1
	v_lshl_add_u64 v[140:141], v[128:129], 0, v[6:7]
	global_load_dword v145, v[140:141], off
	v_lshl_add_u64 v[140:141], v[130:131], 0, v[6:7]
	global_load_dword v140, v[140:141], off
.LBB51_14:                              ;   in Loop: Header=BB51_5 Depth=1
	s_or_b64 exec, exec, s[36:37]
	v_lshl_add_u64 v[146:147], v[136:137], 0, 2
	v_cmp_gt_i64_e32 vcc, s[12:13], v[146:147]
	s_and_b64 s[38:39], s[6:7], vcc
	v_mov_b32_e32 v142, 0
	s_and_saveexec_b64 s[36:37], s[38:39]
	s_cbranch_execz .LBB51_16
; %bb.15:                               ;   in Loop: Header=BB51_5 Depth=1
	v_lshl_add_u64 v[142:143], v[124:125], 0, v[6:7]
	v_lshl_add_u64 v[146:147], v[126:127], 0, v[6:7]
	global_load_dword v143, v[142:143], off
	s_nop 0
	global_load_dword v142, v[146:147], off
.LBB51_16:                              ;   in Loop: Header=BB51_5 Depth=1
	s_or_b64 exec, exec, s[36:37]
	v_lshl_add_u64 v[146:147], v[136:137], 0, 3
	v_cmp_gt_i64_e32 vcc, s[12:13], v[146:147]
	s_and_b64 s[38:39], s[6:7], vcc
	v_mov_b32_e32 v147, 0
	v_mov_b32_e32 v149, 0
	;; [unrolled: 1-line block ×3, first 2 shown]
	s_and_saveexec_b64 s[36:37], s[38:39]
	s_cbranch_execz .LBB51_18
; %bb.17:                               ;   in Loop: Header=BB51_5 Depth=1
	v_lshl_add_u64 v[148:149], v[120:121], 0, v[6:7]
	v_lshl_add_u64 v[150:151], v[122:123], 0, v[6:7]
	global_load_dword v149, v[148:149], off
	s_nop 0
	global_load_dword v146, v[150:151], off
.LBB51_18:                              ;   in Loop: Header=BB51_5 Depth=1
	s_or_b64 exec, exec, s[36:37]
	v_lshl_add_u64 v[150:151], v[136:137], 0, 4
	v_cmp_gt_i64_e32 vcc, s[12:13], v[150:151]
	s_and_b64 s[38:39], s[6:7], vcc
	v_mov_b32_e32 v150, 0
	s_and_saveexec_b64 s[36:37], s[38:39]
	s_cbranch_execz .LBB51_20
; %bb.19:                               ;   in Loop: Header=BB51_5 Depth=1
	v_lshl_add_u64 v[150:151], v[116:117], 0, v[6:7]
	global_load_dword v147, v[150:151], off
	v_lshl_add_u64 v[150:151], v[118:119], 0, v[6:7]
	global_load_dword v150, v[150:151], off
.LBB51_20:                              ;   in Loop: Header=BB51_5 Depth=1
	s_or_b64 exec, exec, s[36:37]
	v_lshl_add_u64 v[152:153], v[136:137], 0, 5
	v_cmp_gt_i64_e32 vcc, s[12:13], v[152:153]
	s_and_b64 s[38:39], s[6:7], vcc
	v_mov_b32_e32 v151, 0
	v_mov_b32_e32 v153, 0
	;; [unrolled: 1-line block ×3, first 2 shown]
	s_and_saveexec_b64 s[36:37], s[38:39]
	s_cbranch_execz .LBB51_22
; %bb.21:                               ;   in Loop: Header=BB51_5 Depth=1
	v_lshl_add_u64 v[152:153], v[112:113], 0, v[6:7]
	v_lshl_add_u64 v[154:155], v[114:115], 0, v[6:7]
	global_load_dword v153, v[152:153], off
	s_nop 0
	global_load_dword v152, v[154:155], off
.LBB51_22:                              ;   in Loop: Header=BB51_5 Depth=1
	s_or_b64 exec, exec, s[36:37]
	v_lshl_add_u64 v[154:155], v[136:137], 0, 6
	v_cmp_gt_i64_e32 vcc, s[12:13], v[154:155]
	s_and_b64 s[38:39], s[6:7], vcc
	v_mov_b32_e32 v154, 0
	s_and_saveexec_b64 s[36:37], s[38:39]
	s_cbranch_execz .LBB51_24
; %bb.23:                               ;   in Loop: Header=BB51_5 Depth=1
	v_lshl_add_u64 v[154:155], v[108:109], 0, v[6:7]
	global_load_dword v151, v[154:155], off
	v_lshl_add_u64 v[154:155], v[110:111], 0, v[6:7]
	global_load_dword v154, v[154:155], off
.LBB51_24:                              ;   in Loop: Header=BB51_5 Depth=1
	s_or_b64 exec, exec, s[36:37]
	v_lshl_add_u64 v[156:157], v[136:137], 0, 7
	v_cmp_gt_i64_e32 vcc, s[12:13], v[156:157]
	s_and_b64 s[38:39], s[6:7], vcc
	v_mov_b32_e32 v159, 0
	v_mov_b32_e32 v161, 0
	;; [unrolled: 1-line block ×3, first 2 shown]
	s_and_saveexec_b64 s[36:37], s[38:39]
	s_cbranch_execz .LBB51_26
; %bb.25:                               ;   in Loop: Header=BB51_5 Depth=1
	v_lshl_add_u64 v[156:157], v[104:105], 0, v[6:7]
	global_load_dword v161, v[156:157], off
	v_lshl_add_u64 v[156:157], v[106:107], 0, v[6:7]
	global_load_dword v156, v[156:157], off
.LBB51_26:                              ;   in Loop: Header=BB51_5 Depth=1
	s_or_b64 exec, exec, s[36:37]
	v_lshl_add_u64 v[162:163], v[136:137], 0, 8
	v_cmp_gt_i64_e32 vcc, s[12:13], v[162:163]
	s_and_b64 s[38:39], s[6:7], vcc
	v_mov_b32_e32 v158, 0
	s_and_saveexec_b64 s[36:37], s[38:39]
	s_cbranch_execz .LBB51_28
; %bb.27:                               ;   in Loop: Header=BB51_5 Depth=1
	v_lshl_add_u64 v[158:159], v[100:101], 0, v[6:7]
	v_lshl_add_u64 v[162:163], v[102:103], 0, v[6:7]
	global_load_dword v159, v[158:159], off
	s_nop 0
	global_load_dword v158, v[162:163], off
.LBB51_28:                              ;   in Loop: Header=BB51_5 Depth=1
	s_or_b64 exec, exec, s[36:37]
	v_lshl_add_u64 v[162:163], v[136:137], 0, 9
	v_cmp_gt_i64_e32 vcc, s[12:13], v[162:163]
	s_and_b64 s[38:39], s[6:7], vcc
	v_mov_b32_e32 v167, 0
	v_mov_b32_e32 v169, 0
	v_mov_b32_e32 v164, 0
	s_and_saveexec_b64 s[36:37], s[38:39]
	s_cbranch_execz .LBB51_30
; %bb.29:                               ;   in Loop: Header=BB51_5 Depth=1
	v_lshl_add_u64 v[162:163], v[96:97], 0, v[6:7]
	global_load_dword v169, v[162:163], off
	v_lshl_add_u64 v[162:163], v[98:99], 0, v[6:7]
	global_load_dword v164, v[162:163], off
.LBB51_30:                              ;   in Loop: Header=BB51_5 Depth=1
	s_or_b64 exec, exec, s[36:37]
	v_lshl_add_u64 v[162:163], v[136:137], 0, 10
	v_cmp_gt_i64_e32 vcc, s[12:13], v[162:163]
	s_and_b64 s[38:39], s[6:7], vcc
	v_mov_b32_e32 v166, 0
	s_and_saveexec_b64 s[36:37], s[38:39]
	s_cbranch_execz .LBB51_32
; %bb.31:                               ;   in Loop: Header=BB51_5 Depth=1
	v_lshl_add_u64 v[162:163], v[92:93], 0, v[6:7]
	global_load_dword v167, v[162:163], off
	v_lshl_add_u64 v[162:163], v[94:95], 0, v[6:7]
	global_load_dword v166, v[162:163], off
.LBB51_32:                              ;   in Loop: Header=BB51_5 Depth=1
	s_or_b64 exec, exec, s[36:37]
	v_lshl_add_u64 v[162:163], v[136:137], 0, 11
	v_cmp_gt_i64_e32 vcc, s[12:13], v[162:163]
	s_and_b64 s[38:39], s[6:7], vcc
	v_mov_b32_e32 v155, 0
	v_mov_b32_e32 v157, 0
	v_mov_b32_e32 v162, 0
	s_and_saveexec_b64 s[36:37], s[38:39]
	s_cbranch_execz .LBB51_34
; %bb.33:                               ;   in Loop: Header=BB51_5 Depth=1
	v_lshl_add_u64 v[162:163], v[88:89], 0, v[6:7]
	global_load_dword v157, v[162:163], off
	v_lshl_add_u64 v[162:163], v[90:91], 0, v[6:7]
	global_load_dword v162, v[162:163], off
.LBB51_34:                              ;   in Loop: Header=BB51_5 Depth=1
	s_or_b64 exec, exec, s[36:37]
	v_lshl_add_u64 v[170:171], v[136:137], 0, 12
	v_cmp_gt_i64_e32 vcc, s[12:13], v[170:171]
	s_and_b64 s[38:39], s[6:7], vcc
	v_mov_b32_e32 v170, 0
	s_and_saveexec_b64 s[36:37], s[38:39]
	s_cbranch_execz .LBB51_36
; %bb.35:                               ;   in Loop: Header=BB51_5 Depth=1
	v_lshl_add_u64 v[170:171], v[84:85], 0, v[6:7]
	global_load_dword v155, v[170:171], off
	v_lshl_add_u64 v[170:171], v[86:87], 0, v[6:7]
	global_load_dword v170, v[170:171], off
.LBB51_36:                              ;   in Loop: Header=BB51_5 Depth=1
	;; [unrolled: 28-line block ×11, first 2 shown]
	s_or_b64 exec, exec, s[36:37]
	v_lshl_add_u64 v[210:211], v[136:137], 0, 31
	v_cmp_gt_i64_e32 vcc, s[12:13], v[210:211]
	s_and_b64 s[38:39], s[6:7], vcc
	v_mov_b32_e32 v141, 0
	v_mov_b32_e32 v0, 0
	s_and_saveexec_b64 s[36:37], s[38:39]
	s_cbranch_execz .LBB51_74
; %bb.73:                               ;   in Loop: Header=BB51_5 Depth=1
	v_lshl_add_u64 v[210:211], v[8:9], 0, v[6:7]
	global_load_dword v141, v[210:211], off
	v_lshl_add_u64 v[210:211], v[10:11], 0, v[6:7]
	global_load_dword v0, v[210:211], off
.LBB51_74:                              ;   in Loop: Header=BB51_5 Depth=1
	s_or_b64 exec, exec, s[36:37]
	s_waitcnt vmcnt(1)
	ds_bpermute_b32 v144, v204, v205
	s_waitcnt vmcnt(0)
	ds_bpermute_b32 v148, v204, v198
	ds_bpermute_b32 v168, v204, v205 offset:4
	ds_bpermute_b32 v160, v204, v198 offset:4
	;; [unrolled: 1-line block ×3, first 2 shown]
	s_waitcnt lgkmcnt(4)
	v_sub_f32_e32 v138, v138, v144
	v_mul_f32_e32 v138, v139, v138
	s_waitcnt lgkmcnt(3)
	v_mul_f32_e32 v138, v138, v148
	s_waitcnt lgkmcnt(2)
	v_sub_f32_e32 v140, v140, v168
	ds_bpermute_b32 v148, v204, v198 offset:8
	v_mul_f32_e32 v140, v145, v140
	s_waitcnt lgkmcnt(2)
	v_mul_f32_e32 v144, v140, v160
	ds_bpermute_b32 v160, v204, v205 offset:12
	s_waitcnt lgkmcnt(2)
	v_sub_f32_e32 v140, v142, v210
	v_mul_f32_e32 v140, v143, v140
	s_waitcnt lgkmcnt(1)
	v_mul_f32_e32 v142, v140, v148
	ds_bpermute_b32 v140, v204, v198 offset:12
	ds_bpermute_b32 v168, v204, v205 offset:16
	s_waitcnt lgkmcnt(2)
	v_sub_f32_e32 v146, v146, v160
	ds_bpermute_b32 v160, v204, v198 offset:16
	v_mul_f32_e32 v146, v149, v146
	s_waitcnt lgkmcnt(2)
	v_mul_f32_e32 v148, v146, v140
	s_waitcnt lgkmcnt(1)
	v_sub_f32_e32 v140, v150, v168
	ds_bpermute_b32 v150, v204, v205 offset:20
	v_mul_f32_e32 v140, v147, v140
	s_waitcnt lgkmcnt(1)
	v_mul_f32_e32 v146, v140, v160
	ds_bpermute_b32 v140, v204, v198 offset:20
	ds_bpermute_b32 v160, v204, v205 offset:24
	;; [unrolled: 1-line block ×3, first 2 shown]
	s_waitcnt lgkmcnt(3)
	v_sub_f32_e32 v150, v152, v150
	v_mul_f32_e32 v150, v153, v150
	s_waitcnt lgkmcnt(2)
	v_mul_f32_e32 v152, v150, v140
	s_waitcnt lgkmcnt(1)
	v_sub_f32_e32 v140, v154, v160
	ds_bpermute_b32 v154, v204, v205 offset:28
	v_mul_f32_e32 v140, v151, v140
	s_waitcnt lgkmcnt(1)
	v_mul_f32_e32 v150, v140, v168
	ds_bpermute_b32 v140, v204, v198 offset:28
	ds_bpermute_b32 v168, v204, v205 offset:32
	s_waitcnt lgkmcnt(2)
	v_sub_f32_e32 v154, v156, v154
	ds_bpermute_b32 v156, v204, v198 offset:32
	v_mul_f32_e32 v154, v161, v154
	s_waitcnt lgkmcnt(2)
	v_mul_f32_e32 v160, v154, v140
	ds_bpermute_b32 v154, v204, v205 offset:36
	s_waitcnt lgkmcnt(2)
	v_sub_f32_e32 v140, v158, v168
	v_mul_f32_e32 v140, v159, v140
	s_waitcnt lgkmcnt(1)
	v_mul_f32_e32 v158, v140, v156
	ds_bpermute_b32 v140, v204, v198 offset:36
	ds_bpermute_b32 v156, v204, v205 offset:40
	s_waitcnt lgkmcnt(2)
	v_sub_f32_e32 v154, v164, v154
	ds_bpermute_b32 v164, v204, v198 offset:40
	v_mul_f32_e32 v154, v169, v154
	s_waitcnt lgkmcnt(2)
	v_mul_f32_e32 v168, v154, v140
	s_waitcnt lgkmcnt(1)
	v_sub_f32_e32 v140, v166, v156
	v_mul_f32_e32 v140, v167, v140
	s_waitcnt lgkmcnt(0)
	v_mul_f32_e32 v166, v140, v164
	v_pk_add_f32 v[138:139], v[2:3], v[138:139]
	ds_bpermute_b32 v140, v204, v205 offset:44
	v_pk_add_f32 v[138:139], v[138:139], v[144:145]
	ds_bpermute_b32 v144, v204, v198 offset:52
	;; [unrolled: 2-line block ×3, first 2 shown]
	s_waitcnt lgkmcnt(2)
	v_sub_f32_e32 v140, v162, v140
	ds_bpermute_b32 v143, v204, v205 offset:48
	v_mul_f32_e32 v140, v157, v140
	v_pk_add_f32 v[138:139], v[138:139], v[148:149]
	s_waitcnt lgkmcnt(1)
	v_mul_f32_e32 v156, v140, v142
	ds_bpermute_b32 v140, v204, v198 offset:48
	ds_bpermute_b32 v142, v204, v205 offset:52
	s_waitcnt lgkmcnt(2)
	v_sub_f32_e32 v143, v170, v143
	v_mul_f32_e32 v143, v155, v143
	v_pk_add_f32 v[138:139], v[138:139], v[146:147]
	s_waitcnt lgkmcnt(1)
	v_mul_f32_e32 v154, v143, v140
	s_waitcnt lgkmcnt(0)
	v_sub_f32_e32 v140, v172, v142
	ds_bpermute_b32 v142, v204, v205 offset:56
	v_mul_f32_e32 v140, v165, v140
	v_mul_f32_e32 v164, v140, v144
	ds_bpermute_b32 v140, v204, v198 offset:56
	ds_bpermute_b32 v143, v204, v205 offset:60
	ds_bpermute_b32 v144, v204, v198 offset:60
	s_waitcnt lgkmcnt(3)
	v_sub_f32_e32 v142, v174, v142
	v_mul_f32_e32 v142, v163, v142
	s_waitcnt lgkmcnt(2)
	v_mul_f32_e32 v162, v142, v140
	s_waitcnt lgkmcnt(1)
	v_sub_f32_e32 v140, v176, v143
	ds_bpermute_b32 v142, v204, v205 offset:64
	v_mul_f32_e32 v140, v173, v140
	s_waitcnt lgkmcnt(1)
	v_mul_f32_e32 v172, v140, v144
	ds_bpermute_b32 v140, v204, v198 offset:64
	ds_bpermute_b32 v143, v204, v205 offset:68
	ds_bpermute_b32 v144, v204, v198 offset:68
	s_waitcnt lgkmcnt(3)
	v_sub_f32_e32 v142, v178, v142
	v_mul_f32_e32 v142, v171, v142
	s_waitcnt lgkmcnt(2)
	v_mul_f32_e32 v170, v142, v140
	s_waitcnt lgkmcnt(1)
	v_sub_f32_e32 v140, v180, v143
	ds_bpermute_b32 v142, v204, v205 offset:72
	v_mul_f32_e32 v140, v177, v140
	s_waitcnt lgkmcnt(1)
	;; [unrolled: 14-line block ×3, first 2 shown]
	v_mul_f32_e32 v182, v140, v144
	ds_bpermute_b32 v140, v204, v198 offset:80
	ds_bpermute_b32 v143, v204, v205 offset:84
	;; [unrolled: 1-line block ×3, first 2 shown]
	s_waitcnt lgkmcnt(3)
	v_sub_f32_e32 v142, v188, v142
	v_mul_f32_e32 v142, v181, v142
	s_waitcnt lgkmcnt(2)
	v_mul_f32_e32 v180, v142, v140
	s_waitcnt lgkmcnt(1)
	v_sub_f32_e32 v140, v192, v143
	v_mul_f32_e32 v140, v189, v140
	s_waitcnt lgkmcnt(0)
	v_mul_f32_e32 v188, v140, v144
	ds_bpermute_b32 v140, v204, v205 offset:88
	ds_bpermute_b32 v142, v204, v198 offset:88
	;; [unrolled: 1-line block ×4, first 2 shown]
	v_pk_add_f32 v[138:139], v[138:139], v[152:153]
	s_waitcnt lgkmcnt(3)
	v_sub_f32_e32 v140, v186, v140
	v_mul_f32_e32 v140, v179, v140
	s_waitcnt lgkmcnt(2)
	v_mul_f32_e32 v178, v140, v142
	s_waitcnt lgkmcnt(1)
	v_sub_f32_e32 v140, v190, v143
	ds_bpermute_b32 v142, v204, v205 offset:96
	v_mul_f32_e32 v140, v187, v140
	s_waitcnt lgkmcnt(1)
	v_mul_f32_e32 v186, v140, v144
	ds_bpermute_b32 v140, v204, v198 offset:96
	ds_bpermute_b32 v143, v204, v205 offset:100
	;; [unrolled: 1-line block ×3, first 2 shown]
	s_waitcnt lgkmcnt(3)
	v_sub_f32_e32 v142, v194, v142
	v_mul_f32_e32 v142, v185, v142
	s_waitcnt lgkmcnt(2)
	v_mul_f32_e32 v184, v142, v140
	s_waitcnt lgkmcnt(1)
	v_sub_f32_e32 v140, v196, v143
	ds_bpermute_b32 v142, v204, v205 offset:104
	v_pk_add_f32 v[138:139], v[138:139], v[150:151]
	v_mul_f32_e32 v140, v193, v140
	v_pk_add_f32 v[138:139], v[138:139], v[160:161]
	s_waitcnt lgkmcnt(1)
	v_mul_f32_e32 v192, v140, v144
	ds_bpermute_b32 v140, v204, v198 offset:104
	ds_bpermute_b32 v143, v204, v205 offset:108
	v_pk_add_f32 v[138:139], v[138:139], v[158:159]
	ds_bpermute_b32 v144, v204, v198 offset:108
	v_pk_add_f32 v[138:139], v[138:139], v[168:169]
	s_waitcnt lgkmcnt(3)
	v_sub_f32_e32 v142, v200, v142
	v_pk_add_f32 v[138:139], v[138:139], v[166:167]
	v_mul_f32_e32 v142, v191, v142
	v_pk_add_f32 v[138:139], v[138:139], v[156:157]
	s_waitcnt lgkmcnt(2)
	v_mul_f32_e32 v190, v142, v140
	v_pk_add_f32 v[138:139], v[138:139], v[154:155]
	s_waitcnt lgkmcnt(1)
	v_sub_f32_e32 v140, v206, v143
	ds_bpermute_b32 v142, v204, v205 offset:112
	v_pk_add_f32 v[138:139], v[138:139], v[164:165]
	v_mul_f32_e32 v140, v197, v140
	v_pk_add_f32 v[138:139], v[138:139], v[162:163]
	s_waitcnt lgkmcnt(1)
	v_mul_f32_e32 v196, v140, v144
	ds_bpermute_b32 v140, v204, v198 offset:112
	ds_bpermute_b32 v143, v204, v205 offset:116
	v_pk_add_f32 v[138:139], v[138:139], v[172:173]
	ds_bpermute_b32 v144, v204, v198 offset:116
	v_pk_add_f32 v[138:139], v[138:139], v[170:171]
	s_waitcnt lgkmcnt(3)
	v_sub_f32_e32 v142, v207, v142
	v_pk_add_f32 v[138:139], v[138:139], v[176:177]
	v_mul_f32_e32 v142, v195, v142
	v_pk_add_f32 v[138:139], v[138:139], v[174:175]
	s_waitcnt lgkmcnt(2)
	v_mul_f32_e32 v194, v142, v140
	v_pk_add_f32 v[138:139], v[138:139], v[182:183]
	s_waitcnt lgkmcnt(1)
	v_sub_f32_e32 v140, v209, v143
	v_pk_add_f32 v[138:139], v[138:139], v[180:181]
	v_mul_f32_e32 v140, v201, v140
	v_pk_add_f32 v[138:139], v[138:139], v[188:189]
	s_waitcnt lgkmcnt(0)
	v_mul_f32_e32 v200, v140, v144
	ds_bpermute_b32 v140, v204, v205 offset:120
	v_pk_add_f32 v[138:139], v[138:139], v[178:179]
	ds_bpermute_b32 v143, v204, v198 offset:120
	v_pk_add_f32 v[138:139], v[138:139], v[186:187]
	;; [unrolled: 2-line block ×3, first 2 shown]
	s_waitcnt lgkmcnt(2)
	v_sub_f32_e32 v144, v208, v140
	v_pk_add_f32 v[138:139], v[138:139], v[192:193]
	ds_bpermute_b32 v140, v204, v198 offset:124
	v_pk_add_f32 v[138:139], v[138:139], v[190:191]
	v_mul_f32_e32 v144, v199, v144
	v_pk_add_f32 v[138:139], v[138:139], v[196:197]
	s_waitcnt lgkmcnt(2)
	v_mul_f32_e32 v198, v144, v143
	v_pk_add_f32 v[138:139], v[138:139], v[194:195]
	s_nop 0
	v_pk_add_f32 v[138:139], v[138:139], v[200:201]
	s_nop 0
	v_pk_add_f32 v[138:139], v[138:139], v[198:199]
	s_branch .LBB51_4
.LBB51_75:                              ;   in Loop: Header=BB51_5 Depth=1
                                        ; implicit-def: $vgpr138_vgpr139
                                        ; implicit-def: $vgpr140
                                        ; implicit-def: $vgpr141
                                        ; implicit-def: $vgpr0
                                        ; implicit-def: $vgpr142
	s_cbranch_execz .LBB51_4
; %bb.76:                               ;   in Loop: Header=BB51_5 Depth=1
	s_load_dword s9, s[24:25], 0x0
	v_mov_b32_e32 v139, 0
	s_waitcnt lgkmcnt(0)
	v_mov_b32_e32 v140, 0
	v_mov_b32_e32 v196, 0
	s_cmp_lt_u32 s2, s9
	s_cselect_b32 s9, 12, 18
	s_add_u32 s36, s24, s9
	s_addc_u32 s37, s25, 0
	global_load_ushort v0, v215, s[36:37]
	s_waitcnt vmcnt(0)
	v_mad_u32_u24 v0, v203, v0, v202
	v_and_b32_e32 v214, 63, v0
	v_cmp_gt_u32_e32 vcc, 32, v214
	s_and_saveexec_b64 s[36:37], vcc
	s_cbranch_execz .LBB51_80
; %bb.77:                               ;   in Loop: Header=BB51_5 Depth=1
	v_lshl_add_u64 v[136:137], v[136:137], 0, v[214:215]
	v_cmp_gt_i64_e32 vcc, s[12:13], v[136:137]
	v_mov_b32_e32 v196, 0
	v_mov_b32_e32 v140, 0
	s_and_saveexec_b64 s[38:39], vcc
	s_cbranch_execz .LBB51_79
; %bb.78:                               ;   in Loop: Header=BB51_5 Depth=1
	v_lshlrev_b64 v[136:137], 2, v[136:137]
	v_lshl_add_u64 v[140:141], s[22:23], 0, v[136:137]
	v_lshl_add_u64 v[136:137], s[20:21], 0, v[136:137]
	global_load_dword v196, v[136:137], off
	s_nop 0
	global_load_dword v140, v[140:141], off
.LBB51_79:                              ;   in Loop: Header=BB51_5 Depth=1
	s_or_b64 exec, exec, s[38:39]
.LBB51_80:                              ;   in Loop: Header=BB51_5 Depth=1
	s_or_b64 exec, exec, s[36:37]
	v_mov_b32_e32 v136, 0
	s_and_saveexec_b64 s[36:37], s[6:7]
	s_cbranch_execz .LBB51_82
; %bb.81:                               ;   in Loop: Header=BB51_5 Depth=1
	v_lshl_add_u64 v[136:137], v[132:133], 0, v[6:7]
	global_load_dword v139, v[136:137], off
	v_lshl_add_u64 v[136:137], v[134:135], 0, v[6:7]
	global_load_dword v136, v[136:137], off
.LBB51_82:                              ;   in Loop: Header=BB51_5 Depth=1
	s_or_b64 exec, exec, s[36:37]
	v_mov_b32_e32 v137, 0
	v_mov_b32_e32 v143, 0
	v_mov_b32_e32 v142, 0
	s_and_saveexec_b64 s[36:37], s[6:7]
	s_cbranch_execz .LBB51_84
; %bb.83:                               ;   in Loop: Header=BB51_5 Depth=1
	v_lshl_add_u64 v[142:143], v[128:129], 0, v[6:7]
	v_lshl_add_u64 v[144:145], v[130:131], 0, v[6:7]
	global_load_dword v143, v[142:143], off
	s_nop 0
	global_load_dword v142, v[144:145], off
.LBB51_84:                              ;   in Loop: Header=BB51_5 Depth=1
	s_or_b64 exec, exec, s[36:37]
	v_mov_b32_e32 v144, 0
	s_and_saveexec_b64 s[36:37], s[6:7]
	s_cbranch_execz .LBB51_86
; %bb.85:                               ;   in Loop: Header=BB51_5 Depth=1
	v_lshl_add_u64 v[144:145], v[124:125], 0, v[6:7]
	global_load_dword v137, v[144:145], off
	v_lshl_add_u64 v[144:145], v[126:127], 0, v[6:7]
	global_load_dword v144, v[144:145], off
.LBB51_86:                              ;   in Loop: Header=BB51_5 Depth=1
	s_or_b64 exec, exec, s[36:37]
	v_mov_b32_e32 v145, 0
	v_mov_b32_e32 v147, 0
	;; [unrolled: 1-line block ×3, first 2 shown]
	s_and_saveexec_b64 s[36:37], s[6:7]
	s_cbranch_execz .LBB51_88
; %bb.87:                               ;   in Loop: Header=BB51_5 Depth=1
	v_lshl_add_u64 v[146:147], v[120:121], 0, v[6:7]
	v_lshl_add_u64 v[148:149], v[122:123], 0, v[6:7]
	global_load_dword v147, v[146:147], off
	s_nop 0
	global_load_dword v146, v[148:149], off
.LBB51_88:                              ;   in Loop: Header=BB51_5 Depth=1
	s_or_b64 exec, exec, s[36:37]
	v_mov_b32_e32 v148, 0
	s_and_saveexec_b64 s[36:37], s[6:7]
	s_cbranch_execz .LBB51_90
; %bb.89:                               ;   in Loop: Header=BB51_5 Depth=1
	v_lshl_add_u64 v[148:149], v[116:117], 0, v[6:7]
	global_load_dword v145, v[148:149], off
	v_lshl_add_u64 v[148:149], v[118:119], 0, v[6:7]
	global_load_dword v148, v[148:149], off
.LBB51_90:                              ;   in Loop: Header=BB51_5 Depth=1
	s_or_b64 exec, exec, s[36:37]
	v_mov_b32_e32 v151, 0
	v_mov_b32_e32 v155, 0
	;; [unrolled: 1-line block ×3, first 2 shown]
	s_and_saveexec_b64 s[36:37], s[6:7]
	s_cbranch_execz .LBB51_92
; %bb.91:                               ;   in Loop: Header=BB51_5 Depth=1
	v_lshl_add_u64 v[152:153], v[112:113], 0, v[6:7]
	global_load_dword v155, v[152:153], off
	v_lshl_add_u64 v[152:153], v[114:115], 0, v[6:7]
	global_load_dword v150, v[152:153], off
.LBB51_92:                              ;   in Loop: Header=BB51_5 Depth=1
	s_or_b64 exec, exec, s[36:37]
	v_mov_b32_e32 v152, 0
	s_and_saveexec_b64 s[36:37], s[6:7]
	s_cbranch_execz .LBB51_94
; %bb.93:                               ;   in Loop: Header=BB51_5 Depth=1
	v_lshl_add_u64 v[152:153], v[108:109], 0, v[6:7]
	global_load_dword v151, v[152:153], off
	v_lshl_add_u64 v[152:153], v[110:111], 0, v[6:7]
	global_load_dword v152, v[152:153], off
.LBB51_94:                              ;   in Loop: Header=BB51_5 Depth=1
	s_or_b64 exec, exec, s[36:37]
	v_mov_b32_e32 v157, 0
	v_mov_b32_e32 v163, 0
	;; [unrolled: 1-line block ×3, first 2 shown]
	s_and_saveexec_b64 s[36:37], s[6:7]
	s_cbranch_execz .LBB51_96
; %bb.95:                               ;   in Loop: Header=BB51_5 Depth=1
	v_lshl_add_u64 v[158:159], v[104:105], 0, v[6:7]
	global_load_dword v163, v[158:159], off
	v_lshl_add_u64 v[158:159], v[106:107], 0, v[6:7]
	global_load_dword v156, v[158:159], off
.LBB51_96:                              ;   in Loop: Header=BB51_5 Depth=1
	s_or_b64 exec, exec, s[36:37]
	v_mov_b32_e32 v160, 0
	s_and_saveexec_b64 s[36:37], s[6:7]
	s_cbranch_execz .LBB51_98
; %bb.97:                               ;   in Loop: Header=BB51_5 Depth=1
	v_lshl_add_u64 v[158:159], v[100:101], 0, v[6:7]
	global_load_dword v157, v[158:159], off
	v_lshl_add_u64 v[158:159], v[102:103], 0, v[6:7]
	global_load_dword v160, v[158:159], off
.LBB51_98:                              ;   in Loop: Header=BB51_5 Depth=1
	s_or_b64 exec, exec, s[36:37]
	v_mov_b32_e32 v165, 0
	v_mov_b32_e32 v167, 0
	;; [unrolled: 1-line block ×3, first 2 shown]
	s_and_saveexec_b64 s[36:37], s[6:7]
	s_cbranch_execz .LBB51_100
; %bb.99:                               ;   in Loop: Header=BB51_5 Depth=1
	v_lshl_add_u64 v[158:159], v[96:97], 0, v[6:7]
	global_load_dword v167, v[158:159], off
	v_lshl_add_u64 v[158:159], v[98:99], 0, v[6:7]
	global_load_dword v164, v[158:159], off
.LBB51_100:                             ;   in Loop: Header=BB51_5 Depth=1
	s_or_b64 exec, exec, s[36:37]
	v_mov_b32_e32 v172, 0
	s_and_saveexec_b64 s[36:37], s[6:7]
	s_cbranch_execz .LBB51_102
; %bb.101:                              ;   in Loop: Header=BB51_5 Depth=1
	v_lshl_add_u64 v[158:159], v[92:93], 0, v[6:7]
	global_load_dword v165, v[158:159], off
	v_lshl_add_u64 v[158:159], v[94:95], 0, v[6:7]
	global_load_dword v172, v[158:159], off
.LBB51_102:                             ;   in Loop: Header=BB51_5 Depth=1
	s_or_b64 exec, exec, s[36:37]
	v_mov_b32_e32 v149, 0
	v_mov_b32_e32 v153, 0
	v_mov_b32_e32 v158, 0
	s_and_saveexec_b64 s[36:37], s[6:7]
	s_cbranch_execz .LBB51_104
; %bb.103:                              ;   in Loop: Header=BB51_5 Depth=1
	v_lshl_add_u64 v[158:159], v[88:89], 0, v[6:7]
	global_load_dword v153, v[158:159], off
	v_lshl_add_u64 v[158:159], v[90:91], 0, v[6:7]
	global_load_dword v158, v[158:159], off
.LBB51_104:                             ;   in Loop: Header=BB51_5 Depth=1
	s_or_b64 exec, exec, s[36:37]
	v_mov_b32_e32 v168, 0
	s_and_saveexec_b64 s[36:37], s[6:7]
	s_cbranch_execz .LBB51_106
; %bb.105:                              ;   in Loop: Header=BB51_5 Depth=1
	v_lshl_add_u64 v[168:169], v[84:85], 0, v[6:7]
	global_load_dword v149, v[168:169], off
	v_lshl_add_u64 v[168:169], v[86:87], 0, v[6:7]
	global_load_dword v168, v[168:169], off
.LBB51_106:                             ;   in Loop: Header=BB51_5 Depth=1
	s_or_b64 exec, exec, s[36:37]
	v_mov_b32_e32 v159, 0
	v_mov_b32_e32 v161, 0
	v_mov_b32_e32 v170, 0
	s_and_saveexec_b64 s[36:37], s[6:7]
	s_cbranch_execz .LBB51_108
; %bb.107:                              ;   in Loop: Header=BB51_5 Depth=1
	v_lshl_add_u64 v[170:171], v[80:81], 0, v[6:7]
	global_load_dword v161, v[170:171], off
	v_lshl_add_u64 v[170:171], v[82:83], 0, v[6:7]
	global_load_dword v170, v[170:171], off
.LBB51_108:                             ;   in Loop: Header=BB51_5 Depth=1
	;; [unrolled: 22-line block ×4, first 2 shown]
	s_or_b64 exec, exec, s[36:37]
	v_mov_b32_e32 v182, 0
	s_and_saveexec_b64 s[36:37], s[6:7]
	s_cbranch_execz .LBB51_118
; %bb.117:                              ;   in Loop: Header=BB51_5 Depth=1
	v_lshl_add_u64 v[182:183], v[60:61], 0, v[6:7]
	global_load_dword v175, v[182:183], off
	v_lshl_add_u64 v[182:183], v[62:63], 0, v[6:7]
	global_load_dword v182, v[182:183], off
.LBB51_118:                             ;   in Loop: Header=BB51_5 Depth=1
	s_or_b64 exec, exec, s[36:37]
	v_mov_b32_e32 v181, 0
	v_mov_b32_e32 v185, 0
	;; [unrolled: 1-line block ×3, first 2 shown]
	s_and_saveexec_b64 s[36:37], s[6:7]
	s_cbranch_execz .LBB51_120
; %bb.119:                              ;   in Loop: Header=BB51_5 Depth=1
	v_lshl_add_u64 v[184:185], v[56:57], 0, v[6:7]
	v_lshl_add_u64 v[186:187], v[58:59], 0, v[6:7]
	global_load_dword v185, v[184:185], off
	s_nop 0
	global_load_dword v184, v[186:187], off
.LBB51_120:                             ;   in Loop: Header=BB51_5 Depth=1
	s_or_b64 exec, exec, s[36:37]
	v_mov_b32_e32 v188, 0
	s_and_saveexec_b64 s[36:37], s[6:7]
	s_cbranch_execz .LBB51_122
; %bb.121:                              ;   in Loop: Header=BB51_5 Depth=1
	v_lshl_add_u64 v[186:187], v[52:53], 0, v[6:7]
	global_load_dword v181, v[186:187], off
	v_lshl_add_u64 v[186:187], v[54:55], 0, v[6:7]
	global_load_dword v188, v[186:187], off
.LBB51_122:                             ;   in Loop: Header=BB51_5 Depth=1
	s_or_b64 exec, exec, s[36:37]
	v_mov_b32_e32 v173, 0
	v_mov_b32_e32 v191, 0
	v_mov_b32_e32 v190, 0
	s_and_saveexec_b64 s[36:37], s[6:7]
	s_cbranch_execz .LBB51_124
; %bb.123:                              ;   in Loop: Header=BB51_5 Depth=1
	v_lshl_add_u64 v[186:187], v[48:49], 0, v[6:7]
	global_load_dword v191, v[186:187], off
	v_lshl_add_u64 v[186:187], v[50:51], 0, v[6:7]
	global_load_dword v190, v[186:187], off
.LBB51_124:                             ;   in Loop: Header=BB51_5 Depth=1
	s_or_b64 exec, exec, s[36:37]
	v_mov_b32_e32 v186, 0
	s_and_saveexec_b64 s[36:37], s[6:7]
	s_cbranch_execz .LBB51_126
; %bb.125:                              ;   in Loop: Header=BB51_5 Depth=1
	v_lshl_add_u64 v[186:187], v[44:45], 0, v[6:7]
	global_load_dword v173, v[186:187], off
	v_lshl_add_u64 v[186:187], v[46:47], 0, v[6:7]
	global_load_dword v186, v[186:187], off
.LBB51_126:                             ;   in Loop: Header=BB51_5 Depth=1
	s_or_b64 exec, exec, s[36:37]
	v_mov_b32_e32 v179, 0
	v_mov_b32_e32 v183, 0
	v_mov_b32_e32 v192, 0
	s_and_saveexec_b64 s[36:37], s[6:7]
	s_cbranch_execz .LBB51_128
; %bb.127:                              ;   in Loop: Header=BB51_5 Depth=1
	v_lshl_add_u64 v[192:193], v[40:41], 0, v[6:7]
	global_load_dword v183, v[192:193], off
	v_lshl_add_u64 v[192:193], v[42:43], 0, v[6:7]
	global_load_dword v192, v[192:193], off
.LBB51_128:                             ;   in Loop: Header=BB51_5 Depth=1
	;; [unrolled: 22-line block ×5, first 2 shown]
	s_or_b64 exec, exec, s[36:37]
	v_mov_b32_e32 v201, 0
	s_and_saveexec_b64 s[36:37], s[6:7]
	s_cbranch_execz .LBB51_142
; %bb.141:                              ;   in Loop: Header=BB51_5 Depth=1
	v_lshl_add_u64 v[208:209], v[12:13], 0, v[6:7]
	global_load_dword v197, v[208:209], off
	v_lshl_add_u64 v[208:209], v[14:15], 0, v[6:7]
	global_load_dword v201, v[208:209], off
.LBB51_142:                             ;   in Loop: Header=BB51_5 Depth=1
	s_or_b64 exec, exec, s[36:37]
	v_mov_b32_e32 v141, 0
	v_mov_b32_e32 v0, 0
	s_and_saveexec_b64 s[36:37], s[6:7]
	s_cbranch_execz .LBB51_3
; %bb.143:                              ;   in Loop: Header=BB51_5 Depth=1
	v_lshl_add_u64 v[208:209], v[8:9], 0, v[6:7]
	global_load_dword v141, v[208:209], off
	v_lshl_add_u64 v[208:209], v[10:11], 0, v[6:7]
	global_load_dword v0, v[208:209], off
	s_branch .LBB51_3
.LBB51_144:
                                        ; implicit-def: $vgpr3
	s_branch .LBB51_147
.LBB51_145:
	v_mov_b32_e32 v0, v212
.LBB51_146:
	s_cbranch_execnz .LBB51_228
.LBB51_147:
	v_mov_b32_e32 v3, 0
	s_mov_b32 s7, 0
	s_and_b64 vcc, exec, s[4:5]
	v_mov_b32_e32 v2, v3
	s_cbranch_vccnz .LBB51_228
; %bb.148:
	v_and_b32_e32 v1, 0x3ff, v0
	v_add_u32_e32 v80, s3, v1
	v_mov_b32_e32 v81, 0
	v_accvgpr_write_b32 a1, v0
	v_bfe_u32 v0, v0, 10, 10
	v_lshlrev_b64 v[8:9], 2, v[80:81]
	v_lshlrev_b32_e32 v80, 7, v0
	v_accvgpr_write_b32 a0, v1
	v_lshlrev_b32_e32 v242, 5, v0
	v_accvgpr_write_b32 a2, v0
	v_lshl_add_u64 v[0:1], s[10:11], 2, v[80:81]
	v_lshl_add_u64 v[40:41], v[0:1], 0, 4
	v_mov_b64_e32 v[6:7], s[16:17]
	v_mad_u64_u32 v[2:3], s[24:25], s14, v40, v[6:7]
	v_mul_lo_u32 v41, s14, v41
	v_mul_lo_u32 v70, s15, v40
	v_add3_u32 v3, v70, v3, v41
	v_accvgpr_write_b32 a7, v3
	v_lshl_add_u64 v[48:49], v[0:1], 0, 8
	v_accvgpr_write_b32 a6, v2
	v_mad_u64_u32 v[2:3], s[26:27], s14, v48, v[6:7]
	v_mul_lo_u32 v49, s14, v49
	v_mul_lo_u32 v71, s15, v48
	v_add3_u32 v3, v71, v3, v49
	v_accvgpr_write_b32 a9, v3
	v_lshl_add_u64 v[50:51], v[0:1], 0, 12
	v_accvgpr_write_b32 a8, v2
	;; [unrolled: 7-line block ×15, first 2 shown]
	v_mad_u64_u32 v[2:3], s[26:27], s14, v36, v[6:7]
	v_mul_lo_u32 v37, s14, v37
	v_mul_lo_u32 v106, s15, v36
	v_add3_u32 v3, v106, v3, v37
	s_mov_b64 s[26:27], 0x44
	v_accvgpr_write_b32 a37, v3
	v_lshl_add_u64 v[34:35], v[0:1], 0, s[26:27]
	v_accvgpr_write_b32 a36, v2
	v_mad_u64_u32 v[2:3], s[26:27], s14, v34, v[6:7]
	v_mul_lo_u32 v35, s14, v35
	v_mul_lo_u32 v108, s15, v34
	v_add3_u32 v3, v108, v3, v35
	s_mov_b64 s[26:27], 0x48
	v_accvgpr_write_b32 a39, v3
	v_lshl_add_u64 v[32:33], v[0:1], 0, s[26:27]
	v_accvgpr_write_b32 a38, v2
	;; [unrolled: 8-line block ×14, first 2 shown]
	v_mad_u64_u32 v[2:3], s[26:27], s14, v4, v[6:7]
	v_mul_lo_u32 v134, s14, v5
	v_mul_lo_u32 v135, s15, v4
	v_add3_u32 v3, v135, v3, v134
	v_accvgpr_write_b32 a65, v3
	s_mov_b64 s[26:27], 0x7c
	v_accvgpr_write_b32 a64, v2
	v_lshl_add_u64 v[2:3], v[0:1], 0, s[26:27]
	v_mad_u64_u32 v[0:1], s[26:27], s14, v2, v[6:7]
	v_mul_lo_u32 v136, s14, v3
	v_mul_lo_u32 v137, s15, v2
	v_add3_u32 v1, v137, v1, v136
	v_mov_b32_e32 v243, v81
	v_accvgpr_write_b32 a67, v1
	v_accvgpr_write_b32 a66, v0
	v_lshl_add_u64 v[0:1], v[242:243], 0, s[10:11]
	v_mul_lo_u32 v3, s15, v0
	v_mul_lo_u32 v5, s14, v1
	v_mad_u64_u32 v[6:7], s[26:27], s14, v0, 0
	v_add3_u32 v7, v7, v5, v3
	v_lshlrev_b64 v[6:7], 2, v[6:7]
	v_lshl_add_u64 v[68:69], s[16:17], 0, v[6:7]
	v_accvgpr_write_b32 a68, v68
	v_accvgpr_write_b32 a69, v69
	v_mov_b64_e32 v[68:69], s[18:19]
	v_mad_u64_u32 v[94:95], s[26:27], s14, v54, v[68:69]
	v_add3_u32 v95, v96, v95, v55
	v_mad_u64_u32 v[96:97], s[26:27], s14, v46, v[68:69]
	v_add3_u32 v97, v98, v97, v47
	;; [unrolled: 2-line block ×21, first 2 shown]
	v_lshl_add_u64 v[136:137], s[18:19], 0, v[6:7]
	v_lshl_add_u64 v[6:7], v[0:1], 0, 31
	v_mul_lo_u32 v2, s15, v6
	v_mul_lo_u32 v4, s14, v7
	v_mad_u64_u32 v[6:7], s[28:29], s14, v6, 0
	v_add3_u32 v7, v7, v4, v2
	v_lshlrev_b64 v[6:7], 2, v[6:7]
	v_lshl_add_u64 v[138:139], s[16:17], 0, v[6:7]
	v_lshl_add_u64 v[140:141], s[18:19], 0, v[6:7]
	v_lshl_add_u64 v[6:7], v[0:1], 0, 30
	v_mul_lo_u32 v2, s15, v6
	v_mul_lo_u32 v4, s14, v7
	v_mad_u64_u32 v[6:7], s[28:29], s14, v6, 0
	v_add3_u32 v7, v7, v4, v2
	v_lshlrev_b64 v[6:7], 2, v[6:7]
	v_lshl_add_u64 v[142:143], s[16:17], 0, v[6:7]
	;; [unrolled: 8-line block ×24, first 2 shown]
	v_lshl_add_u64 v[232:233], s[18:19], 0, v[6:7]
	v_lshl_add_u64 v[6:7], v[0:1], 0, 7
	v_mul_lo_u32 v2, s15, v6
	v_mul_lo_u32 v4, s14, v7
	v_mad_u64_u32 v[6:7], s[28:29], s14, v6, 0
	v_lshl_add_u64 v[10:11], v[0:1], 0, 6
	v_add3_u32 v7, v7, v4, v2
	v_mul_lo_u32 v2, s15, v10
	v_mul_lo_u32 v4, s14, v11
	v_mad_u64_u32 v[10:11], s[28:29], s14, v10, 0
	v_lshl_add_u64 v[12:13], v[0:1], 0, 5
	v_add3_u32 v11, v11, v4, v2
	;; [unrolled: 5-line block ×4, first 2 shown]
	v_mul_lo_u32 v2, s15, v16
	v_mul_lo_u32 v4, s14, v17
	v_mad_u64_u32 v[16:17], s[28:29], s14, v16, 0
	v_lshl_add_u64 v[18:19], v[0:1], 0, 2
	v_mad_u64_u32 v[82:83], s[26:27], s14, v40, v[68:69]
	v_add3_u32 v17, v17, v4, v2
	v_mul_lo_u32 v1, s15, v18
	v_mul_lo_u32 v2, s14, v19
	v_mad_u64_u32 v[18:19], s[28:29], s14, v18, 0
	v_mov_b64_e32 v[20:21], s[14:15]
	v_add3_u32 v83, v70, v83, v41
	v_mad_u64_u32 v[40:41], s[26:27], s14, v48, v[68:69]
	v_add3_u32 v19, v19, v2, v1
	v_mad_u64_u32 v[0:1], s[28:29], s14, v0, v[20:21]
	s_load_dword s3, s[0:1], 0x44
	v_add3_u32 v41, v71, v41, v49
	v_add3_u32 v1, v3, v1, v5
	v_lshlrev_b64 v[2:3], 2, v[12:13]
	v_accvgpr_write_b32 a73, v41
	v_mov_b64_e32 v[12:13], v[242:243]
	v_lshl_add_u64 v[242:243], s[16:17], 0, v[2:3]
	v_lshl_add_u64 v[244:245], s[18:19], 0, v[2:3]
	v_lshlrev_b64 v[2:3], 2, v[14:15]
	v_accvgpr_write_b32 a72, v40
	v_mad_u64_u32 v[40:41], s[26:27], s14, v50, v[68:69]
	v_lshl_add_u64 v[246:247], s[16:17], 0, v[2:3]
	v_lshl_add_u64 v[248:249], s[18:19], 0, v[2:3]
	v_lshlrev_b64 v[2:3], 2, v[16:17]
	v_add3_u32 v41, v72, v41, v51
	v_lshl_add_u64 v[250:251], s[16:17], 0, v[2:3]
	v_lshl_add_u64 v[252:253], s[18:19], 0, v[2:3]
	v_lshlrev_b64 v[2:3], 2, v[18:19]
	s_add_u32 s4, s0, 64
	v_accvgpr_write_b32 a75, v41
	v_lshlrev_b64 v[6:7], 2, v[6:7]
	v_lshl_add_u64 v[254:255], s[16:17], 0, v[2:3]
	v_lshl_add_u64 v[4:5], s[18:19], 0, v[2:3]
	v_lshlrev_b64 v[2:3], 2, v[0:1]
	s_addc_u32 s5, s1, 0
	s_waitcnt lgkmcnt(0)
	s_lshl_b32 s6, s3, 5
	v_accvgpr_write_b32 a74, v40
	v_mad_u64_u32 v[40:41], s[26:27], s14, v52, v[68:69]
	v_lshl_add_u64 v[234:235], s[16:17], 0, v[6:7]
	v_lshl_add_u64 v[236:237], s[18:19], 0, v[6:7]
	v_lshlrev_b64 v[6:7], 2, v[10:11]
	v_lshl_add_u64 v[0:1], s[16:17], 0, v[2:3]
	v_lshl_add_u64 v[10:11], s[18:19], 0, v[2:3]
	v_mbcnt_lo_u32_b32 v2, -1, 0
	s_mul_i32 s3, s15, s6
	s_mul_hi_u32 s9, s14, s6
	v_accvgpr_write_b32 a70, v82
	v_add3_u32 v41, v73, v41, v53
	v_mbcnt_hi_u32_b32 v2, -1, v2
	s_add_i32 s25, s9, s3
	s_mul_i32 s24, s14, s6
	v_accvgpr_write_b32 a71, v83
	v_accvgpr_write_b32 a77, v41
	v_mad_u64_u32 v[82:83], s[26:27], s14, v56, v[68:69]
	v_mad_u64_u32 v[84:85], s[26:27], s14, v60, v[68:69]
	;; [unrolled: 1-line block ×6, first 2 shown]
	v_lshlrev_b32_e32 v2, 2, v2
	s_lshl_b64 s[24:25], s[24:25], 2
	v_accvgpr_write_b32 a76, v40
	v_add3_u32 v83, v74, v83, v57
	v_add3_u32 v85, v75, v85, v61
	;; [unrolled: 1-line block ×6, first 2 shown]
	s_mov_b64 s[26:27], 31
	v_lshl_add_u64 v[238:239], s[16:17], 0, v[6:7]
	v_lshl_add_u64 v[240:241], s[18:19], 0, v[6:7]
	v_and_b32_e32 v76, 0x100, v2
	v_mov_b32_e32 v2, v81
	v_accvgpr_write_b32 a3, v81
	v_mov_b32_e32 v3, v81
	v_accvgpr_read_b32 v81, a2
	s_mov_b64 s[16:17], s[10:11]
.LBB51_149:                             ; =>This Inner Loop Header: Depth=1
	s_add_u32 s18, s10, s26
	s_addc_u32 s19, 0, s27
	v_mov_b64_e32 v[6:7], s[12:13]
	v_cmp_ge_i64_e32 vcc, s[18:19], v[6:7]
	v_accvgpr_write_b32 a4, v12
	v_accvgpr_write_b32 a5, v13
	v_lshl_add_u64 v[14:15], s[10:11], 0, v[12:13]
	s_cbranch_vccz .LBB51_219
; %bb.150:                              ;   in Loop: Header=BB51_149 Depth=1
	s_load_dword s3, s[4:5], 0xc
	v_accvgpr_read_b32 v6, a0
	v_accvgpr_read_b32 v7, a3
	v_mov_b32_e32 v35, 0
	v_mov_b32_e32 v77, 0
	s_waitcnt lgkmcnt(0)
	s_and_b32 s3, s3, 0xffff
	v_mad_u32_u24 v6, v81, s3, v6
	v_and_b32_e32 v6, 63, v6
	v_accvgpr_write_b32 a2, v6
	v_accvgpr_write_b32 a3, v7
	v_cmp_gt_u32_e32 vcc, 32, v6
	v_mov_b32_e32 v12, 0
	s_and_saveexec_b64 s[18:19], vcc
	s_cbranch_execz .LBB51_154
; %bb.151:                              ;   in Loop: Header=BB51_149 Depth=1
	v_accvgpr_read_b32 v7, a3
	v_accvgpr_read_b32 v6, a2
	v_lshl_add_u64 v[6:7], v[14:15], 0, v[6:7]
	v_cmp_gt_i64_e32 vcc, s[12:13], v[6:7]
	v_mov_b32_e32 v12, 0
	v_mov_b32_e32 v77, 0
	s_and_saveexec_b64 s[28:29], vcc
	s_cbranch_execz .LBB51_153
; %bb.152:                              ;   in Loop: Header=BB51_149 Depth=1
	v_lshlrev_b64 v[6:7], 2, v[6:7]
	v_lshl_add_u64 v[16:17], s[22:23], 0, v[6:7]
	v_lshl_add_u64 v[6:7], s[20:21], 0, v[6:7]
	global_load_dword v12, v[6:7], off
	global_load_dword v77, v[16:17], off
.LBB51_153:                             ;   in Loop: Header=BB51_149 Depth=1
	s_or_b64 exec, exec, s[28:29]
.LBB51_154:                             ;   in Loop: Header=BB51_149 Depth=1
	s_or_b64 exec, exec, s[18:19]
	v_cmp_gt_i64_e32 vcc, s[12:13], v[14:15]
	v_mov_b32_e32 v34, 0
	s_and_saveexec_b64 s[18:19], vcc
	s_cbranch_execz .LBB51_156
; %bb.155:                              ;   in Loop: Header=BB51_149 Depth=1
	v_accvgpr_read_b32 v6, a68
	v_accvgpr_read_b32 v7, a69
	v_lshl_add_u64 v[6:7], v[6:7], 0, v[8:9]
	global_load_dword v35, v[6:7], off
	v_lshl_add_u64 v[6:7], v[136:137], 0, v[8:9]
	global_load_dword v34, v[6:7], off
.LBB51_156:                             ;   in Loop: Header=BB51_149 Depth=1
	s_or_b64 exec, exec, s[18:19]
	v_lshl_add_u64 v[6:7], v[14:15], 0, 1
	v_cmp_gt_i64_e32 vcc, s[12:13], v[6:7]
	v_mov_b32_e32 v51, 0
	v_mov_b32_e32 v55, 0
	v_mov_b32_e32 v54, 0
	s_and_saveexec_b64 s[18:19], vcc
	s_cbranch_execz .LBB51_158
; %bb.157:                              ;   in Loop: Header=BB51_149 Depth=1
	v_lshl_add_u64 v[6:7], v[0:1], 0, v[8:9]
	global_load_dword v55, v[6:7], off
	v_lshl_add_u64 v[6:7], v[10:11], 0, v[8:9]
	global_load_dword v54, v[6:7], off
.LBB51_158:                             ;   in Loop: Header=BB51_149 Depth=1
	s_or_b64 exec, exec, s[18:19]
	v_lshl_add_u64 v[6:7], v[14:15], 0, 2
	v_cmp_gt_i64_e32 vcc, s[12:13], v[6:7]
	v_mov_b32_e32 v50, 0
	s_and_saveexec_b64 s[18:19], vcc
	s_cbranch_execz .LBB51_160
; %bb.159:                              ;   in Loop: Header=BB51_149 Depth=1
	v_lshl_add_u64 v[6:7], v[254:255], 0, v[8:9]
	global_load_dword v51, v[6:7], off
	v_lshl_add_u64 v[6:7], v[4:5], 0, v[8:9]
	global_load_dword v50, v[6:7], off
.LBB51_160:                             ;   in Loop: Header=BB51_149 Depth=1
	s_or_b64 exec, exec, s[18:19]
	v_lshl_add_u64 v[6:7], v[14:15], 0, 3
	v_cmp_gt_i64_e32 vcc, s[12:13], v[6:7]
	v_mov_b32_e32 v61, 0
	v_mov_b32_e32 v63, 0
	v_mov_b32_e32 v62, 0
	s_and_saveexec_b64 s[18:19], vcc
	s_cbranch_execz .LBB51_162
; %bb.161:                              ;   in Loop: Header=BB51_149 Depth=1
	v_lshl_add_u64 v[6:7], v[250:251], 0, v[8:9]
	global_load_dword v63, v[6:7], off
	v_lshl_add_u64 v[6:7], v[252:253], 0, v[8:9]
	global_load_dword v62, v[6:7], off
.LBB51_162:                             ;   in Loop: Header=BB51_149 Depth=1
	s_or_b64 exec, exec, s[18:19]
	v_lshl_add_u64 v[6:7], v[14:15], 0, 4
	v_cmp_gt_i64_e32 vcc, s[12:13], v[6:7]
	v_mov_b32_e32 v60, 0
	s_and_saveexec_b64 s[18:19], vcc
	s_cbranch_execz .LBB51_164
; %bb.163:                              ;   in Loop: Header=BB51_149 Depth=1
	v_lshl_add_u64 v[6:7], v[246:247], 0, v[8:9]
	global_load_dword v61, v[6:7], off
	v_lshl_add_u64 v[6:7], v[248:249], 0, v[8:9]
	global_load_dword v60, v[6:7], off
.LBB51_164:                             ;   in Loop: Header=BB51_149 Depth=1
	;; [unrolled: 26-line block ×4, first 2 shown]
	s_or_b64 exec, exec, s[18:19]
	v_lshl_add_u64 v[6:7], v[14:15], 0, 9
	v_cmp_gt_i64_e32 vcc, s[12:13], v[6:7]
	v_mov_b32_e32 v7, 0
	v_mov_b32_e32 v75, 0
	;; [unrolled: 1-line block ×3, first 2 shown]
	s_and_saveexec_b64 s[18:19], vcc
	s_cbranch_execz .LBB51_174
; %bb.173:                              ;   in Loop: Header=BB51_149 Depth=1
	v_lshl_add_u64 v[16:17], v[226:227], 0, v[8:9]
	global_load_dword v75, v[16:17], off
	v_lshl_add_u64 v[16:17], v[228:229], 0, v[8:9]
	global_load_dword v74, v[16:17], off
.LBB51_174:                             ;   in Loop: Header=BB51_149 Depth=1
	s_or_b64 exec, exec, s[18:19]
	v_lshl_add_u64 v[16:17], v[14:15], 0, 10
	v_cmp_gt_i64_e32 vcc, s[12:13], v[16:17]
	v_mov_b32_e32 v6, 0
	s_and_saveexec_b64 s[18:19], vcc
	s_cbranch_execz .LBB51_176
; %bb.175:                              ;   in Loop: Header=BB51_149 Depth=1
	v_lshl_add_u64 v[6:7], v[222:223], 0, v[8:9]
	v_lshl_add_u64 v[16:17], v[224:225], 0, v[8:9]
	global_load_dword v7, v[6:7], off
	s_nop 0
	global_load_dword v6, v[16:17], off
.LBB51_176:                             ;   in Loop: Header=BB51_149 Depth=1
	s_or_b64 exec, exec, s[18:19]
	v_lshl_add_u64 v[16:17], v[14:15], 0, 11
	v_cmp_gt_i64_e32 vcc, s[12:13], v[16:17]
	v_mov_b32_e32 v19, 0
	v_mov_b32_e32 v23, 0
	v_mov_b32_e32 v18, 0
	s_and_saveexec_b64 s[18:19], vcc
	s_cbranch_execz .LBB51_178
; %bb.177:                              ;   in Loop: Header=BB51_149 Depth=1
	v_lshl_add_u64 v[16:17], v[218:219], 0, v[8:9]
	global_load_dword v23, v[16:17], off
	v_lshl_add_u64 v[16:17], v[220:221], 0, v[8:9]
	global_load_dword v18, v[16:17], off
.LBB51_178:                             ;   in Loop: Header=BB51_149 Depth=1
	s_or_b64 exec, exec, s[18:19]
	v_lshl_add_u64 v[16:17], v[14:15], 0, 12
	v_cmp_gt_i64_e32 vcc, s[12:13], v[16:17]
	v_mov_b32_e32 v30, 0
	s_and_saveexec_b64 s[18:19], vcc
	s_cbranch_execz .LBB51_180
; %bb.179:                              ;   in Loop: Header=BB51_149 Depth=1
	v_lshl_add_u64 v[16:17], v[214:215], 0, v[8:9]
	global_load_dword v19, v[16:17], off
	v_lshl_add_u64 v[16:17], v[216:217], 0, v[8:9]
	global_load_dword v30, v[16:17], off
.LBB51_180:                             ;   in Loop: Header=BB51_149 Depth=1
	s_or_b64 exec, exec, s[18:19]
	v_lshl_add_u64 v[16:17], v[14:15], 0, 13
	v_cmp_gt_i64_e32 vcc, s[12:13], v[16:17]
	v_mov_b32_e32 v27, 0
	v_mov_b32_e32 v31, 0
	v_mov_b32_e32 v26, 0
	s_and_saveexec_b64 s[18:19], vcc
	s_cbranch_execz .LBB51_182
; %bb.181:                              ;   in Loop: Header=BB51_149 Depth=1
	v_lshl_add_u64 v[16:17], v[210:211], 0, v[8:9]
	global_load_dword v31, v[16:17], off
	v_lshl_add_u64 v[16:17], v[212:213], 0, v[8:9]
	global_load_dword v26, v[16:17], off
.LBB51_182:                             ;   in Loop: Header=BB51_149 Depth=1
	s_or_b64 exec, exec, s[18:19]
	v_lshl_add_u64 v[16:17], v[14:15], 0, 14
	v_cmp_gt_i64_e32 vcc, s[12:13], v[16:17]
	v_mov_b32_e32 v38, 0
	s_and_saveexec_b64 s[18:19], vcc
	s_cbranch_execz .LBB51_184
; %bb.183:                              ;   in Loop: Header=BB51_149 Depth=1
	v_lshl_add_u64 v[16:17], v[206:207], 0, v[8:9]
	global_load_dword v27, v[16:17], off
	v_lshl_add_u64 v[16:17], v[208:209], 0, v[8:9]
	global_load_dword v38, v[16:17], off
.LBB51_184:                             ;   in Loop: Header=BB51_149 Depth=1
	;; [unrolled: 26-line block ×5, first 2 shown]
	s_or_b64 exec, exec, s[18:19]
	v_lshl_add_u64 v[16:17], v[14:15], 0, 21
	v_cmp_gt_i64_e32 vcc, s[12:13], v[16:17]
	v_mov_b32_e32 v17, 0
	v_mov_b32_e32 v65, 0
	;; [unrolled: 1-line block ×3, first 2 shown]
	s_and_saveexec_b64 s[18:19], vcc
	s_cbranch_execz .LBB51_198
; %bb.197:                              ;   in Loop: Header=BB51_149 Depth=1
	v_lshl_add_u64 v[20:21], v[178:179], 0, v[8:9]
	global_load_dword v65, v[20:21], off
	v_lshl_add_u64 v[20:21], v[180:181], 0, v[8:9]
	global_load_dword v24, v[20:21], off
.LBB51_198:                             ;   in Loop: Header=BB51_149 Depth=1
	s_or_b64 exec, exec, s[18:19]
	v_lshl_add_u64 v[20:21], v[14:15], 0, 22
	v_cmp_gt_i64_e32 vcc, s[12:13], v[20:21]
	v_mov_b32_e32 v16, 0
	s_and_saveexec_b64 s[18:19], vcc
	s_cbranch_execz .LBB51_200
; %bb.199:                              ;   in Loop: Header=BB51_149 Depth=1
	v_lshl_add_u64 v[16:17], v[174:175], 0, v[8:9]
	v_lshl_add_u64 v[20:21], v[176:177], 0, v[8:9]
	global_load_dword v17, v[16:17], off
	s_nop 0
	global_load_dword v16, v[20:21], off
.LBB51_200:                             ;   in Loop: Header=BB51_149 Depth=1
	s_or_b64 exec, exec, s[18:19]
	v_lshl_add_u64 v[20:21], v[14:15], 0, 23
	v_cmp_gt_i64_e32 vcc, s[12:13], v[20:21]
	v_mov_b32_e32 v21, 0
	v_mov_b32_e32 v25, 0
	v_mov_b32_e32 v20, 0
	s_and_saveexec_b64 s[18:19], vcc
	s_cbranch_execz .LBB51_202
; %bb.201:                              ;   in Loop: Header=BB51_149 Depth=1
	v_lshl_add_u64 v[28:29], v[170:171], 0, v[8:9]
	global_load_dword v25, v[28:29], off
	v_lshl_add_u64 v[28:29], v[172:173], 0, v[8:9]
	global_load_dword v20, v[28:29], off
.LBB51_202:                             ;   in Loop: Header=BB51_149 Depth=1
	s_or_b64 exec, exec, s[18:19]
	v_lshl_add_u64 v[28:29], v[14:15], 0, 24
	v_cmp_gt_i64_e32 vcc, s[12:13], v[28:29]
	v_mov_b32_e32 v32, 0
	s_and_saveexec_b64 s[18:19], vcc
	s_cbranch_execz .LBB51_204
; %bb.203:                              ;   in Loop: Header=BB51_149 Depth=1
	v_lshl_add_u64 v[28:29], v[166:167], 0, v[8:9]
	global_load_dword v21, v[28:29], off
	v_lshl_add_u64 v[28:29], v[168:169], 0, v[8:9]
	global_load_dword v32, v[28:29], off
.LBB51_204:                             ;   in Loop: Header=BB51_149 Depth=1
	s_or_b64 exec, exec, s[18:19]
	v_lshl_add_u64 v[28:29], v[14:15], 0, 25
	v_cmp_gt_i64_e32 vcc, s[12:13], v[28:29]
	v_mov_b32_e32 v29, 0
	v_mov_b32_e32 v33, 0
	v_mov_b32_e32 v28, 0
	s_and_saveexec_b64 s[18:19], vcc
	s_cbranch_execz .LBB51_206
; %bb.205:                              ;   in Loop: Header=BB51_149 Depth=1
	v_lshl_add_u64 v[40:41], v[162:163], 0, v[8:9]
	global_load_dword v33, v[40:41], off
	v_lshl_add_u64 v[40:41], v[164:165], 0, v[8:9]
	global_load_dword v28, v[40:41], off
.LBB51_206:                             ;   in Loop: Header=BB51_149 Depth=1
	s_or_b64 exec, exec, s[18:19]
	v_lshl_add_u64 v[40:41], v[14:15], 0, 26
	v_cmp_gt_i64_e32 vcc, s[12:13], v[40:41]
	v_mov_b32_e32 v42, 0
	s_and_saveexec_b64 s[18:19], vcc
	s_cbranch_execz .LBB51_208
; %bb.207:                              ;   in Loop: Header=BB51_149 Depth=1
	v_lshl_add_u64 v[40:41], v[158:159], 0, v[8:9]
	global_load_dword v29, v[40:41], off
	v_lshl_add_u64 v[40:41], v[160:161], 0, v[8:9]
	global_load_dword v42, v[40:41], off
.LBB51_208:                             ;   in Loop: Header=BB51_149 Depth=1
	;; [unrolled: 26-line block ×3, first 2 shown]
	s_or_b64 exec, exec, s[18:19]
	v_lshl_add_u64 v[52:53], v[14:15], 0, 29
	v_cmp_gt_i64_e32 vcc, s[12:13], v[52:53]
	v_mov_b32_e32 v45, 0
	v_mov_b32_e32 v53, 0
	;; [unrolled: 1-line block ×3, first 2 shown]
	s_and_saveexec_b64 s[18:19], vcc
	s_cbranch_execz .LBB51_214
; %bb.213:                              ;   in Loop: Header=BB51_149 Depth=1
	v_lshl_add_u64 v[52:53], v[146:147], 0, v[8:9]
	v_lshl_add_u64 v[78:79], v[148:149], 0, v[8:9]
	global_load_dword v53, v[52:53], off
	s_nop 0
	global_load_dword v52, v[78:79], off
.LBB51_214:                             ;   in Loop: Header=BB51_149 Depth=1
	s_or_b64 exec, exec, s[18:19]
	v_lshl_add_u64 v[78:79], v[14:15], 0, 30
	v_cmp_gt_i64_e32 vcc, s[12:13], v[78:79]
	v_mov_b32_e32 v80, 0
	s_and_saveexec_b64 s[18:19], vcc
	s_cbranch_execz .LBB51_216
; %bb.215:                              ;   in Loop: Header=BB51_149 Depth=1
	v_lshl_add_u64 v[78:79], v[142:143], 0, v[8:9]
	global_load_dword v45, v[78:79], off
	v_lshl_add_u64 v[78:79], v[144:145], 0, v[8:9]
	global_load_dword v80, v[78:79], off
.LBB51_216:                             ;   in Loop: Header=BB51_149 Depth=1
	s_or_b64 exec, exec, s[18:19]
	v_lshl_add_u64 v[78:79], v[14:15], 0, 31
	v_cmp_gt_i64_e32 vcc, s[12:13], v[78:79]
	v_mov_b32_e32 v13, 0
	v_mov_b32_e32 v79, 0
	s_and_saveexec_b64 s[18:19], vcc
	s_cbranch_execz .LBB51_218
; %bb.217:                              ;   in Loop: Header=BB51_149 Depth=1
	v_lshl_add_u64 v[78:79], v[138:139], 0, v[8:9]
	global_load_dword v13, v[78:79], off
	v_lshl_add_u64 v[78:79], v[140:141], 0, v[8:9]
	global_load_dword v79, v[78:79], off
.LBB51_218:                             ;   in Loop: Header=BB51_149 Depth=1
	s_or_b64 exec, exec, s[18:19]
	s_waitcnt vmcnt(1)
	ds_bpermute_b32 v78, v76, v12
	s_waitcnt vmcnt(0)
	ds_bpermute_b32 v72, v76, v77
	s_waitcnt lgkmcnt(1)
	v_sub_f32_e32 v34, v34, v78
	ds_bpermute_b32 v78, v76, v12 offset:4
	v_mul_f32_e32 v34, v35, v34
	s_waitcnt lgkmcnt(1)
	v_mul_f32_e32 v34, v34, v72
	ds_bpermute_b32 v72, v76, v77 offset:4
	v_pk_add_f32 v[34:35], v[2:3], v[34:35]
	s_waitcnt lgkmcnt(1)
	v_sub_f32_e32 v54, v54, v78
	ds_bpermute_b32 v78, v76, v12 offset:8
	v_mul_f32_e32 v54, v55, v54
	s_waitcnt lgkmcnt(1)
	v_mul_f32_e32 v54, v54, v72
	ds_bpermute_b32 v72, v76, v77 offset:8
	v_pk_add_f32 v[34:35], v[34:35], v[54:55]
	;; [unrolled: 8-line block ×10, first 2 shown]
	s_waitcnt lgkmcnt(1)
	v_sub_f32_e32 v6, v6, v78
	v_mul_f32_e32 v6, v7, v6
	s_waitcnt lgkmcnt(0)
	v_mul_f32_e32 v6, v6, v22
	v_pk_add_f32 v[6:7], v[34:35], v[6:7]
	ds_bpermute_b32 v34, v76, v12 offset:44
	ds_bpermute_b32 v22, v76, v77 offset:44
	;; [unrolled: 1-line block ×3, first 2 shown]
	s_waitcnt lgkmcnt(2)
	v_sub_f32_e32 v18, v18, v34
	ds_bpermute_b32 v34, v76, v12 offset:48
	v_mul_f32_e32 v18, v23, v18
	s_waitcnt lgkmcnt(2)
	v_mul_f32_e32 v22, v18, v22
	ds_bpermute_b32 v18, v76, v77 offset:48
	s_waitcnt lgkmcnt(2)
	v_sub_f32_e32 v35, v36, v35
	s_waitcnt lgkmcnt(1)
	v_sub_f32_e32 v30, v30, v34
	ds_bpermute_b32 v34, v76, v12 offset:52
	v_mul_f32_e32 v30, v19, v30
	s_waitcnt lgkmcnt(1)
	v_mul_f32_e32 v18, v30, v18
	ds_bpermute_b32 v30, v76, v77 offset:52
	v_mul_f32_e32 v35, v39, v35
	s_waitcnt lgkmcnt(1)
	v_sub_f32_e32 v26, v26, v34
	ds_bpermute_b32 v34, v76, v12 offset:56
	v_mul_f32_e32 v26, v31, v26
	s_waitcnt lgkmcnt(1)
	v_mul_f32_e32 v30, v26, v30
	ds_bpermute_b32 v26, v76, v77 offset:56
	v_pk_add_f32 v[6:7], v[6:7], v[22:23]
	s_waitcnt lgkmcnt(1)
	v_sub_f32_e32 v34, v38, v34
	v_mul_f32_e32 v34, v27, v34
	v_pk_add_f32 v[6:7], v[6:7], v[18:19]
	s_waitcnt lgkmcnt(0)
	v_mul_f32_e32 v26, v34, v26
	ds_bpermute_b32 v34, v76, v77 offset:60
	ds_bpermute_b32 v19, v76, v12 offset:88
	;; [unrolled: 1-line block ×3, first 2 shown]
	v_pk_add_f32 v[6:7], v[6:7], v[30:31]
	s_waitcnt lgkmcnt(2)
	v_mul_f32_e32 v38, v35, v34
	ds_bpermute_b32 v35, v76, v12 offset:64
	ds_bpermute_b32 v34, v76, v77 offset:64
	s_waitcnt lgkmcnt(3)
	v_sub_f32_e32 v16, v16, v19
	ds_bpermute_b32 v19, v76, v12 offset:92
	v_mul_f32_e32 v16, v17, v16
	s_waitcnt lgkmcnt(2)
	v_sub_f32_e32 v35, v48, v35
	v_mul_f32_e32 v35, v37, v35
	s_waitcnt lgkmcnt(1)
	v_mul_f32_e32 v36, v35, v34
	ds_bpermute_b32 v35, v76, v12 offset:68
	ds_bpermute_b32 v34, v76, v77 offset:68
	v_mul_f32_e32 v16, v16, v18
	ds_bpermute_b32 v18, v76, v77 offset:92
	s_waitcnt lgkmcnt(3)
	v_sub_f32_e32 v19, v20, v19
	s_waitcnt lgkmcnt(2)
	v_sub_f32_e32 v35, v46, v35
	v_mul_f32_e32 v35, v49, v35
	s_waitcnt lgkmcnt(1)
	v_mul_f32_e32 v48, v35, v34
	ds_bpermute_b32 v35, v76, v12 offset:72
	ds_bpermute_b32 v34, v76, v77 offset:72
	v_mul_f32_e32 v19, v25, v19
	v_pk_add_f32 v[6:7], v[6:7], v[26:27]
	s_waitcnt lgkmcnt(1)
	v_sub_f32_e32 v35, v58, v35
	v_mul_f32_e32 v35, v47, v35
	s_waitcnt lgkmcnt(0)
	v_mul_f32_e32 v46, v35, v34
	ds_bpermute_b32 v35, v76, v12 offset:76
	ds_bpermute_b32 v34, v76, v77 offset:76
	v_pk_add_f32 v[6:7], v[6:7], v[38:39]
	s_waitcnt lgkmcnt(1)
	v_sub_f32_e32 v35, v56, v35
	v_mul_f32_e32 v35, v59, v35
	s_waitcnt lgkmcnt(0)
	v_mul_f32_e32 v58, v35, v34
	ds_bpermute_b32 v35, v76, v12 offset:80
	ds_bpermute_b32 v34, v76, v77 offset:80
	;; [unrolled: 8-line block ×3, first 2 shown]
	v_pk_add_f32 v[6:7], v[6:7], v[48:49]
	s_waitcnt lgkmcnt(1)
	v_sub_f32_e32 v24, v24, v35
	v_mul_f32_e32 v24, v65, v24
	s_waitcnt lgkmcnt(0)
	v_mul_f32_e32 v64, v24, v34
	v_mul_f32_e32 v24, v19, v18
	ds_bpermute_b32 v19, v76, v12 offset:96
	ds_bpermute_b32 v18, v76, v77 offset:96
	v_pk_add_f32 v[6:7], v[6:7], v[46:47]
	s_waitcnt lgkmcnt(1)
	v_sub_f32_e32 v19, v32, v19
	v_mul_f32_e32 v19, v21, v19
	s_waitcnt lgkmcnt(0)
	v_mul_f32_e32 v20, v19, v18
	ds_bpermute_b32 v19, v76, v12 offset:100
	ds_bpermute_b32 v18, v76, v77 offset:100
	v_pk_add_f32 v[6:7], v[6:7], v[58:59]
	s_waitcnt lgkmcnt(1)
	v_sub_f32_e32 v19, v28, v19
	v_mul_f32_e32 v19, v33, v19
	s_waitcnt lgkmcnt(0)
	;; [unrolled: 8-line block ×4, first 2 shown]
	v_mul_f32_e32 v42, v19, v18
	ds_bpermute_b32 v19, v76, v12 offset:112
	ds_bpermute_b32 v18, v76, v77 offset:112
	v_pk_add_f32 v[6:7], v[6:7], v[16:17]
	ds_bpermute_b32 v17, v76, v12 offset:120
	ds_bpermute_b32 v16, v76, v77 offset:120
	s_waitcnt lgkmcnt(3)
	v_sub_f32_e32 v19, v44, v19
	v_mul_f32_e32 v19, v41, v19
	s_waitcnt lgkmcnt(2)
	v_mul_f32_e32 v40, v19, v18
	ds_bpermute_b32 v19, v76, v12 offset:116
	ds_bpermute_b32 v18, v76, v77 offset:116
	v_pk_add_f32 v[6:7], v[6:7], v[24:25]
	s_waitcnt lgkmcnt(3)
	v_sub_f32_e32 v17, v80, v17
	v_pk_add_f32 v[6:7], v[6:7], v[20:21]
	v_mul_f32_e32 v17, v45, v17
	v_pk_add_f32 v[6:7], v[6:7], v[32:33]
	s_waitcnt lgkmcnt(1)
	v_sub_f32_e32 v19, v52, v19
	v_pk_add_f32 v[6:7], v[6:7], v[28:29]
	v_mul_f32_e32 v44, v17, v16
	ds_bpermute_b32 v16, v76, v77 offset:124
	ds_bpermute_b32 v12, v76, v12 offset:124
	v_mul_f32_e32 v19, v53, v19
	v_pk_add_f32 v[6:7], v[6:7], v[42:43]
	s_waitcnt lgkmcnt(2)
	v_mul_f32_e32 v52, v19, v18
	v_pk_add_f32 v[6:7], v[6:7], v[40:41]
	s_nop 0
	v_pk_add_f32 v[6:7], v[6:7], v[52:53]
	s_nop 0
	v_pk_add_f32 v[6:7], v[6:7], v[44:45]
	s_branch .LBB51_225
.LBB51_219:                             ;   in Loop: Header=BB51_149 Depth=1
                                        ; implicit-def: $vgpr6_vgpr7
                                        ; implicit-def: $vgpr16
                                        ; implicit-def: $vgpr13
                                        ; implicit-def: $vgpr79
                                        ; implicit-def: $vgpr12
	s_cbranch_execz .LBB51_225
; %bb.220:                              ;   in Loop: Header=BB51_149 Depth=1
	s_load_dword s3, s[4:5], 0x0
	v_accvgpr_read_b32 v17, a3
	v_accvgpr_read_b32 v7, a0
	s_waitcnt lgkmcnt(0)
	v_mov_b32_e32 v12, 0
	v_mov_b32_e32 v74, 0
	s_cmp_lt_u32 s2, s3
	s_cselect_b32 s3, 12, 18
	s_add_u32 s18, s4, s3
	s_addc_u32 s19, s5, 0
	global_load_ushort v6, v17, s[18:19]
	s_waitcnt vmcnt(0)
	v_mad_u32_u24 v6, v81, v6, v7
	v_and_b32_e32 v16, 63, v6
	v_accvgpr_write_b32 a2, v16
	v_accvgpr_write_b32 a3, v17
	v_cmp_gt_u32_e32 vcc, 32, v16
	s_and_saveexec_b64 s[18:19], vcc
	s_cbranch_execz .LBB51_224
; %bb.221:                              ;   in Loop: Header=BB51_149 Depth=1
	v_accvgpr_read_b32 v7, a3
	v_accvgpr_read_b32 v6, a2
	v_lshl_add_u64 v[6:7], v[14:15], 0, v[6:7]
	v_cmp_gt_i64_e32 vcc, s[12:13], v[6:7]
	v_mov_b32_e32 v74, 0
	v_mov_b32_e32 v12, 0
	s_and_saveexec_b64 s[28:29], vcc
	s_cbranch_execz .LBB51_223
; %bb.222:                              ;   in Loop: Header=BB51_149 Depth=1
	v_lshlrev_b64 v[6:7], 2, v[6:7]
	v_lshl_add_u64 v[12:13], s[22:23], 0, v[6:7]
	v_lshl_add_u64 v[6:7], s[20:21], 0, v[6:7]
	global_load_dword v74, v[6:7], off
	s_nop 0
	global_load_dword v12, v[12:13], off
.LBB51_223:                             ;   in Loop: Header=BB51_149 Depth=1
	s_or_b64 exec, exec, s[28:29]
.LBB51_224:                             ;   in Loop: Header=BB51_149 Depth=1
	s_or_b64 exec, exec, s[18:19]
	v_accvgpr_read_b32 v6, a68
	v_accvgpr_read_b32 v7, a69
	v_lshl_add_u64 v[6:7], v[6:7], 0, v[8:9]
	global_load_dword v53, v[6:7], off
	v_lshl_add_u64 v[6:7], v[136:137], 0, v[8:9]
	global_load_dword v32, v[6:7], off
	v_accvgpr_read_b32 v6, a6
	v_accvgpr_read_b32 v7, a7
	v_lshl_add_u64 v[6:7], v[6:7], 0, v[8:9]
	global_load_dword v55, v[6:7], off
	v_accvgpr_read_b32 v6, a70
	v_accvgpr_read_b32 v7, a71
	;; [unrolled: 4-line block ×9, first 2 shown]
	v_lshl_add_u64 v[6:7], v[6:7], 0, v[8:9]
	global_load_dword v63, v[6:7], off
	v_lshl_add_u64 v[6:7], v[82:83], 0, v[8:9]
	global_load_dword v62, v[6:7], off
	v_accvgpr_read_b32 v6, a16
	v_accvgpr_read_b32 v7, a17
	v_lshl_add_u64 v[6:7], v[6:7], 0, v[8:9]
	global_load_dword v65, v[6:7], off
	v_lshl_add_u64 v[6:7], v[84:85], 0, v[8:9]
	global_load_dword v64, v[6:7], off
	v_accvgpr_read_b32 v6, a18
	v_accvgpr_read_b32 v7, a19
	;; [unrolled: 6-line block ×6, first 2 shown]
	v_lshl_add_u64 v[6:7], v[6:7], 0, v[8:9]
	v_lshl_add_u64 v[14:15], v[94:95], 0, v[8:9]
	global_load_dword v7, v[6:7], off
	s_waitcnt vmcnt(24)
	ds_bpermute_b32 v54, v76, v74
	global_load_dword v6, v[14:15], off
	v_accvgpr_read_b32 v14, a28
	v_accvgpr_read_b32 v15, a29
	v_lshl_add_u64 v[14:15], v[14:15], 0, v[8:9]
	global_load_dword v33, v[14:15], off
	v_lshl_add_u64 v[14:15], v[96:97], 0, v[8:9]
	global_load_dword v75, v[14:15], off
	v_accvgpr_read_b32 v14, a30
	v_accvgpr_read_b32 v15, a31
	v_lshl_add_u64 v[14:15], v[14:15], 0, v[8:9]
	global_load_dword v35, v[14:15], off
	v_lshl_add_u64 v[14:15], v[98:99], 0, v[8:9]
	;; [unrolled: 6-line block ×9, first 2 shown]
	global_load_dword v48, v[14:15], off
	v_accvgpr_read_b32 v14, a46
	v_accvgpr_read_b32 v15, a47
	v_lshl_add_u64 v[14:15], v[14:15], 0, v[8:9]
	s_waitcnt vmcnt(42)
	ds_bpermute_b32 v52, v76, v12
	global_load_dword v51, v[14:15], off
	v_lshl_add_u64 v[14:15], v[114:115], 0, v[8:9]
	global_load_dword v50, v[14:15], off
	v_accvgpr_read_b32 v14, a48
	v_accvgpr_read_b32 v15, a49
	s_waitcnt vmcnt(42) lgkmcnt(1)
	v_sub_f32_e32 v32, v32, v54
	ds_bpermute_b32 v54, v76, v74 offset:4
	v_lshl_add_u64 v[14:15], v[14:15], 0, v[8:9]
	v_mul_f32_e32 v32, v53, v32
	global_load_dword v17, v[14:15], off
	v_lshl_add_u64 v[14:15], v[116:117], 0, v[8:9]
	s_waitcnt lgkmcnt(1)
	v_mul_f32_e32 v52, v32, v52
	ds_bpermute_b32 v32, v76, v12 offset:4
	global_load_dword v16, v[14:15], off
	s_waitcnt vmcnt(42) lgkmcnt(1)
	v_sub_f32_e32 v34, v34, v54
	v_accvgpr_read_b32 v14, a50
	v_mul_f32_e32 v34, v55, v34
	v_accvgpr_read_b32 v15, a51
	s_waitcnt lgkmcnt(0)
	v_mul_f32_e32 v54, v34, v32
	ds_bpermute_b32 v34, v76, v74 offset:8
	v_lshl_add_u64 v[14:15], v[14:15], 0, v[8:9]
	global_load_dword v19, v[14:15], off
	v_lshl_add_u64 v[14:15], v[118:119], 0, v[8:9]
	ds_bpermute_b32 v32, v76, v12 offset:8
	global_load_dword v18, v[14:15], off
	s_waitcnt vmcnt(42) lgkmcnt(1)
	v_sub_f32_e32 v34, v36, v34
	v_accvgpr_read_b32 v14, a52
	v_mul_f32_e32 v34, v57, v34
	v_accvgpr_read_b32 v15, a53
	s_waitcnt lgkmcnt(0)
	v_mul_f32_e32 v56, v34, v32
	ds_bpermute_b32 v34, v76, v74 offset:12
	v_lshl_add_u64 v[14:15], v[14:15], 0, v[8:9]
	global_load_dword v21, v[14:15], off
	v_lshl_add_u64 v[14:15], v[120:121], 0, v[8:9]
	;; [unrolled: 13-line block ×7, first 2 shown]
	ds_bpermute_b32 v32, v76, v12 offset:32
	global_load_dword v30, v[14:15], off
	s_waitcnt vmcnt(42) lgkmcnt(1)
	v_sub_f32_e32 v34, v68, v34
	v_mul_f32_e32 v34, v69, v34
	v_accvgpr_read_b32 v14, a64
	s_waitcnt lgkmcnt(0)
	v_mul_f32_e32 v68, v34, v32
	ds_bpermute_b32 v34, v76, v74 offset:36
	v_accvgpr_read_b32 v15, a65
	v_lshl_add_u64 v[14:15], v[14:15], 0, v[8:9]
	v_lshl_add_u64 v[78:79], v[132:133], 0, v[8:9]
	ds_bpermute_b32 v32, v76, v12 offset:36
	global_load_dword v15, v[14:15], off
	s_waitcnt vmcnt(41) lgkmcnt(1)
	v_sub_f32_e32 v34, v70, v34
	global_load_dword v14, v[78:79], off
	v_accvgpr_read_b32 v79, a67
	v_accvgpr_read_b32 v78, a66
	v_lshl_add_u64 v[78:79], v[78:79], 0, v[8:9]
	global_load_dword v13, v[78:79], off
	v_lshl_add_u64 v[78:79], v[134:135], 0, v[8:9]
	v_mul_f32_e32 v34, v71, v34
	global_load_dword v79, v[78:79], off
	s_waitcnt lgkmcnt(0)
	v_mul_f32_e32 v70, v34, v32
	ds_bpermute_b32 v34, v76, v74 offset:40
	ds_bpermute_b32 v32, v76, v12 offset:40
	v_pk_add_f32 v[2:3], v[2:3], v[52:53]
	ds_bpermute_b32 v36, v76, v74 offset:52
	v_pk_add_f32 v[2:3], v[2:3], v[54:55]
	s_waitcnt vmcnt(42) lgkmcnt(2)
	v_sub_f32_e32 v34, v72, v34
	v_mul_f32_e32 v34, v73, v34
	v_pk_add_f32 v[2:3], v[2:3], v[56:57]
	s_waitcnt lgkmcnt(1)
	v_mul_f32_e32 v72, v34, v32
	v_pk_add_f32 v[2:3], v[2:3], v[58:59]
	ds_bpermute_b32 v34, v76, v74 offset:44
	v_pk_add_f32 v[2:3], v[2:3], v[60:61]
	ds_bpermute_b32 v32, v76, v12 offset:44
	v_pk_add_f32 v[2:3], v[2:3], v[62:63]
	s_waitcnt vmcnt(36) lgkmcnt(2)
	v_sub_f32_e32 v36, v77, v36
	v_pk_add_f32 v[2:3], v[2:3], v[64:65]
	s_waitcnt lgkmcnt(1)
	v_sub_f32_e32 v6, v6, v34
	v_pk_add_f32 v[2:3], v[2:3], v[66:67]
	v_mul_f32_e32 v6, v7, v6
	v_pk_add_f32 v[2:3], v[2:3], v[68:69]
	s_waitcnt lgkmcnt(0)
	v_mul_f32_e32 v6, v6, v32
	v_pk_add_f32 v[2:3], v[2:3], v[70:71]
	ds_bpermute_b32 v34, v76, v74 offset:48
	v_pk_add_f32 v[2:3], v[2:3], v[72:73]
	ds_bpermute_b32 v32, v76, v12 offset:48
	;; [unrolled: 2-line block ×3, first 2 shown]
	ds_bpermute_b32 v6, v76, v12 offset:88
	s_waitcnt lgkmcnt(3)
	v_sub_f32_e32 v34, v75, v34
	v_mul_f32_e32 v34, v33, v34
	s_waitcnt lgkmcnt(2)
	v_mul_f32_e32 v32, v34, v32
	s_waitcnt vmcnt(18) lgkmcnt(1)
	v_sub_f32_e32 v7, v16, v7
	v_mul_f32_e32 v7, v17, v7
	s_waitcnt lgkmcnt(0)
	v_mul_f32_e32 v16, v7, v6
	ds_bpermute_b32 v7, v76, v74 offset:92
	ds_bpermute_b32 v34, v76, v12 offset:52
	;; [unrolled: 1-line block ×4, first 2 shown]
	v_mul_f32_e32 v36, v35, v36
	s_waitcnt vmcnt(16) lgkmcnt(3)
	v_sub_f32_e32 v7, v18, v7
	v_mul_f32_e32 v7, v19, v7
	s_waitcnt lgkmcnt(2)
	v_mul_f32_e32 v34, v36, v34
	ds_bpermute_b32 v36, v76, v12 offset:56
	s_waitcnt lgkmcnt(2)
	v_mul_f32_e32 v18, v7, v6
	ds_bpermute_b32 v7, v76, v74 offset:96
	ds_bpermute_b32 v6, v76, v12 offset:96
	s_waitcnt lgkmcnt(3)
	v_sub_f32_e32 v52, v80, v52
	ds_bpermute_b32 v53, v76, v74 offset:60
	v_mul_f32_e32 v52, v37, v52
	s_waitcnt lgkmcnt(3)
	v_mul_f32_e32 v36, v52, v36
	ds_bpermute_b32 v52, v76, v12 offset:60
	s_waitcnt vmcnt(14) lgkmcnt(3)
	v_sub_f32_e32 v7, v20, v7
	v_mul_f32_e32 v7, v21, v7
	s_waitcnt lgkmcnt(2)
	v_mul_f32_e32 v20, v7, v6
	ds_bpermute_b32 v7, v76, v74 offset:100
	s_waitcnt lgkmcnt(2)
	v_sub_f32_e32 v38, v38, v53
	ds_bpermute_b32 v53, v76, v74 offset:64
	v_mul_f32_e32 v38, v39, v38
	ds_bpermute_b32 v6, v76, v12 offset:100
	s_waitcnt lgkmcnt(3)
	v_mul_f32_e32 v38, v38, v52
	ds_bpermute_b32 v52, v76, v12 offset:64
	s_waitcnt vmcnt(12) lgkmcnt(3)
	v_sub_f32_e32 v7, v22, v7
	s_waitcnt lgkmcnt(2)
	v_sub_f32_e32 v40, v40, v53
	ds_bpermute_b32 v53, v76, v74 offset:68
	v_mul_f32_e32 v7, v23, v7
	v_mul_f32_e32 v40, v41, v40
	s_waitcnt lgkmcnt(2)
	v_mul_f32_e32 v22, v7, v6
	ds_bpermute_b32 v7, v76, v74 offset:104
	s_waitcnt lgkmcnt(2)
	v_mul_f32_e32 v40, v40, v52
	ds_bpermute_b32 v52, v76, v12 offset:68
	ds_bpermute_b32 v6, v76, v12 offset:104
	s_waitcnt lgkmcnt(3)
	v_sub_f32_e32 v42, v42, v53
	ds_bpermute_b32 v53, v76, v74 offset:72
	v_mul_f32_e32 v42, v43, v42
	s_waitcnt vmcnt(10) lgkmcnt(3)
	v_sub_f32_e32 v7, v24, v7
	s_waitcnt lgkmcnt(2)
	v_mul_f32_e32 v42, v42, v52
	ds_bpermute_b32 v52, v76, v12 offset:72
	v_mul_f32_e32 v7, v25, v7
	s_waitcnt lgkmcnt(2)
	v_mul_f32_e32 v24, v7, v6
	ds_bpermute_b32 v7, v76, v74 offset:108
	s_waitcnt lgkmcnt(2)
	v_sub_f32_e32 v44, v44, v53
	ds_bpermute_b32 v53, v76, v74 offset:76
	ds_bpermute_b32 v6, v76, v12 offset:108
	v_mul_f32_e32 v44, v45, v44
	s_waitcnt lgkmcnt(3)
	v_mul_f32_e32 v44, v44, v52
	ds_bpermute_b32 v52, v76, v12 offset:76
	s_waitcnt vmcnt(8) lgkmcnt(3)
	v_sub_f32_e32 v7, v26, v7
	v_mul_f32_e32 v7, v27, v7
	s_waitcnt lgkmcnt(2)
	v_sub_f32_e32 v46, v46, v53
	ds_bpermute_b32 v53, v76, v74 offset:80
	s_waitcnt lgkmcnt(2)
	v_mul_f32_e32 v26, v7, v6
	ds_bpermute_b32 v7, v76, v74 offset:112
	v_mul_f32_e32 v46, v47, v46
	s_waitcnt lgkmcnt(2)
	v_mul_f32_e32 v46, v46, v52
	ds_bpermute_b32 v52, v76, v12 offset:80
	ds_bpermute_b32 v6, v76, v12 offset:112
	v_pk_add_f32 v[2:3], v[2:3], v[32:33]
	s_waitcnt lgkmcnt(3)
	v_sub_f32_e32 v48, v48, v53
	ds_bpermute_b32 v53, v76, v74 offset:84
	v_pk_add_f32 v[2:3], v[2:3], v[34:35]
	s_waitcnt vmcnt(6) lgkmcnt(3)
	v_sub_f32_e32 v7, v28, v7
	v_mul_f32_e32 v48, v49, v48
	v_pk_add_f32 v[2:3], v[2:3], v[36:37]
	v_mul_f32_e32 v7, v29, v7
	s_waitcnt lgkmcnt(2)
	v_mul_f32_e32 v48, v48, v52
	ds_bpermute_b32 v52, v76, v12 offset:84
	v_pk_add_f32 v[2:3], v[2:3], v[38:39]
	s_waitcnt lgkmcnt(2)
	v_mul_f32_e32 v28, v7, v6
	ds_bpermute_b32 v7, v76, v74 offset:116
	v_pk_add_f32 v[2:3], v[2:3], v[40:41]
	ds_bpermute_b32 v6, v76, v12 offset:116
	v_pk_add_f32 v[2:3], v[2:3], v[42:43]
	s_waitcnt lgkmcnt(3)
	v_sub_f32_e32 v50, v50, v53
	v_pk_add_f32 v[2:3], v[2:3], v[44:45]
	v_mul_f32_e32 v50, v51, v50
	v_pk_add_f32 v[2:3], v[2:3], v[46:47]
	s_waitcnt lgkmcnt(2)
	v_mul_f32_e32 v50, v50, v52
	v_pk_add_f32 v[2:3], v[2:3], v[48:49]
	s_waitcnt vmcnt(4) lgkmcnt(1)
	v_sub_f32_e32 v7, v30, v7
	v_pk_add_f32 v[2:3], v[2:3], v[50:51]
	v_mul_f32_e32 v7, v31, v7
	s_waitcnt lgkmcnt(0)
	v_mul_f32_e32 v30, v7, v6
	v_pk_add_f32 v[2:3], v[2:3], v[16:17]
	ds_bpermute_b32 v7, v76, v74 offset:120
	v_pk_add_f32 v[2:3], v[2:3], v[18:19]
	ds_bpermute_b32 v6, v76, v12 offset:120
	;; [unrolled: 2-line block ×3, first 2 shown]
	v_pk_add_f32 v[2:3], v[2:3], v[22:23]
	s_waitcnt vmcnt(2) lgkmcnt(2)
	v_sub_f32_e32 v7, v14, v7
	v_pk_add_f32 v[2:3], v[2:3], v[24:25]
	v_mul_f32_e32 v7, v15, v7
	v_pk_add_f32 v[2:3], v[2:3], v[26:27]
	s_waitcnt lgkmcnt(1)
	v_mul_f32_e32 v14, v7, v6
	v_pk_add_f32 v[2:3], v[2:3], v[28:29]
	ds_bpermute_b32 v12, v76, v74 offset:124
	v_pk_add_f32 v[2:3], v[2:3], v[30:31]
	s_nop 0
	v_pk_add_f32 v[6:7], v[2:3], v[14:15]
.LBB51_225:                             ;   in Loop: Header=BB51_149 Depth=1
	s_waitcnt vmcnt(0) lgkmcnt(0)
	v_sub_f32_e32 v2, v79, v12
	v_mul_f32_e32 v2, v13, v2
	v_mul_f32_e32 v12, v2, v16
	s_add_u32 s16, s16, s6
	v_pk_add_f32 v[2:3], v[6:7], v[12:13]
	s_addc_u32 s17, s17, 0
	v_mov_b64_e32 v[6:7], s[12:13]
	v_cmp_ge_i64_e32 vcc, s[16:17], v[6:7]
	v_accvgpr_read_b32 v6, a6
	v_accvgpr_read_b32 v7, a7
	v_lshl_add_u64 v[6:7], v[6:7], 0, s[24:25]
	v_accvgpr_write_b32 a6, v6
	v_accvgpr_write_b32 a7, v7
	v_accvgpr_read_b32 v6, a8
	v_accvgpr_read_b32 v7, a9
	v_lshl_add_u64 v[6:7], v[6:7], 0, s[24:25]
	v_accvgpr_write_b32 a9, v7
	v_accvgpr_write_b32 a8, v6
	;; [unrolled: 5-line block ×34, first 2 shown]
	v_accvgpr_read_b32 v6, a74
	v_accvgpr_read_b32 v7, a75
	v_lshl_add_u64 v[6:7], v[6:7], 0, s[24:25]
	v_accvgpr_write_b32 a75, v7
	v_accvgpr_read_b32 v13, a5
	v_accvgpr_write_b32 a74, v6
	v_accvgpr_read_b32 v6, a76
	v_accvgpr_read_b32 v12, a4
	v_accvgpr_read_b32 v7, a77
	s_add_u32 s26, s26, s6
	v_lshl_add_u64 v[12:13], v[12:13], 0, s[6:7]
	v_lshl_add_u64 v[6:7], v[6:7], 0, s[24:25]
	;; [unrolled: 1-line block ×92, first 2 shown]
	s_addc_u32 s27, s27, 0
	s_cbranch_vccnz .LBB51_227
; %bb.226:                              ;   in Loop: Header=BB51_149 Depth=1
	v_accvgpr_write_b32 a77, v7
	v_accvgpr_write_b32 a76, v6
	s_branch .LBB51_149
.LBB51_227:
	v_accvgpr_read_b32 v0, a1
.LBB51_228:
	s_mov_b32 s3, 0
	s_lshl_b64 s[2:3], s[2:3], 6
	v_and_b32_e32 v1, 0x3ff, v0
	v_or_b32_e32 v10, s2, v1
	v_mov_b32_e32 v11, s3
	v_cmp_gt_i64_e32 vcc, s[14:15], v[10:11]
	s_and_saveexec_b64 s[2:3], vcc
	s_cbranch_execz .LBB51_233
; %bb.229:
	s_load_dword s2, s[0:1], 0x4c
	s_load_dwordx4 s[4:7], s[0:1], 0x30
	v_bfe_u32 v4, v0, 10, 10
	v_mov_b32_e32 v5, 0
	v_mov_b32_e32 v6, s8
	s_waitcnt lgkmcnt(0)
	s_lshr_b32 s0, s2, 16
	v_mad_u64_u32 v[4:5], s[0:1], s0, v6, v[4:5]
	s_cmp_eq_u64 s[4:5], 0
	v_mul_lo_u32 v5, v5, s14
	v_mul_lo_u32 v6, v4, s15
	s_cbranch_scc1 .LBB51_231
; %bb.230:
	v_mad_u64_u32 v[8:9], s[0:1], v4, s14, 0
	v_add3_u32 v9, v9, v6, v5
	v_lshl_add_u64 v[8:9], v[8:9], 2, s[4:5]
	v_lshl_add_u64 v[8:9], v[10:11], 2, v[8:9]
	global_store_dword v[8:9], v2, off
.LBB51_231:
	s_cmp_eq_u64 s[6:7], 0
	s_cbranch_scc1 .LBB51_233
; %bb.232:
	v_mad_u64_u32 v[8:9], s[0:1], v4, s14, 0
	v_add3_u32 v9, v9, v6, v5
	v_lshl_add_u64 v[4:5], v[8:9], 2, s[6:7]
	v_lshl_add_u64 v[0:1], v[10:11], 2, v[4:5]
	global_store_dword v[0:1], v3, off
.LBB51_233:
	s_endpgm
	.section	.rodata,"a",@progbits
	.p2align	6, 0x0
	.amdhsa_kernel _ZN2at6native12_GLOBAL__N_135GammaBetaBackwardCUDAKernelTemplateIffLj64ELj1ELj32ELb1ELb0ELb0EEEvllPKT_S5_PKT0_S8_PS3_S9_
		.amdhsa_group_segment_fixed_size 0
		.amdhsa_private_segment_fixed_size 0
		.amdhsa_kernarg_size 320
		.amdhsa_user_sgpr_count 2
		.amdhsa_user_sgpr_dispatch_ptr 0
		.amdhsa_user_sgpr_queue_ptr 0
		.amdhsa_user_sgpr_kernarg_segment_ptr 1
		.amdhsa_user_sgpr_dispatch_id 0
		.amdhsa_user_sgpr_kernarg_preload_length 0
		.amdhsa_user_sgpr_kernarg_preload_offset 0
		.amdhsa_user_sgpr_private_segment_size 0
		.amdhsa_uses_dynamic_stack 0
		.amdhsa_enable_private_segment 0
		.amdhsa_system_sgpr_workgroup_id_x 1
		.amdhsa_system_sgpr_workgroup_id_y 1
		.amdhsa_system_sgpr_workgroup_id_z 0
		.amdhsa_system_sgpr_workgroup_info 0
		.amdhsa_system_vgpr_workitem_id 1
		.amdhsa_next_free_vgpr 334
		.amdhsa_next_free_sgpr 40
		.amdhsa_accum_offset 256
		.amdhsa_reserve_vcc 1
		.amdhsa_float_round_mode_32 0
		.amdhsa_float_round_mode_16_64 0
		.amdhsa_float_denorm_mode_32 3
		.amdhsa_float_denorm_mode_16_64 3
		.amdhsa_dx10_clamp 1
		.amdhsa_ieee_mode 1
		.amdhsa_fp16_overflow 0
		.amdhsa_tg_split 0
		.amdhsa_exception_fp_ieee_invalid_op 0
		.amdhsa_exception_fp_denorm_src 0
		.amdhsa_exception_fp_ieee_div_zero 0
		.amdhsa_exception_fp_ieee_overflow 0
		.amdhsa_exception_fp_ieee_underflow 0
		.amdhsa_exception_fp_ieee_inexact 0
		.amdhsa_exception_int_div_zero 0
	.end_amdhsa_kernel
	.section	.text._ZN2at6native12_GLOBAL__N_135GammaBetaBackwardCUDAKernelTemplateIffLj64ELj1ELj32ELb1ELb0ELb0EEEvllPKT_S5_PKT0_S8_PS3_S9_,"axG",@progbits,_ZN2at6native12_GLOBAL__N_135GammaBetaBackwardCUDAKernelTemplateIffLj64ELj1ELj32ELb1ELb0ELb0EEEvllPKT_S5_PKT0_S8_PS3_S9_,comdat
.Lfunc_end51:
	.size	_ZN2at6native12_GLOBAL__N_135GammaBetaBackwardCUDAKernelTemplateIffLj64ELj1ELj32ELb1ELb0ELb0EEEvllPKT_S5_PKT0_S8_PS3_S9_, .Lfunc_end51-_ZN2at6native12_GLOBAL__N_135GammaBetaBackwardCUDAKernelTemplateIffLj64ELj1ELj32ELb1ELb0ELb0EEEvllPKT_S5_PKT0_S8_PS3_S9_
                                        ; -- End function
	.section	.AMDGPU.csdata,"",@progbits
; Kernel info:
; codeLenInByte = 23824
; NumSgprs: 46
; NumVgprs: 256
; NumAgprs: 78
; TotalNumVgprs: 334
; ScratchSize: 0
; MemoryBound: 0
; FloatMode: 240
; IeeeMode: 1
; LDSByteSize: 0 bytes/workgroup (compile time only)
; SGPRBlocks: 5
; VGPRBlocks: 41
; NumSGPRsForWavesPerEU: 46
; NumVGPRsForWavesPerEU: 334
; AccumOffset: 256
; Occupancy: 1
; WaveLimiterHint : 0
; COMPUTE_PGM_RSRC2:SCRATCH_EN: 0
; COMPUTE_PGM_RSRC2:USER_SGPR: 2
; COMPUTE_PGM_RSRC2:TRAP_HANDLER: 0
; COMPUTE_PGM_RSRC2:TGID_X_EN: 1
; COMPUTE_PGM_RSRC2:TGID_Y_EN: 1
; COMPUTE_PGM_RSRC2:TGID_Z_EN: 0
; COMPUTE_PGM_RSRC2:TIDIG_COMP_CNT: 1
; COMPUTE_PGM_RSRC3_GFX90A:ACCUM_OFFSET: 63
; COMPUTE_PGM_RSRC3_GFX90A:TG_SPLIT: 0
	.section	.text._ZN2at6native12_GLOBAL__N_135GammaBetaBackwardCUDAKernelTemplateIffLj64ELj1ELj8ELb1ELb1ELb0EEEvllPKT_S5_PKT0_S8_PS3_S9_,"axG",@progbits,_ZN2at6native12_GLOBAL__N_135GammaBetaBackwardCUDAKernelTemplateIffLj64ELj1ELj8ELb1ELb1ELb0EEEvllPKT_S5_PKT0_S8_PS3_S9_,comdat
	.globl	_ZN2at6native12_GLOBAL__N_135GammaBetaBackwardCUDAKernelTemplateIffLj64ELj1ELj8ELb1ELb1ELb0EEEvllPKT_S5_PKT0_S8_PS3_S9_ ; -- Begin function _ZN2at6native12_GLOBAL__N_135GammaBetaBackwardCUDAKernelTemplateIffLj64ELj1ELj8ELb1ELb1ELb0EEEvllPKT_S5_PKT0_S8_PS3_S9_
	.p2align	8
	.type	_ZN2at6native12_GLOBAL__N_135GammaBetaBackwardCUDAKernelTemplateIffLj64ELj1ELj8ELb1ELb1ELb0EEEvllPKT_S5_PKT0_S8_PS3_S9_,@function
_ZN2at6native12_GLOBAL__N_135GammaBetaBackwardCUDAKernelTemplateIffLj64ELj1ELj8ELb1ELb1ELb0EEEvllPKT_S5_PKT0_S8_PS3_S9_: ; @_ZN2at6native12_GLOBAL__N_135GammaBetaBackwardCUDAKernelTemplateIffLj64ELj1ELj8ELb1ELb1ELb0EEEvllPKT_S5_PKT0_S8_PS3_S9_
; %bb.0:
	s_load_dwordx4 s[16:19], s[0:1], 0x0
	s_lshl_b32 s6, s3, 3
	s_mov_b32 s7, 0
	s_mov_b32 s4, s3
	v_bfe_u32 v1, v0, 10, 10
	s_waitcnt lgkmcnt(0)
	v_mov_b64_e32 v[2:3], s[16:17]
	v_cmp_lt_i64_e32 vcc, s[6:7], v[2:3]
	s_cbranch_vccnz .LBB52_2
; %bb.1:
	s_add_u32 s24, s0, 64
	s_addc_u32 s25, s1, 0
	s_mov_b64 s[8:9], 0
	v_bfe_u32 v4, v0, 10, 10
	s_branch .LBB52_3
.LBB52_2:
	s_mov_b64 s[8:9], -1
                                        ; implicit-def: $sgpr24_sgpr25
                                        ; implicit-def: $vgpr4
.LBB52_3:
	s_load_dwordx4 s[20:23], s[0:1], 0x30
	v_and_b32_e32 v0, 0x3ff, v0
	s_andn2_b64 vcc, exec, s[8:9]
	v_mov_b32_e32 v3, s7
	v_mov_b32_e32 v2, s7
	s_cbranch_vccnz .LBB52_11
; %bb.4:
	s_load_dword s3, s[0:1], 0x4c
	s_load_dword s5, s[0:1], 0x44
	s_load_dwordx8 s[8:15], s[0:1], 0x10
	s_add_u32 s24, s0, 64
	s_addc_u32 s25, s1, 0
	s_waitcnt lgkmcnt(0)
	s_and_b32 s0, s3, 0xffff
	v_mad_u32_u24 v2, v1, s0, v0
	v_and_b32_e32 v4, 63, v2
	v_lshlrev_b32_e32 v2, 3, v1
	v_mov_b32_e32 v3, 0
	v_mbcnt_lo_u32_b32 v6, -1, 0
	v_mov_b32_e32 v5, v3
	v_mbcnt_hi_u32_b32 v6, -1, v6
	s_lshl_b32 s26, s5, 3
	v_lshl_add_u64 v[10:11], v[2:3], 0, s[6:7]
	v_cmp_gt_u32_e64 s[0:1], 8, v4
	v_lshl_add_u32 v8, s2, 6, v0
	v_mov_b32_e32 v9, v3
	v_lshlrev_b32_e32 v6, 2, v6
	v_lshl_add_u64 v[4:5], v[10:11], 0, v[4:5]
	v_mul_lo_u32 v2, s19, v10
	v_mul_lo_u32 v20, s18, v11
	v_mad_u64_u32 v[10:11], s[30:31], s18, v10, 0
	s_mul_i32 s3, s19, s26
	s_mul_hi_u32 s5, s18, s26
	s_mov_b32 s27, 0
	v_and_b32_e32 v12, 0x100, v6
	v_add3_u32 v11, v11, v20, v2
	v_lshlrev_b64 v[8:9], 2, v[8:9]
	s_add_i32 s31, s5, s3
	s_mul_i32 s30, s18, s26
	v_or_b32_e32 v13, 4, v12
	v_or_b32_e32 v14, 8, v12
	;; [unrolled: 1-line block ×7, first 2 shown]
	v_lshlrev_b64 v[6:7], 2, v[4:5]
	s_lshl_b64 s[28:29], s[26:27], 2
	v_lshl_add_u64 v[8:9], v[10:11], 2, v[8:9]
	s_lshl_b64 s[30:31], s[30:31], 2
	s_lshl_b64 s[34:35], s[18:19], 2
	v_mov_b64_e32 v[10:11], s[16:17]
	v_mov_b32_e32 v2, v3
	s_branch .LBB52_7
.LBB52_5:                               ;   in Loop: Header=BB52_7 Depth=1
	s_or_b64 exec, exec, s[38:39]
.LBB52_6:                               ;   in Loop: Header=BB52_7 Depth=1
	s_or_b64 exec, exec, s[36:37]
	v_lshl_add_u64 v[26:27], s[10:11], 0, v[8:9]
	v_lshl_add_u64 v[22:23], s[8:9], 0, v[8:9]
	global_load_dword v24, v[26:27], off
	v_lshl_add_u64 v[26:27], v[26:27], 0, s[34:35]
	global_load_dword v25, v[22:23], off
	;; [unrolled: 2-line block ×5, first 2 shown]
	global_load_dword v31, v[22:23], off
	v_lshl_add_u64 v[26:27], v[26:27], 0, s[34:35]
	global_load_dword v32, v[26:27], off
	v_lshl_add_u64 v[22:23], v[22:23], 0, s[34:35]
	v_lshl_add_u64 v[26:27], v[26:27], 0, s[34:35]
	global_load_dword v33, v[22:23], off
	global_load_dword v34, v[26:27], off
	v_lshl_add_u64 v[22:23], v[22:23], 0, s[34:35]
	v_lshl_add_u64 v[26:27], v[26:27], 0, s[34:35]
	global_load_dword v35, v[22:23], off
	;; [unrolled: 4-line block ×4, first 2 shown]
	v_lshl_add_u64 v[22:23], v[22:23], 0, s[34:35]
	global_load_dword v26, v[26:27], off
	s_waitcnt vmcnt(16)
	ds_bpermute_b32 v27, v12, v20
	global_load_dword v23, v[22:23], off
	ds_bpermute_b32 v41, v13, v20
	s_waitcnt vmcnt(16)
	ds_bpermute_b32 v22, v12, v21
	ds_bpermute_b32 v43, v14, v20
	;; [unrolled: 1-line block ×14, first 2 shown]
	s_add_u32 s6, s6, s26
	s_addc_u32 s7, s7, 0
	v_cmp_lt_i64_e32 vcc, s[6:7], v[10:11]
	v_lshl_add_u64 v[6:7], v[6:7], 0, s[28:29]
	v_lshl_add_u64 v[4:5], v[4:5], 0, s[26:27]
	;; [unrolled: 1-line block ×3, first 2 shown]
	s_and_b64 vcc, exec, vcc
	s_waitcnt vmcnt(15) lgkmcnt(14)
	v_sub_f32_e32 v24, v24, v27
	s_waitcnt vmcnt(14)
	v_mul_f32_e32 v24, v25, v24
	s_waitcnt lgkmcnt(13)
	v_mul_f32_e32 v24, v24, v22
	s_waitcnt vmcnt(13)
	v_sub_f32_e32 v27, v28, v41
	v_pk_add_f32 v[2:3], v[2:3], v[24:25]
	s_waitcnt vmcnt(12)
	v_mul_f32_e32 v22, v29, v27
	s_waitcnt vmcnt(11) lgkmcnt(12)
	v_sub_f32_e32 v27, v30, v43
	s_waitcnt lgkmcnt(11)
	v_mul_f32_e32 v28, v22, v40
	s_waitcnt vmcnt(10)
	v_mul_f32_e32 v22, v31, v27
	s_waitcnt vmcnt(9) lgkmcnt(10)
	v_sub_f32_e32 v27, v32, v45
	s_waitcnt lgkmcnt(9)
	v_mul_f32_e32 v30, v22, v42
	v_pk_add_f32 v[2:3], v[2:3], v[28:29]
	s_waitcnt vmcnt(8)
	v_mul_f32_e32 v22, v33, v27
	s_waitcnt vmcnt(7) lgkmcnt(8)
	v_sub_f32_e32 v24, v34, v47
	s_waitcnt lgkmcnt(7)
	v_mul_f32_e32 v32, v22, v44
	v_pk_add_f32 v[2:3], v[2:3], v[30:31]
	;; [unrolled: 7-line block ×4, first 2 shown]
	s_waitcnt vmcnt(2)
	v_mul_f32_e32 v22, v39, v24
	s_waitcnt lgkmcnt(1)
	v_mul_f32_e32 v38, v22, v50
	s_waitcnt vmcnt(1)
	v_sub_f32_e32 v20, v26, v20
	v_pk_add_f32 v[2:3], v[2:3], v[36:37]
	s_waitcnt vmcnt(0)
	v_mul_f32_e32 v20, v23, v20
	v_pk_add_f32 v[2:3], v[2:3], v[38:39]
	s_waitcnt lgkmcnt(0)
	v_mul_f32_e32 v22, v20, v21
	v_pk_add_f32 v[2:3], v[2:3], v[22:23]
	s_cbranch_vccz .LBB52_10
.LBB52_7:                               ; =>This Inner Loop Header: Depth=1
	v_mov_b32_e32 v21, 0
	v_mov_b32_e32 v20, 0
	s_and_saveexec_b64 s[36:37], s[0:1]
	s_cbranch_execz .LBB52_6
; %bb.8:                                ;   in Loop: Header=BB52_7 Depth=1
	v_cmp_gt_i64_e32 vcc, s[16:17], v[4:5]
	v_mov_b32_e32 v20, 0
	v_mov_b32_e32 v21, 0
	s_and_saveexec_b64 s[38:39], vcc
	s_cbranch_execz .LBB52_5
; %bb.9:                                ;   in Loop: Header=BB52_7 Depth=1
	v_lshl_add_u64 v[24:25], s[12:13], 0, v[6:7]
	v_lshl_add_u64 v[22:23], s[14:15], 0, v[6:7]
	global_load_dword v20, v[24:25], off
	global_load_dword v21, v[22:23], off
	s_branch .LBB52_5
.LBB52_10:
	v_mov_b32_e32 v4, v1
.LBB52_11:
	s_load_dword s5, s[24:25], 0xc
	s_mov_b32 s3, 0
	v_mov_b32_e32 v1, 0
	s_lshl_b64 s[0:1], s[2:3], 6
	v_lshl_add_u64 v[6:7], s[0:1], 0, v[0:1]
	s_waitcnt lgkmcnt(0)
	s_lshr_b32 s0, s5, 16
	v_mov_b32_e32 v5, v1
	v_mov_b32_e32 v0, s4
	v_mad_u64_u32 v[0:1], s[0:1], s0, v0, v[4:5]
	s_cmp_eq_u64 s[20:21], 0
	v_mul_lo_u32 v1, v1, s18
	v_mul_lo_u32 v4, v0, s19
	s_cbranch_scc1 .LBB52_13
; %bb.12:
	v_mad_u64_u32 v[8:9], s[0:1], v0, s18, 0
	v_add3_u32 v9, v9, v4, v1
	v_lshl_add_u64 v[8:9], v[8:9], 2, s[20:21]
	v_lshl_add_u64 v[8:9], v[6:7], 2, v[8:9]
	global_store_dword v[8:9], v2, off
.LBB52_13:
	s_cmp_eq_u64 s[22:23], 0
	s_cbranch_scc1 .LBB52_15
; %bb.14:
	v_mad_u64_u32 v[8:9], s[0:1], v0, s18, 0
	v_add3_u32 v9, v9, v4, v1
	v_lshl_add_u64 v[0:1], v[8:9], 2, s[22:23]
	v_lshl_add_u64 v[0:1], v[6:7], 2, v[0:1]
	global_store_dword v[0:1], v3, off
.LBB52_15:
	s_endpgm
	.section	.rodata,"a",@progbits
	.p2align	6, 0x0
	.amdhsa_kernel _ZN2at6native12_GLOBAL__N_135GammaBetaBackwardCUDAKernelTemplateIffLj64ELj1ELj8ELb1ELb1ELb0EEEvllPKT_S5_PKT0_S8_PS3_S9_
		.amdhsa_group_segment_fixed_size 0
		.amdhsa_private_segment_fixed_size 0
		.amdhsa_kernarg_size 320
		.amdhsa_user_sgpr_count 2
		.amdhsa_user_sgpr_dispatch_ptr 0
		.amdhsa_user_sgpr_queue_ptr 0
		.amdhsa_user_sgpr_kernarg_segment_ptr 1
		.amdhsa_user_sgpr_dispatch_id 0
		.amdhsa_user_sgpr_kernarg_preload_length 0
		.amdhsa_user_sgpr_kernarg_preload_offset 0
		.amdhsa_user_sgpr_private_segment_size 0
		.amdhsa_uses_dynamic_stack 0
		.amdhsa_enable_private_segment 0
		.amdhsa_system_sgpr_workgroup_id_x 1
		.amdhsa_system_sgpr_workgroup_id_y 1
		.amdhsa_system_sgpr_workgroup_id_z 0
		.amdhsa_system_sgpr_workgroup_info 0
		.amdhsa_system_vgpr_workitem_id 1
		.amdhsa_next_free_vgpr 52
		.amdhsa_next_free_sgpr 40
		.amdhsa_accum_offset 52
		.amdhsa_reserve_vcc 1
		.amdhsa_float_round_mode_32 0
		.amdhsa_float_round_mode_16_64 0
		.amdhsa_float_denorm_mode_32 3
		.amdhsa_float_denorm_mode_16_64 3
		.amdhsa_dx10_clamp 1
		.amdhsa_ieee_mode 1
		.amdhsa_fp16_overflow 0
		.amdhsa_tg_split 0
		.amdhsa_exception_fp_ieee_invalid_op 0
		.amdhsa_exception_fp_denorm_src 0
		.amdhsa_exception_fp_ieee_div_zero 0
		.amdhsa_exception_fp_ieee_overflow 0
		.amdhsa_exception_fp_ieee_underflow 0
		.amdhsa_exception_fp_ieee_inexact 0
		.amdhsa_exception_int_div_zero 0
	.end_amdhsa_kernel
	.section	.text._ZN2at6native12_GLOBAL__N_135GammaBetaBackwardCUDAKernelTemplateIffLj64ELj1ELj8ELb1ELb1ELb0EEEvllPKT_S5_PKT0_S8_PS3_S9_,"axG",@progbits,_ZN2at6native12_GLOBAL__N_135GammaBetaBackwardCUDAKernelTemplateIffLj64ELj1ELj8ELb1ELb1ELb0EEEvllPKT_S5_PKT0_S8_PS3_S9_,comdat
.Lfunc_end52:
	.size	_ZN2at6native12_GLOBAL__N_135GammaBetaBackwardCUDAKernelTemplateIffLj64ELj1ELj8ELb1ELb1ELb0EEEvllPKT_S5_PKT0_S8_PS3_S9_, .Lfunc_end52-_ZN2at6native12_GLOBAL__N_135GammaBetaBackwardCUDAKernelTemplateIffLj64ELj1ELj8ELb1ELb1ELb0EEEvllPKT_S5_PKT0_S8_PS3_S9_
                                        ; -- End function
	.section	.AMDGPU.csdata,"",@progbits
; Kernel info:
; codeLenInByte = 1312
; NumSgprs: 46
; NumVgprs: 52
; NumAgprs: 0
; TotalNumVgprs: 52
; ScratchSize: 0
; MemoryBound: 0
; FloatMode: 240
; IeeeMode: 1
; LDSByteSize: 0 bytes/workgroup (compile time only)
; SGPRBlocks: 5
; VGPRBlocks: 6
; NumSGPRsForWavesPerEU: 46
; NumVGPRsForWavesPerEU: 52
; AccumOffset: 52
; Occupancy: 8
; WaveLimiterHint : 0
; COMPUTE_PGM_RSRC2:SCRATCH_EN: 0
; COMPUTE_PGM_RSRC2:USER_SGPR: 2
; COMPUTE_PGM_RSRC2:TRAP_HANDLER: 0
; COMPUTE_PGM_RSRC2:TGID_X_EN: 1
; COMPUTE_PGM_RSRC2:TGID_Y_EN: 1
; COMPUTE_PGM_RSRC2:TGID_Z_EN: 0
; COMPUTE_PGM_RSRC2:TIDIG_COMP_CNT: 1
; COMPUTE_PGM_RSRC3_GFX90A:ACCUM_OFFSET: 12
; COMPUTE_PGM_RSRC3_GFX90A:TG_SPLIT: 0
	.section	.text._ZN2at6native12_GLOBAL__N_135GammaBetaBackwardCUDAKernelTemplateIffLj64ELj1ELj8ELb1ELb0ELb0EEEvllPKT_S5_PKT0_S8_PS3_S9_,"axG",@progbits,_ZN2at6native12_GLOBAL__N_135GammaBetaBackwardCUDAKernelTemplateIffLj64ELj1ELj8ELb1ELb0ELb0EEEvllPKT_S5_PKT0_S8_PS3_S9_,comdat
	.globl	_ZN2at6native12_GLOBAL__N_135GammaBetaBackwardCUDAKernelTemplateIffLj64ELj1ELj8ELb1ELb0ELb0EEEvllPKT_S5_PKT0_S8_PS3_S9_ ; -- Begin function _ZN2at6native12_GLOBAL__N_135GammaBetaBackwardCUDAKernelTemplateIffLj64ELj1ELj8ELb1ELb0ELb0EEEvllPKT_S5_PKT0_S8_PS3_S9_
	.p2align	8
	.type	_ZN2at6native12_GLOBAL__N_135GammaBetaBackwardCUDAKernelTemplateIffLj64ELj1ELj8ELb1ELb0ELb0EEEvllPKT_S5_PKT0_S8_PS3_S9_,@function
_ZN2at6native12_GLOBAL__N_135GammaBetaBackwardCUDAKernelTemplateIffLj64ELj1ELj8ELb1ELb0ELb0EEEvllPKT_S5_PKT0_S8_PS3_S9_: ; @_ZN2at6native12_GLOBAL__N_135GammaBetaBackwardCUDAKernelTemplateIffLj64ELj1ELj8ELb1ELb0ELb0EEEvllPKT_S5_PKT0_S8_PS3_S9_
; %bb.0:
	s_load_dwordx8 s[12:19], s[0:1], 0x0
	s_load_dwordx4 s[28:31], s[0:1], 0x20
	s_mov_b32 s8, s3
	s_lshl_b32 s3, s2, 6
	s_mov_b32 s20, 0
	s_or_b32 s4, s3, 63
	s_mov_b32 s5, s20
	s_waitcnt lgkmcnt(0)
	v_mov_b64_e32 v[2:3], s[14:15]
	v_cmp_ge_i64_e32 vcc, s[4:5], v[2:3]
	s_lshl_b32 s10, s8, 3
	s_mov_b32 s11, s20
	v_mov_b64_e32 v[2:3], s[12:13]
	v_cmp_lt_i64_e64 s[4:5], s[10:11], v[2:3]
	s_nop 1
	v_cndmask_b32_e64 v1, 0, 1, s[4:5]
	v_cmp_ne_u32_e64 s[4:5], 1, v1
	s_cbranch_vccz .LBB53_48
; %bb.1:
	v_mov_b32_e32 v27, 0
	s_and_b64 vcc, exec, s[4:5]
	v_mov_b32_e32 v26, v27
	s_cbranch_vccnz .LBB53_49
; %bb.2:
	v_mov_b32_e32 v3, 0
	v_bfe_u32 v66, v0, 10, 10
	s_load_dword s9, s[0:1], 0x44
	v_lshlrev_b32_e32 v28, 3, v66
	v_mov_b32_e32 v29, v3
	v_and_b32_e32 v1, 0x3ff, v0
	v_lshl_add_u64 v[4:5], v[28:29], 0, s[10:11]
	v_add_u32_e32 v2, s3, v1
	v_lshl_add_u64 v[6:7], v[4:5], 0, 7
	s_add_u32 s34, s0, 64
	v_cmp_gt_i64_e64 s[6:7], s[14:15], v[2:3]
	v_lshlrev_b64 v[30:31], 2, v[2:3]
	v_mul_lo_u32 v2, s15, v6
	v_mul_lo_u32 v8, s14, v7
	v_mad_u64_u32 v[6:7], s[22:23], s14, v6, 0
	s_addc_u32 s35, s1, 0
	s_waitcnt lgkmcnt(0)
	s_lshl_b32 s36, s9, 3
	v_add3_u32 v7, v7, v8, v2
	v_lshlrev_b64 v[6:7], 2, v[6:7]
	s_mul_i32 s9, s15, s36
	s_mul_hi_u32 s21, s14, s36
	v_lshl_add_u64 v[32:33], s[16:17], 0, v[6:7]
	s_add_i32 s23, s21, s9
	s_mul_i32 s22, s14, s36
	v_lshl_add_u64 v[34:35], s[18:19], 0, v[6:7]
	v_lshl_add_u64 v[6:7], v[4:5], 0, 6
	s_lshl_b64 s[40:41], s[22:23], 2
	v_mul_lo_u32 v2, s15, v6
	v_mul_lo_u32 v8, s14, v7
	v_mad_u64_u32 v[6:7], s[22:23], s14, v6, 0
	v_add3_u32 v7, v7, v8, v2
	v_lshlrev_b64 v[6:7], 2, v[6:7]
	v_lshl_add_u64 v[36:37], s[16:17], 0, v[6:7]
	v_lshl_add_u64 v[38:39], s[18:19], 0, v[6:7]
	v_lshl_add_u64 v[6:7], v[4:5], 0, 5
	v_mul_lo_u32 v2, s15, v6
	v_mul_lo_u32 v8, s14, v7
	v_mad_u64_u32 v[6:7], s[22:23], s14, v6, 0
	v_add3_u32 v7, v7, v8, v2
	v_lshlrev_b64 v[6:7], 2, v[6:7]
	v_lshl_add_u64 v[40:41], s[16:17], 0, v[6:7]
	v_lshl_add_u64 v[42:43], s[18:19], 0, v[6:7]
	v_lshl_add_u64 v[6:7], v[4:5], 0, 4
	;; [unrolled: 8-line block ×4, first 2 shown]
	v_mul_lo_u32 v2, s15, v6
	v_mul_lo_u32 v8, s14, v7
	v_mad_u64_u32 v[6:7], s[22:23], s14, v6, 0
	v_add3_u32 v7, v7, v8, v2
	v_lshlrev_b64 v[6:7], 2, v[6:7]
	v_lshl_add_u64 v[52:53], s[16:17], 0, v[6:7]
	v_lshl_add_u64 v[54:55], s[18:19], 0, v[6:7]
	v_mov_b64_e32 v[6:7], s[14:15]
	v_mad_u64_u32 v[6:7], s[22:23], s14, v4, v[6:7]
	v_mul_lo_u32 v2, s14, v5
	v_mul_lo_u32 v8, s15, v4
	v_mad_u64_u32 v[4:5], s[22:23], s14, v4, 0
	v_add3_u32 v7, v8, v7, v2
	v_add3_u32 v5, v5, v2, v8
	v_mbcnt_lo_u32_b32 v2, -1, 0
	v_mbcnt_hi_u32_b32 v2, -1, v2
	v_lshlrev_b64 v[6:7], 2, v[6:7]
	v_lshlrev_b64 v[4:5], 2, v[4:5]
	v_lshlrev_b32_e32 v2, 2, v2
	s_mov_b32 s37, s20
	s_mov_b64 s[38:39], 7
	v_lshl_add_u64 v[56:57], s[16:17], 0, v[6:7]
	v_lshl_add_u64 v[58:59], s[18:19], 0, v[6:7]
	;; [unrolled: 1-line block ×4, first 2 shown]
	v_and_b32_e32 v67, 0x100, v2
	s_mov_b64 s[42:43], s[10:11]
	v_mov_b32_e32 v26, v3
	v_mov_b32_e32 v27, v3
	s_branch .LBB53_5
.LBB53_3:                               ;   in Loop: Header=BB53_5 Depth=1
	s_or_b64 exec, exec, s[22:23]
	s_waitcnt vmcnt(1)
	ds_bpermute_b32 v2, v67, v69
	ds_bpermute_b32 v4, v67, v69 offset:4
	s_waitcnt vmcnt(0)
	ds_bpermute_b32 v5, v67, v68
	ds_bpermute_b32 v6, v67, v68 offset:4
	ds_bpermute_b32 v9, v67, v68 offset:12
	s_waitcnt lgkmcnt(4)
	v_sub_f32_e32 v2, v10, v2
	v_mul_f32_e32 v2, v18, v2
	s_waitcnt lgkmcnt(3)
	v_sub_f32_e32 v7, v11, v4
	s_waitcnt lgkmcnt(2)
	v_mul_f32_e32 v4, v2, v5
	ds_bpermute_b32 v2, v67, v69 offset:8
	v_mul_f32_e32 v5, v19, v7
	s_waitcnt lgkmcnt(2)
	v_mul_f32_e32 v6, v5, v6
	ds_bpermute_b32 v5, v67, v68 offset:8
	ds_bpermute_b32 v7, v67, v69 offset:12
	s_waitcnt lgkmcnt(2)
	v_sub_f32_e32 v2, v12, v2
	v_mul_f32_e32 v2, v20, v2
	v_mov_b32_e32 v11, v21
	s_waitcnt lgkmcnt(1)
	v_mul_f32_e32 v8, v2, v5
	s_waitcnt lgkmcnt(0)
	v_sub_f32_e32 v2, v13, v7
	ds_bpermute_b32 v5, v67, v69 offset:16
	v_mul_f32_e32 v2, v21, v2
	v_mul_f32_e32 v10, v2, v9
	ds_bpermute_b32 v2, v67, v68 offset:16
	ds_bpermute_b32 v7, v67, v69 offset:20
	;; [unrolled: 1-line block ×3, first 2 shown]
	s_waitcnt lgkmcnt(3)
	v_sub_f32_e32 v5, v14, v5
	v_mul_f32_e32 v5, v22, v5
	s_waitcnt lgkmcnt(2)
	v_mul_f32_e32 v12, v5, v2
	s_waitcnt lgkmcnt(1)
	v_sub_f32_e32 v2, v15, v7
	v_mul_f32_e32 v2, v23, v2
	s_waitcnt lgkmcnt(0)
	v_mul_f32_e32 v14, v2, v9
	v_mov_b32_e32 v5, v18
	ds_bpermute_b32 v2, v67, v69 offset:24
	v_pk_add_f32 v[4:5], v[26:27], v[4:5]
	v_mov_b32_e32 v7, v19
	v_pk_add_f32 v[4:5], v[6:7], v[4:5]
	ds_bpermute_b32 v7, v67, v68 offset:24
	v_mov_b32_e32 v9, v20
	v_pk_add_f32 v[4:5], v[8:9], v[4:5]
	v_mov_b32_e32 v13, v22
	v_pk_add_f32 v[4:5], v[10:11], v[4:5]
	s_waitcnt lgkmcnt(1)
	v_sub_f32_e32 v8, v16, v2
	v_pk_add_f32 v[4:5], v[12:13], v[4:5]
	v_mov_b32_e32 v15, v23
	v_mul_f32_e32 v8, v24, v8
	v_pk_add_f32 v[4:5], v[14:15], v[4:5]
	s_waitcnt lgkmcnt(0)
	v_mul_f32_e32 v8, v8, v7
	v_mov_b32_e32 v9, v24
	ds_bpermute_b32 v2, v67, v68 offset:28
	ds_bpermute_b32 v6, v67, v69 offset:28
	v_pk_add_f32 v[4:5], v[8:9], v[4:5]
.LBB53_4:                               ;   in Loop: Header=BB53_5 Depth=1
	s_waitcnt lgkmcnt(0)
	v_sub_f32_e32 v6, v17, v6
	v_mul_f32_e32 v6, v25, v6
	v_mul_f32_e32 v24, v6, v2
	s_add_u32 s42, s42, s36
	v_pk_add_f32 v[26:27], v[4:5], v[24:25]
	s_addc_u32 s43, s43, 0
	v_mov_b64_e32 v[4:5], s[12:13]
	s_add_u32 s38, s38, s36
	v_cmp_lt_i64_e32 vcc, s[42:43], v[4:5]
	v_lshl_add_u64 v[32:33], v[32:33], 0, s[40:41]
	v_lshl_add_u64 v[34:35], v[34:35], 0, s[40:41]
	;; [unrolled: 1-line block ×17, first 2 shown]
	s_addc_u32 s39, s39, 0
	s_cbranch_vccz .LBB53_49
.LBB53_5:                               ; =>This Inner Loop Header: Depth=1
	s_add_u32 s22, s10, s38
	s_addc_u32 s23, 0, s39
	v_mov_b64_e32 v[4:5], s[12:13]
	v_cmp_ge_i64_e32 vcc, s[22:23], v[4:5]
	v_lshl_add_u64 v[64:65], s[10:11], 0, v[28:29]
	s_cbranch_vccz .LBB53_27
; %bb.6:                                ;   in Loop: Header=BB53_5 Depth=1
	s_load_dword s9, s[34:35], 0xc
	v_mov_b32_e32 v68, 0
	v_mov_b32_e32 v69, 0
	s_waitcnt lgkmcnt(0)
	s_and_b32 s9, s9, 0xffff
	v_mad_u32_u24 v2, v66, s9, v1
	v_and_b32_e32 v2, 63, v2
	v_cmp_gt_u32_e32 vcc, 8, v2
	s_and_saveexec_b64 s[22:23], vcc
	s_cbranch_execz .LBB53_10
; %bb.7:                                ;   in Loop: Header=BB53_5 Depth=1
	v_lshl_add_u64 v[4:5], v[64:65], 0, v[2:3]
	v_cmp_gt_i64_e32 vcc, s[12:13], v[4:5]
	v_mov_b32_e32 v69, 0
	v_mov_b32_e32 v68, 0
	s_and_saveexec_b64 s[24:25], vcc
	s_cbranch_execz .LBB53_9
; %bb.8:                                ;   in Loop: Header=BB53_5 Depth=1
	v_lshlrev_b64 v[4:5], 2, v[4:5]
	v_lshl_add_u64 v[6:7], s[30:31], 0, v[4:5]
	v_lshl_add_u64 v[4:5], s[28:29], 0, v[4:5]
	global_load_dword v69, v[4:5], off
	global_load_dword v68, v[6:7], off
.LBB53_9:                               ;   in Loop: Header=BB53_5 Depth=1
	s_or_b64 exec, exec, s[24:25]
.LBB53_10:                              ;   in Loop: Header=BB53_5 Depth=1
	s_or_b64 exec, exec, s[22:23]
	s_mov_b32 s21, s20
	s_mov_b32 s22, s20
	;; [unrolled: 1-line block ×7, first 2 shown]
	v_mov_b64_e32 v[10:11], s[20:21]
	v_mov_b64_e32 v[16:17], s[26:27]
	v_cmp_gt_i64_e32 vcc, s[12:13], v[64:65]
	v_mov_b64_e32 v[12:13], s[22:23]
	v_mov_b64_e32 v[14:15], s[24:25]
	;; [unrolled: 1-line block ×3, first 2 shown]
	s_and_b64 s[44:45], s[6:7], vcc
	v_mov_b64_e32 v[22:23], v[14:15]
	v_mov_b64_e32 v[20:21], v[12:13]
	;; [unrolled: 1-line block ×3, first 2 shown]
	s_and_saveexec_b64 s[22:23], s[44:45]
	s_cbranch_execz .LBB53_12
; %bb.11:                               ;   in Loop: Header=BB53_5 Depth=1
	v_lshl_add_u64 v[4:5], v[60:61], 0, v[30:31]
	global_load_dword v2, v[4:5], off
	v_lshl_add_u64 v[4:5], v[62:63], 0, v[30:31]
	global_load_dword v10, v[4:5], off
	v_mov_b32_e32 v8, v3
	v_mov_b32_e32 v9, v3
	;; [unrolled: 1-line block ×6, first 2 shown]
	s_waitcnt vmcnt(1)
	v_mov_b64_e32 v[24:25], v[8:9]
	v_mov_b32_e32 v11, v3
	v_mov_b32_e32 v12, v3
	;; [unrolled: 1-line block ×7, first 2 shown]
	v_mov_b64_e32 v[22:23], v[6:7]
	v_mov_b64_e32 v[20:21], v[4:5]
	;; [unrolled: 1-line block ×3, first 2 shown]
.LBB53_12:                              ;   in Loop: Header=BB53_5 Depth=1
	s_or_b64 exec, exec, s[22:23]
	v_lshl_add_u64 v[4:5], v[64:65], 0, 1
	v_cmp_gt_i64_e32 vcc, s[12:13], v[4:5]
	s_and_b64 s[24:25], s[6:7], vcc
	s_and_saveexec_b64 s[22:23], s[24:25]
	s_cbranch_execz .LBB53_14
; %bb.13:                               ;   in Loop: Header=BB53_5 Depth=1
	v_lshl_add_u64 v[4:5], v[56:57], 0, v[30:31]
	global_load_dword v19, v[4:5], off
	v_lshl_add_u64 v[4:5], v[58:59], 0, v[30:31]
	global_load_dword v11, v[4:5], off
.LBB53_14:                              ;   in Loop: Header=BB53_5 Depth=1
	s_or_b64 exec, exec, s[22:23]
	v_lshl_add_u64 v[4:5], v[64:65], 0, 2
	v_cmp_gt_i64_e32 vcc, s[12:13], v[4:5]
	s_and_b64 s[24:25], s[6:7], vcc
	s_and_saveexec_b64 s[22:23], s[24:25]
	s_cbranch_execz .LBB53_16
; %bb.15:                               ;   in Loop: Header=BB53_5 Depth=1
	v_lshl_add_u64 v[4:5], v[52:53], 0, v[30:31]
	global_load_dword v20, v[4:5], off
	v_lshl_add_u64 v[4:5], v[54:55], 0, v[30:31]
	global_load_dword v12, v[4:5], off
.LBB53_16:                              ;   in Loop: Header=BB53_5 Depth=1
	;; [unrolled: 12-line block ×7, first 2 shown]
	s_or_b64 exec, exec, s[22:23]
	s_waitcnt vmcnt(1)
	ds_bpermute_b32 v2, v67, v69
	ds_bpermute_b32 v4, v67, v69 offset:4
	s_waitcnt vmcnt(0)
	ds_bpermute_b32 v5, v67, v68
	ds_bpermute_b32 v6, v67, v68 offset:4
	ds_bpermute_b32 v9, v67, v68 offset:12
	s_waitcnt lgkmcnt(4)
	v_sub_f32_e32 v2, v10, v2
	v_mul_f32_e32 v2, v18, v2
	s_waitcnt lgkmcnt(3)
	v_sub_f32_e32 v7, v11, v4
	s_waitcnt lgkmcnt(2)
	v_mul_f32_e32 v4, v2, v5
	ds_bpermute_b32 v2, v67, v69 offset:8
	v_mul_f32_e32 v5, v19, v7
	s_waitcnt lgkmcnt(2)
	v_mul_f32_e32 v6, v5, v6
	ds_bpermute_b32 v5, v67, v68 offset:8
	ds_bpermute_b32 v7, v67, v69 offset:12
	s_waitcnt lgkmcnt(2)
	v_sub_f32_e32 v2, v12, v2
	v_mul_f32_e32 v2, v20, v2
	v_mov_b32_e32 v11, v21
	s_waitcnt lgkmcnt(1)
	v_mul_f32_e32 v8, v2, v5
	s_waitcnt lgkmcnt(0)
	v_sub_f32_e32 v2, v13, v7
	ds_bpermute_b32 v5, v67, v69 offset:16
	v_mul_f32_e32 v2, v21, v2
	v_mul_f32_e32 v10, v2, v9
	ds_bpermute_b32 v2, v67, v68 offset:16
	ds_bpermute_b32 v7, v67, v69 offset:20
	;; [unrolled: 1-line block ×3, first 2 shown]
	s_waitcnt lgkmcnt(3)
	v_sub_f32_e32 v5, v14, v5
	v_mul_f32_e32 v5, v22, v5
	s_waitcnt lgkmcnt(2)
	v_mul_f32_e32 v12, v5, v2
	s_waitcnt lgkmcnt(1)
	v_sub_f32_e32 v2, v15, v7
	v_mul_f32_e32 v2, v23, v2
	s_waitcnt lgkmcnt(0)
	v_mul_f32_e32 v14, v2, v9
	ds_bpermute_b32 v2, v67, v69 offset:24
	v_mov_b32_e32 v5, v18
	v_pk_add_f32 v[4:5], v[26:27], v[4:5]
	v_mov_b32_e32 v7, v19
	v_pk_add_f32 v[4:5], v[6:7], v[4:5]
	ds_bpermute_b32 v7, v67, v68 offset:24
	v_mov_b32_e32 v9, v20
	s_waitcnt lgkmcnt(1)
	v_sub_f32_e32 v2, v16, v2
	v_pk_add_f32 v[4:5], v[8:9], v[4:5]
	v_mul_f32_e32 v8, v24, v2
	ds_bpermute_b32 v2, v67, v68 offset:28
	ds_bpermute_b32 v6, v67, v69 offset:28
	v_pk_add_f32 v[4:5], v[10:11], v[4:5]
	v_mov_b32_e32 v13, v22
	v_pk_add_f32 v[4:5], v[12:13], v[4:5]
	v_mov_b32_e32 v15, v23
	v_pk_add_f32 v[4:5], v[14:15], v[4:5]
	s_waitcnt lgkmcnt(2)
	v_mul_f32_e32 v8, v8, v7
	v_mov_b32_e32 v9, v24
	v_pk_add_f32 v[4:5], v[8:9], v[4:5]
	s_branch .LBB53_4
.LBB53_27:                              ;   in Loop: Header=BB53_5 Depth=1
                                        ; implicit-def: $vgpr4_vgpr5
                                        ; implicit-def: $vgpr2
                                        ; implicit-def: $vgpr10_vgpr11_vgpr12_vgpr13_vgpr14_vgpr15_vgpr16_vgpr17
                                        ; implicit-def: $vgpr18_vgpr19_vgpr20_vgpr21_vgpr22_vgpr23_vgpr24_vgpr25
                                        ; implicit-def: $vgpr6
	s_cbranch_execz .LBB53_4
; %bb.28:                               ;   in Loop: Header=BB53_5 Depth=1
	s_load_dword s9, s[34:35], 0x0
	v_mov_b32_e32 v68, 0
	v_mov_b32_e32 v69, 0
	s_waitcnt lgkmcnt(0)
	s_cmp_lt_u32 s2, s9
	s_cselect_b32 s9, 12, 18
	s_add_u32 s22, s34, s9
	s_addc_u32 s23, s35, 0
	global_load_ushort v2, v3, s[22:23]
	s_waitcnt vmcnt(0)
	v_mad_u32_u24 v2, v66, v2, v1
	v_and_b32_e32 v2, 63, v2
	v_cmp_gt_u32_e32 vcc, 8, v2
	s_and_saveexec_b64 s[22:23], vcc
	s_cbranch_execz .LBB53_32
; %bb.29:                               ;   in Loop: Header=BB53_5 Depth=1
	v_lshl_add_u64 v[4:5], v[64:65], 0, v[2:3]
	v_cmp_gt_i64_e32 vcc, s[12:13], v[4:5]
	v_mov_b32_e32 v69, 0
	v_mov_b32_e32 v68, 0
	s_and_saveexec_b64 s[24:25], vcc
	s_cbranch_execz .LBB53_31
; %bb.30:                               ;   in Loop: Header=BB53_5 Depth=1
	v_lshlrev_b64 v[4:5], 2, v[4:5]
	v_lshl_add_u64 v[6:7], s[30:31], 0, v[4:5]
	v_lshl_add_u64 v[4:5], s[28:29], 0, v[4:5]
	global_load_dword v69, v[4:5], off
	global_load_dword v68, v[6:7], off
.LBB53_31:                              ;   in Loop: Header=BB53_5 Depth=1
	s_or_b64 exec, exec, s[24:25]
.LBB53_32:                              ;   in Loop: Header=BB53_5 Depth=1
	s_or_b64 exec, exec, s[22:23]
	s_mov_b32 s21, s20
	s_mov_b32 s22, s20
	;; [unrolled: 1-line block ×7, first 2 shown]
	v_mov_b64_e32 v[10:11], s[20:21]
	v_mov_b64_e32 v[16:17], s[26:27]
	;; [unrolled: 1-line block ×8, first 2 shown]
	s_and_saveexec_b64 s[22:23], s[6:7]
	s_cbranch_execnz .LBB53_40
; %bb.33:                               ;   in Loop: Header=BB53_5 Depth=1
	s_or_b64 exec, exec, s[22:23]
	s_and_saveexec_b64 s[22:23], s[6:7]
	s_cbranch_execnz .LBB53_41
.LBB53_34:                              ;   in Loop: Header=BB53_5 Depth=1
	s_or_b64 exec, exec, s[22:23]
	s_and_saveexec_b64 s[22:23], s[6:7]
	s_cbranch_execnz .LBB53_42
.LBB53_35:                              ;   in Loop: Header=BB53_5 Depth=1
	s_or_b64 exec, exec, s[22:23]
	s_and_saveexec_b64 s[22:23], s[6:7]
	s_cbranch_execnz .LBB53_43
.LBB53_36:                              ;   in Loop: Header=BB53_5 Depth=1
	s_or_b64 exec, exec, s[22:23]
	s_and_saveexec_b64 s[22:23], s[6:7]
	s_cbranch_execnz .LBB53_44
.LBB53_37:                              ;   in Loop: Header=BB53_5 Depth=1
	s_or_b64 exec, exec, s[22:23]
	s_and_saveexec_b64 s[22:23], s[6:7]
	s_cbranch_execnz .LBB53_45
.LBB53_38:                              ;   in Loop: Header=BB53_5 Depth=1
	s_or_b64 exec, exec, s[22:23]
	s_and_saveexec_b64 s[22:23], s[6:7]
	s_cbranch_execnz .LBB53_46
.LBB53_39:                              ;   in Loop: Header=BB53_5 Depth=1
	s_or_b64 exec, exec, s[22:23]
	s_and_saveexec_b64 s[22:23], s[6:7]
	s_cbranch_execz .LBB53_3
	s_branch .LBB53_47
.LBB53_40:                              ;   in Loop: Header=BB53_5 Depth=1
	v_lshl_add_u64 v[4:5], v[60:61], 0, v[30:31]
	global_load_dword v2, v[4:5], off
	v_lshl_add_u64 v[4:5], v[62:63], 0, v[30:31]
	global_load_dword v10, v[4:5], off
	v_mov_b32_e32 v8, v3
	v_mov_b32_e32 v9, v3
	;; [unrolled: 1-line block ×6, first 2 shown]
	s_waitcnt vmcnt(1)
	v_mov_b64_e32 v[24:25], v[8:9]
	v_mov_b32_e32 v11, v3
	v_mov_b32_e32 v12, v3
	;; [unrolled: 1-line block ×7, first 2 shown]
	v_mov_b64_e32 v[22:23], v[6:7]
	v_mov_b64_e32 v[20:21], v[4:5]
	;; [unrolled: 1-line block ×3, first 2 shown]
	s_or_b64 exec, exec, s[22:23]
	s_and_saveexec_b64 s[22:23], s[6:7]
	s_cbranch_execz .LBB53_34
.LBB53_41:                              ;   in Loop: Header=BB53_5 Depth=1
	v_lshl_add_u64 v[4:5], v[56:57], 0, v[30:31]
	global_load_dword v19, v[4:5], off
	v_lshl_add_u64 v[4:5], v[58:59], 0, v[30:31]
	global_load_dword v11, v[4:5], off
	s_or_b64 exec, exec, s[22:23]
	s_and_saveexec_b64 s[22:23], s[6:7]
	s_cbranch_execz .LBB53_35
.LBB53_42:                              ;   in Loop: Header=BB53_5 Depth=1
	v_lshl_add_u64 v[4:5], v[52:53], 0, v[30:31]
	global_load_dword v20, v[4:5], off
	v_lshl_add_u64 v[4:5], v[54:55], 0, v[30:31]
	global_load_dword v12, v[4:5], off
	s_or_b64 exec, exec, s[22:23]
	s_and_saveexec_b64 s[22:23], s[6:7]
	s_cbranch_execz .LBB53_36
.LBB53_43:                              ;   in Loop: Header=BB53_5 Depth=1
	v_lshl_add_u64 v[4:5], v[48:49], 0, v[30:31]
	global_load_dword v21, v[4:5], off
	v_lshl_add_u64 v[4:5], v[50:51], 0, v[30:31]
	global_load_dword v13, v[4:5], off
	s_or_b64 exec, exec, s[22:23]
	s_and_saveexec_b64 s[22:23], s[6:7]
	s_cbranch_execz .LBB53_37
.LBB53_44:                              ;   in Loop: Header=BB53_5 Depth=1
	v_lshl_add_u64 v[4:5], v[44:45], 0, v[30:31]
	global_load_dword v22, v[4:5], off
	v_lshl_add_u64 v[4:5], v[46:47], 0, v[30:31]
	global_load_dword v14, v[4:5], off
	s_or_b64 exec, exec, s[22:23]
	s_and_saveexec_b64 s[22:23], s[6:7]
	s_cbranch_execz .LBB53_38
.LBB53_45:                              ;   in Loop: Header=BB53_5 Depth=1
	v_lshl_add_u64 v[4:5], v[40:41], 0, v[30:31]
	global_load_dword v23, v[4:5], off
	v_lshl_add_u64 v[4:5], v[42:43], 0, v[30:31]
	global_load_dword v15, v[4:5], off
	s_or_b64 exec, exec, s[22:23]
	s_and_saveexec_b64 s[22:23], s[6:7]
	s_cbranch_execz .LBB53_39
.LBB53_46:                              ;   in Loop: Header=BB53_5 Depth=1
	v_lshl_add_u64 v[4:5], v[36:37], 0, v[30:31]
	global_load_dword v24, v[4:5], off
	v_lshl_add_u64 v[4:5], v[38:39], 0, v[30:31]
	global_load_dword v16, v[4:5], off
	s_or_b64 exec, exec, s[22:23]
	s_and_saveexec_b64 s[22:23], s[6:7]
	s_cbranch_execz .LBB53_3
.LBB53_47:                              ;   in Loop: Header=BB53_5 Depth=1
	v_lshl_add_u64 v[4:5], v[32:33], 0, v[30:31]
	global_load_dword v25, v[4:5], off
	v_lshl_add_u64 v[4:5], v[34:35], 0, v[30:31]
	global_load_dword v17, v[4:5], off
	s_branch .LBB53_3
.LBB53_48:
                                        ; implicit-def: $vgpr27
	s_branch .LBB53_50
.LBB53_49:
	s_cbranch_execnz .LBB53_81
.LBB53_50:
	v_mov_b32_e32 v27, 0
	s_mov_b32 s20, 0
	s_and_b64 vcc, exec, s[4:5]
	v_mov_b32_e32 v26, v27
	s_cbranch_vccnz .LBB53_81
; %bb.51:
	v_and_b32_e32 v1, 0x3ff, v0
	v_add_u32_e32 v2, s3, v1
	v_mov_b32_e32 v3, 0
	v_bfe_u32 v88, v0, 10, 10
	v_lshlrev_b64 v[22:23], 2, v[2:3]
	v_lshlrev_b32_e32 v2, 5, v88
	v_lshl_add_u64 v[4:5], s[10:11], 2, v[2:3]
	v_lshl_add_u64 v[6:7], v[4:5], 0, 4
	v_mov_b64_e32 v[8:9], s[16:17]
	v_lshl_add_u64 v[10:11], v[4:5], 0, 8
	v_lshl_add_u64 v[12:13], v[4:5], 0, 12
	;; [unrolled: 1-line block ×6, first 2 shown]
	v_mad_u64_u32 v[24:25], s[4:5], s14, v6, v[8:9]
	v_mad_u64_u32 v[28:29], s[4:5], s14, v10, v[8:9]
	;; [unrolled: 1-line block ×7, first 2 shown]
	v_mov_b64_e32 v[8:9], s[18:19]
	v_mul_lo_u32 v15, s14, v15
	v_mul_lo_u32 v48, s15, v14
	v_mad_u64_u32 v[46:47], s[4:5], s14, v14, v[8:9]
	v_add3_u32 v33, v48, v33, v15
	v_mul_lo_u32 v17, s14, v17
	v_mul_lo_u32 v50, s15, v16
	v_add3_u32 v47, v48, v47, v15
	v_mad_u64_u32 v[48:49], s[4:5], s14, v16, v[8:9]
	v_lshlrev_b32_e32 v20, 3, v88
	v_mov_b32_e32 v21, v3
	v_mul_lo_u32 v2, s14, v7
	v_mul_lo_u32 v7, s15, v6
	v_add3_u32 v35, v50, v35, v17
	v_mul_lo_u32 v19, s14, v19
	v_mul_lo_u32 v52, s15, v18
	v_mad_u64_u32 v[40:41], s[4:5], s14, v6, v[8:9]
	v_add3_u32 v49, v50, v49, v17
	v_mad_u64_u32 v[50:51], s[4:5], s14, v18, v[8:9]
	v_add3_u32 v25, v7, v25, v2
	v_add3_u32 v37, v52, v37, v19
	v_mul_lo_u32 v5, s14, v5
	v_mul_lo_u32 v54, s15, v4
	v_add3_u32 v41, v7, v41, v2
	v_lshl_add_u64 v[6:7], v[20:21], 0, s[10:11]
	v_add3_u32 v51, v52, v51, v19
	v_mad_u64_u32 v[52:53], s[4:5], s14, v4, v[8:9]
	v_add3_u32 v39, v54, v39, v5
	v_add3_u32 v53, v54, v53, v5
	v_lshl_add_u64 v[4:5], v[6:7], 0, 7
	v_mad_u64_u32 v[42:43], s[4:5], s14, v10, v[8:9]
	v_mad_u64_u32 v[44:45], s[4:5], s14, v12, v[8:9]
	v_mul_lo_u32 v8, s15, v4
	v_mul_lo_u32 v9, s14, v5
	v_mad_u64_u32 v[4:5], s[4:5], s14, v4, 0
	v_mul_lo_u32 v11, s14, v11
	v_mul_lo_u32 v26, s15, v10
	v_add3_u32 v5, v5, v9, v8
	v_lshl_add_u64 v[8:9], v[6:7], 0, 6
	v_add3_u32 v29, v26, v29, v11
	v_add3_u32 v43, v26, v43, v11
	v_mul_lo_u32 v10, s15, v8
	v_mul_lo_u32 v11, s14, v9
	v_mad_u64_u32 v[8:9], s[4:5], s14, v8, 0
	v_mul_lo_u32 v13, s14, v13
	v_mul_lo_u32 v27, s15, v12
	v_add3_u32 v9, v9, v11, v10
	v_lshl_add_u64 v[10:11], v[6:7], 0, 5
	v_add3_u32 v31, v27, v31, v13
	v_add3_u32 v45, v27, v45, v13
	v_mul_lo_u32 v12, s15, v10
	v_mul_lo_u32 v13, s14, v11
	v_mad_u64_u32 v[10:11], s[4:5], s14, v10, 0
	v_add3_u32 v11, v11, v13, v12
	v_lshl_add_u64 v[12:13], v[6:7], 0, 4
	v_mul_lo_u32 v14, s15, v12
	v_mul_lo_u32 v15, s14, v13
	v_mad_u64_u32 v[12:13], s[4:5], s14, v12, 0
	v_add3_u32 v13, v13, v15, v14
	v_lshl_add_u64 v[14:15], v[6:7], 0, 3
	;; [unrolled: 5-line block ×3, first 2 shown]
	s_load_dword s3, s[0:1], 0x44
	v_mul_lo_u32 v18, s15, v16
	v_mul_lo_u32 v19, s14, v17
	v_mad_u64_u32 v[16:17], s[4:5], s14, v16, 0
	v_lshlrev_b64 v[4:5], 2, v[4:5]
	v_add3_u32 v17, v17, v19, v18
	v_mov_b64_e32 v[18:19], s[14:15]
	v_lshl_add_u64 v[58:59], s[16:17], 0, v[4:5]
	v_lshl_add_u64 v[60:61], s[18:19], 0, v[4:5]
	v_lshlrev_b64 v[4:5], 2, v[8:9]
	v_mul_lo_u32 v2, s15, v6
	v_mad_u64_u32 v[18:19], s[4:5], s14, v6, v[18:19]
	v_mul_lo_u32 v26, s14, v7
	v_mad_u64_u32 v[6:7], s[4:5], s14, v6, 0
	v_lshl_add_u64 v[62:63], s[16:17], 0, v[4:5]
	v_lshl_add_u64 v[64:65], s[18:19], 0, v[4:5]
	v_lshlrev_b64 v[4:5], 2, v[10:11]
	s_add_u32 s4, s0, 64
	v_lshl_add_u64 v[66:67], s[16:17], 0, v[4:5]
	v_lshl_add_u64 v[68:69], s[18:19], 0, v[4:5]
	v_lshlrev_b64 v[4:5], 2, v[12:13]
	v_add3_u32 v7, v7, v26, v2
	v_add3_u32 v19, v2, v19, v26
	s_addc_u32 s5, s1, 0
	s_waitcnt lgkmcnt(0)
	s_lshl_b32 s6, s3, 3
	v_lshl_add_u64 v[70:71], s[16:17], 0, v[4:5]
	v_lshl_add_u64 v[72:73], s[18:19], 0, v[4:5]
	v_lshlrev_b64 v[4:5], 2, v[14:15]
	v_mbcnt_lo_u32_b32 v2, -1, 0
	s_mul_i32 s3, s15, s6
	s_mul_hi_u32 s9, s14, s6
	v_lshl_add_u64 v[74:75], s[16:17], 0, v[4:5]
	v_lshl_add_u64 v[76:77], s[18:19], 0, v[4:5]
	v_lshlrev_b64 v[4:5], 2, v[16:17]
	v_mbcnt_hi_u32_b32 v2, -1, v2
	s_add_i32 s23, s9, s3
	s_mul_i32 s22, s14, s6
	v_lshlrev_b64 v[6:7], 2, v[6:7]
	v_lshl_add_u64 v[78:79], s[16:17], 0, v[4:5]
	v_lshl_add_u64 v[80:81], s[18:19], 0, v[4:5]
	v_lshlrev_b64 v[4:5], 2, v[18:19]
	v_lshlrev_b32_e32 v2, 2, v2
	s_mov_b32 s7, s20
	s_lshl_b64 s[34:35], s[22:23], 2
	v_lshl_add_u64 v[54:55], s[16:17], 0, v[6:7]
	v_lshl_add_u64 v[56:57], s[18:19], 0, v[6:7]
	s_mov_b64 s[36:37], 7
	v_lshl_add_u64 v[82:83], s[16:17], 0, v[4:5]
	v_lshl_add_u64 v[84:85], s[18:19], 0, v[4:5]
	v_and_b32_e32 v89, 0x100, v2
	s_mov_b64 s[16:17], s[10:11]
	v_mov_b32_e32 v26, v3
	v_mov_b32_e32 v27, v3
	s_branch .LBB53_55
.LBB53_52:                              ;   in Loop: Header=BB53_55 Depth=1
	s_or_b64 exec, exec, s[22:23]
.LBB53_53:                              ;   in Loop: Header=BB53_55 Depth=1
	s_or_b64 exec, exec, s[18:19]
	v_lshl_add_u64 v[4:5], v[54:55], 0, v[22:23]
	v_lshl_add_u64 v[10:11], v[40:41], 0, v[22:23]
	global_load_dword v5, v[4:5], off
	v_lshl_add_u64 v[8:9], v[56:57], 0, v[22:23]
	global_load_dword v4, v[10:11], off
	;; [unrolled: 2-line block ×5, first 2 shown]
	s_waitcnt vmcnt(6)
	ds_bpermute_b32 v90, v89, v6
	global_load_dword v8, v[10:11], off
	v_lshl_add_u64 v[10:11], v[30:31], 0, v[22:23]
	global_load_dword v15, v[10:11], off
	v_lshl_add_u64 v[10:11], v[44:45], 0, v[22:23]
	;; [unrolled: 2-line block ×10, first 2 shown]
	global_load_dword v11, v[10:11], off
	ds_bpermute_b32 v92, v89, v6 offset:4
	s_waitcnt vmcnt(16)
	ds_bpermute_b32 v10, v89, v7
	ds_bpermute_b32 v94, v89, v6 offset:8
	ds_bpermute_b32 v96, v89, v6 offset:12
	;; [unrolled: 1-line block ×13, first 2 shown]
	s_waitcnt vmcnt(14) lgkmcnt(14)
	v_sub_f32_e32 v4, v4, v92
	s_waitcnt vmcnt(13)
	v_sub_f32_e32 v2, v2, v90
	v_mul_f32_e32 v2, v5, v2
	s_waitcnt vmcnt(10) lgkmcnt(12)
	v_sub_f32_e32 v8, v8, v94
	v_mul_f32_e32 v90, v13, v8
	s_waitcnt vmcnt(8) lgkmcnt(11)
	;; [unrolled: 3-line block ×3, first 2 shown]
	v_sub_f32_e32 v14, v14, v98
	s_waitcnt lgkmcnt(5)
	v_mul_f32_e32 v12, v90, v93
	s_waitcnt vmcnt(6)
	v_sub_f32_e32 v16, v16, v100
	s_waitcnt vmcnt(5)
	v_sub_f32_e32 v18, v18, v102
	;; [unrolled: 2-line block ×3, first 2 shown]
	v_mul_f32_e32 v86, v9, v4
	v_mul_f32_e32 v4, v2, v10
	;; [unrolled: 1-line block ×3, first 2 shown]
	v_pk_add_f32 v[4:5], v[26:27], v[4:5]
	s_waitcnt vmcnt(3)
	v_mul_f32_e32 v94, v17, v14
	v_pk_add_f32 v[4:5], v[4:5], v[8:9]
	s_waitcnt lgkmcnt(4)
	v_mul_f32_e32 v14, v92, v95
	v_pk_add_f32 v[4:5], v[4:5], v[12:13]
	s_waitcnt vmcnt(2)
	v_mul_f32_e32 v96, v19, v16
	s_waitcnt lgkmcnt(3)
	v_mul_f32_e32 v16, v94, v97
	v_pk_add_f32 v[4:5], v[4:5], v[14:15]
	s_waitcnt vmcnt(1)
	v_mul_f32_e32 v98, v87, v18
	;; [unrolled: 5-line block ×3, first 2 shown]
	s_waitcnt lgkmcnt(1)
	v_mul_f32_e32 v86, v98, v101
	v_pk_add_f32 v[4:5], v[4:5], v[18:19]
	s_waitcnt lgkmcnt(0)
	v_mul_f32_e32 v10, v6, v7
	v_pk_add_f32 v[4:5], v[4:5], v[86:87]
.LBB53_54:                              ;   in Loop: Header=BB53_55 Depth=1
	s_add_u32 s16, s16, s6
	v_pk_add_f32 v[26:27], v[4:5], v[10:11]
	s_addc_u32 s17, s17, 0
	v_mov_b64_e32 v[4:5], s[12:13]
	s_add_u32 s36, s36, s6
	v_cmp_ge_i64_e32 vcc, s[16:17], v[4:5]
	v_lshl_add_u64 v[20:21], v[20:21], 0, s[6:7]
	v_lshl_add_u64 v[24:25], v[24:25], 0, s[34:35]
	;; [unrolled: 1-line block ×31, first 2 shown]
	s_addc_u32 s37, s37, 0
	s_cbranch_vccnz .LBB53_81
.LBB53_55:                              ; =>This Inner Loop Header: Depth=1
	s_add_u32 s18, s10, s36
	s_addc_u32 s19, 0, s37
	v_mov_b64_e32 v[4:5], s[12:13]
	v_cmp_ge_i64_e32 vcc, s[18:19], v[4:5]
	v_lshl_add_u64 v[86:87], s[10:11], 0, v[20:21]
	s_cbranch_vccz .LBB53_77
; %bb.56:                               ;   in Loop: Header=BB53_55 Depth=1
	s_load_dword s3, s[4:5], 0xc
	v_mov_b32_e32 v90, 0
	v_mov_b32_e32 v91, 0
	s_waitcnt lgkmcnt(0)
	s_and_b32 s3, s3, 0xffff
	v_mad_u32_u24 v2, v88, s3, v1
	v_and_b32_e32 v2, 63, v2
	v_cmp_gt_u32_e32 vcc, 8, v2
	s_and_saveexec_b64 s[18:19], vcc
	s_cbranch_execz .LBB53_60
; %bb.57:                               ;   in Loop: Header=BB53_55 Depth=1
	v_lshl_add_u64 v[4:5], v[86:87], 0, v[2:3]
	v_cmp_gt_i64_e32 vcc, s[12:13], v[4:5]
	v_mov_b32_e32 v91, 0
	v_mov_b32_e32 v90, 0
	s_and_saveexec_b64 s[22:23], vcc
	s_cbranch_execz .LBB53_59
; %bb.58:                               ;   in Loop: Header=BB53_55 Depth=1
	v_lshlrev_b64 v[4:5], 2, v[4:5]
	v_lshl_add_u64 v[6:7], s[30:31], 0, v[4:5]
	v_lshl_add_u64 v[4:5], s[28:29], 0, v[4:5]
	global_load_dword v91, v[4:5], off
	global_load_dword v90, v[6:7], off
.LBB53_59:                              ;   in Loop: Header=BB53_55 Depth=1
	s_or_b64 exec, exec, s[22:23]
.LBB53_60:                              ;   in Loop: Header=BB53_55 Depth=1
	s_or_b64 exec, exec, s[18:19]
	s_mov_b32 s21, s20
	s_mov_b32 s22, s20
	;; [unrolled: 1-line block ×7, first 2 shown]
	v_mov_b64_e32 v[12:13], s[20:21]
	v_mov_b64_e32 v[14:15], s[22:23]
	;; [unrolled: 1-line block ×5, first 2 shown]
	v_cmp_gt_i64_e32 vcc, s[12:13], v[86:87]
	v_mov_b64_e32 v[6:7], v[14:15]
	v_mov_b64_e32 v[8:9], v[16:17]
	;; [unrolled: 1-line block ×3, first 2 shown]
	s_and_saveexec_b64 s[18:19], vcc
	s_cbranch_execz .LBB53_62
; %bb.61:                               ;   in Loop: Header=BB53_55 Depth=1
	v_lshl_add_u64 v[4:5], v[54:55], 0, v[22:23]
	global_load_dword v2, v[4:5], off
	v_lshl_add_u64 v[4:5], v[56:57], 0, v[22:23]
	global_load_dword v12, v[4:5], off
	v_mov_b32_e32 v4, v3
	v_mov_b32_e32 v5, v3
	;; [unrolled: 1-line block ×6, first 2 shown]
	s_waitcnt vmcnt(1)
	v_mov_b64_e32 v[10:11], v[8:9]
	v_mov_b32_e32 v13, v3
	v_mov_b32_e32 v14, v3
	;; [unrolled: 1-line block ×7, first 2 shown]
	v_mov_b64_e32 v[8:9], v[6:7]
	v_mov_b64_e32 v[6:7], v[4:5]
	;; [unrolled: 1-line block ×3, first 2 shown]
.LBB53_62:                              ;   in Loop: Header=BB53_55 Depth=1
	s_or_b64 exec, exec, s[18:19]
	v_lshl_add_u64 v[92:93], v[86:87], 0, 1
	v_cmp_gt_i64_e32 vcc, s[12:13], v[92:93]
	s_and_saveexec_b64 s[18:19], vcc
	s_cbranch_execz .LBB53_64
; %bb.63:                               ;   in Loop: Header=BB53_55 Depth=1
	v_lshl_add_u64 v[92:93], v[82:83], 0, v[22:23]
	global_load_dword v5, v[92:93], off
	v_lshl_add_u64 v[92:93], v[84:85], 0, v[22:23]
	global_load_dword v13, v[92:93], off
.LBB53_64:                              ;   in Loop: Header=BB53_55 Depth=1
	s_or_b64 exec, exec, s[18:19]
	v_lshl_add_u64 v[92:93], v[86:87], 0, 2
	v_cmp_gt_i64_e32 vcc, s[12:13], v[92:93]
	s_and_saveexec_b64 s[18:19], vcc
	s_cbranch_execz .LBB53_66
; %bb.65:                               ;   in Loop: Header=BB53_55 Depth=1
	v_lshl_add_u64 v[92:93], v[78:79], 0, v[22:23]
	global_load_dword v6, v[92:93], off
	v_lshl_add_u64 v[92:93], v[80:81], 0, v[22:23]
	global_load_dword v14, v[92:93], off
.LBB53_66:                              ;   in Loop: Header=BB53_55 Depth=1
	;; [unrolled: 11-line block ×7, first 2 shown]
	s_or_b64 exec, exec, s[18:19]
	s_waitcnt vmcnt(1)
	ds_bpermute_b32 v2, v89, v91
	ds_bpermute_b32 v92, v89, v91 offset:4
	s_waitcnt vmcnt(0)
	ds_bpermute_b32 v93, v89, v90
	ds_bpermute_b32 v94, v89, v90 offset:4
	v_mov_b32_e32 v95, v7
	s_waitcnt lgkmcnt(3)
	v_sub_f32_e32 v2, v12, v2
	v_mul_f32_e32 v2, v4, v2
	s_waitcnt lgkmcnt(2)
	v_sub_f32_e32 v13, v13, v92
	s_waitcnt lgkmcnt(1)
	v_mul_f32_e32 v12, v2, v93
	ds_bpermute_b32 v2, v89, v91 offset:8
	v_mul_f32_e32 v13, v5, v13
	s_waitcnt lgkmcnt(1)
	v_mul_f32_e32 v92, v13, v94
	ds_bpermute_b32 v13, v89, v90 offset:8
	ds_bpermute_b32 v93, v89, v91 offset:12
	;; [unrolled: 1-line block ×3, first 2 shown]
	s_waitcnt lgkmcnt(3)
	v_sub_f32_e32 v2, v14, v2
	v_mul_f32_e32 v2, v6, v2
	s_waitcnt lgkmcnt(2)
	v_mul_f32_e32 v14, v2, v13
	s_waitcnt lgkmcnt(1)
	v_sub_f32_e32 v2, v15, v93
	ds_bpermute_b32 v13, v89, v91 offset:16
	v_mul_f32_e32 v2, v7, v2
	s_waitcnt lgkmcnt(1)
	v_mul_f32_e32 v94, v2, v94
	ds_bpermute_b32 v2, v89, v90 offset:16
	ds_bpermute_b32 v15, v89, v91 offset:20
	ds_bpermute_b32 v93, v89, v90 offset:20
	s_waitcnt lgkmcnt(3)
	v_sub_f32_e32 v13, v16, v13
	v_mul_f32_e32 v13, v8, v13
	s_waitcnt lgkmcnt(2)
	v_mul_f32_e32 v16, v13, v2
	s_waitcnt lgkmcnt(1)
	v_sub_f32_e32 v2, v17, v15
	v_mul_f32_e32 v2, v9, v2
	s_waitcnt lgkmcnt(0)
	v_mul_f32_e32 v96, v2, v93
	ds_bpermute_b32 v2, v89, v91 offset:24
	v_mov_b32_e32 v15, v6
	ds_bpermute_b32 v6, v89, v90 offset:24
	v_mov_b32_e32 v13, v4
	v_pk_add_f32 v[12:13], v[26:27], v[12:13]
	v_mov_b32_e32 v93, v5
	v_pk_add_f32 v[4:5], v[92:93], v[12:13]
	v_mov_b32_e32 v17, v8
	s_waitcnt lgkmcnt(1)
	v_sub_f32_e32 v2, v18, v2
	ds_bpermute_b32 v8, v89, v91 offset:28
	v_pk_add_f32 v[4:5], v[14:15], v[4:5]
	v_mul_f32_e32 v2, v10, v2
	v_pk_add_f32 v[4:5], v[94:95], v[4:5]
	s_waitcnt lgkmcnt(1)
	v_mul_f32_e32 v6, v2, v6
	ds_bpermute_b32 v2, v89, v90 offset:28
	v_pk_add_f32 v[4:5], v[16:17], v[4:5]
	v_mov_b32_e32 v97, v9
	v_pk_add_f32 v[4:5], v[96:97], v[4:5]
	v_mov_b32_e32 v7, v10
	v_pk_add_f32 v[4:5], v[6:7], v[4:5]
	s_waitcnt lgkmcnt(1)
	v_sub_f32_e32 v6, v19, v8
	v_mul_f32_e32 v6, v11, v6
	s_waitcnt lgkmcnt(0)
	v_mul_f32_e32 v10, v6, v2
	s_branch .LBB53_54
.LBB53_77:                              ;   in Loop: Header=BB53_55 Depth=1
                                        ; implicit-def: $vgpr4_vgpr5
                                        ; implicit-def: $vgpr10_vgpr11
	s_cbranch_execz .LBB53_54
; %bb.78:                               ;   in Loop: Header=BB53_55 Depth=1
	s_load_dword s3, s[4:5], 0x0
	v_mov_b32_e32 v7, 0
	v_mov_b32_e32 v6, 0
	s_waitcnt lgkmcnt(0)
	s_cmp_lt_u32 s2, s3
	s_cselect_b32 s3, 12, 18
	s_add_u32 s18, s4, s3
	s_addc_u32 s19, s5, 0
	global_load_ushort v2, v3, s[18:19]
	s_waitcnt vmcnt(0)
	v_mad_u32_u24 v2, v88, v2, v1
	v_and_b32_e32 v2, 63, v2
	v_cmp_gt_u32_e32 vcc, 8, v2
	s_and_saveexec_b64 s[18:19], vcc
	s_cbranch_execz .LBB53_53
; %bb.79:                               ;   in Loop: Header=BB53_55 Depth=1
	v_lshl_add_u64 v[4:5], v[86:87], 0, v[2:3]
	v_cmp_gt_i64_e32 vcc, s[12:13], v[4:5]
	v_mov_b32_e32 v6, 0
	v_mov_b32_e32 v7, 0
	s_and_saveexec_b64 s[22:23], vcc
	s_cbranch_execz .LBB53_52
; %bb.80:                               ;   in Loop: Header=BB53_55 Depth=1
	v_lshlrev_b64 v[4:5], 2, v[4:5]
	v_lshl_add_u64 v[8:9], s[30:31], 0, v[4:5]
	v_lshl_add_u64 v[4:5], s[28:29], 0, v[4:5]
	global_load_dword v6, v[4:5], off
	global_load_dword v7, v[8:9], off
	s_branch .LBB53_52
.LBB53_81:
	s_mov_b32 s3, 0
	s_lshl_b64 s[2:3], s[2:3], 6
	v_and_b32_e32 v1, 0x3ff, v0
	v_or_b32_e32 v2, s2, v1
	v_mov_b32_e32 v3, s3
	v_cmp_gt_i64_e32 vcc, s[14:15], v[2:3]
	s_and_saveexec_b64 s[2:3], vcc
	s_cbranch_execz .LBB53_86
; %bb.82:
	s_load_dword s2, s[0:1], 0x4c
	s_load_dwordx4 s[4:7], s[0:1], 0x30
	v_bfe_u32 v0, v0, 10, 10
	v_mov_b32_e32 v1, 0
	v_mov_b32_e32 v4, s8
	s_waitcnt lgkmcnt(0)
	s_lshr_b32 s0, s2, 16
	v_mad_u64_u32 v[0:1], s[0:1], s0, v4, v[0:1]
	s_cmp_eq_u64 s[4:5], 0
	v_mul_lo_u32 v1, v1, s14
	v_mul_lo_u32 v4, v0, s15
	s_cbranch_scc1 .LBB53_84
; %bb.83:
	v_mad_u64_u32 v[6:7], s[0:1], v0, s14, 0
	v_add3_u32 v7, v7, v4, v1
	v_lshl_add_u64 v[6:7], v[6:7], 2, s[4:5]
	v_lshl_add_u64 v[6:7], v[2:3], 2, v[6:7]
	global_store_dword v[6:7], v26, off
.LBB53_84:
	s_cmp_eq_u64 s[6:7], 0
	s_cbranch_scc1 .LBB53_86
; %bb.85:
	v_mad_u64_u32 v[6:7], s[0:1], v0, s14, 0
	v_add3_u32 v7, v7, v4, v1
	v_lshl_add_u64 v[0:1], v[6:7], 2, s[6:7]
	v_lshl_add_u64 v[0:1], v[2:3], 2, v[0:1]
	global_store_dword v[0:1], v27, off
.LBB53_86:
	s_endpgm
	.section	.rodata,"a",@progbits
	.p2align	6, 0x0
	.amdhsa_kernel _ZN2at6native12_GLOBAL__N_135GammaBetaBackwardCUDAKernelTemplateIffLj64ELj1ELj8ELb1ELb0ELb0EEEvllPKT_S5_PKT0_S8_PS3_S9_
		.amdhsa_group_segment_fixed_size 0
		.amdhsa_private_segment_fixed_size 0
		.amdhsa_kernarg_size 320
		.amdhsa_user_sgpr_count 2
		.amdhsa_user_sgpr_dispatch_ptr 0
		.amdhsa_user_sgpr_queue_ptr 0
		.amdhsa_user_sgpr_kernarg_segment_ptr 1
		.amdhsa_user_sgpr_dispatch_id 0
		.amdhsa_user_sgpr_kernarg_preload_length 0
		.amdhsa_user_sgpr_kernarg_preload_offset 0
		.amdhsa_user_sgpr_private_segment_size 0
		.amdhsa_uses_dynamic_stack 0
		.amdhsa_enable_private_segment 0
		.amdhsa_system_sgpr_workgroup_id_x 1
		.amdhsa_system_sgpr_workgroup_id_y 1
		.amdhsa_system_sgpr_workgroup_id_z 0
		.amdhsa_system_sgpr_workgroup_info 0
		.amdhsa_system_vgpr_workitem_id 1
		.amdhsa_next_free_vgpr 103
		.amdhsa_next_free_sgpr 46
		.amdhsa_accum_offset 104
		.amdhsa_reserve_vcc 1
		.amdhsa_float_round_mode_32 0
		.amdhsa_float_round_mode_16_64 0
		.amdhsa_float_denorm_mode_32 3
		.amdhsa_float_denorm_mode_16_64 3
		.amdhsa_dx10_clamp 1
		.amdhsa_ieee_mode 1
		.amdhsa_fp16_overflow 0
		.amdhsa_tg_split 0
		.amdhsa_exception_fp_ieee_invalid_op 0
		.amdhsa_exception_fp_denorm_src 0
		.amdhsa_exception_fp_ieee_div_zero 0
		.amdhsa_exception_fp_ieee_overflow 0
		.amdhsa_exception_fp_ieee_underflow 0
		.amdhsa_exception_fp_ieee_inexact 0
		.amdhsa_exception_int_div_zero 0
	.end_amdhsa_kernel
	.section	.text._ZN2at6native12_GLOBAL__N_135GammaBetaBackwardCUDAKernelTemplateIffLj64ELj1ELj8ELb1ELb0ELb0EEEvllPKT_S5_PKT0_S8_PS3_S9_,"axG",@progbits,_ZN2at6native12_GLOBAL__N_135GammaBetaBackwardCUDAKernelTemplateIffLj64ELj1ELj8ELb1ELb0ELb0EEEvllPKT_S5_PKT0_S8_PS3_S9_,comdat
.Lfunc_end53:
	.size	_ZN2at6native12_GLOBAL__N_135GammaBetaBackwardCUDAKernelTemplateIffLj64ELj1ELj8ELb1ELb0ELb0EEEvllPKT_S5_PKT0_S8_PS3_S9_, .Lfunc_end53-_ZN2at6native12_GLOBAL__N_135GammaBetaBackwardCUDAKernelTemplateIffLj64ELj1ELj8ELb1ELb0ELb0EEEvllPKT_S5_PKT0_S8_PS3_S9_
                                        ; -- End function
	.section	.AMDGPU.csdata,"",@progbits
; Kernel info:
; codeLenInByte = 6572
; NumSgprs: 52
; NumVgprs: 103
; NumAgprs: 0
; TotalNumVgprs: 103
; ScratchSize: 0
; MemoryBound: 0
; FloatMode: 240
; IeeeMode: 1
; LDSByteSize: 0 bytes/workgroup (compile time only)
; SGPRBlocks: 6
; VGPRBlocks: 12
; NumSGPRsForWavesPerEU: 52
; NumVGPRsForWavesPerEU: 103
; AccumOffset: 104
; Occupancy: 4
; WaveLimiterHint : 0
; COMPUTE_PGM_RSRC2:SCRATCH_EN: 0
; COMPUTE_PGM_RSRC2:USER_SGPR: 2
; COMPUTE_PGM_RSRC2:TRAP_HANDLER: 0
; COMPUTE_PGM_RSRC2:TGID_X_EN: 1
; COMPUTE_PGM_RSRC2:TGID_Y_EN: 1
; COMPUTE_PGM_RSRC2:TGID_Z_EN: 0
; COMPUTE_PGM_RSRC2:TIDIG_COMP_CNT: 1
; COMPUTE_PGM_RSRC3_GFX90A:ACCUM_OFFSET: 25
; COMPUTE_PGM_RSRC3_GFX90A:TG_SPLIT: 0
	.section	.text._ZN2at6native12_GLOBAL__N_135GammaBetaBackwardCUDAKernelTemplateIffLj64ELj8ELj64ELb0ELb1ELb0EEEvllPKT_S5_PKT0_S8_PS3_S9_,"axG",@progbits,_ZN2at6native12_GLOBAL__N_135GammaBetaBackwardCUDAKernelTemplateIffLj64ELj8ELj64ELb0ELb1ELb0EEEvllPKT_S5_PKT0_S8_PS3_S9_,comdat
	.globl	_ZN2at6native12_GLOBAL__N_135GammaBetaBackwardCUDAKernelTemplateIffLj64ELj8ELj64ELb0ELb1ELb0EEEvllPKT_S5_PKT0_S8_PS3_S9_ ; -- Begin function _ZN2at6native12_GLOBAL__N_135GammaBetaBackwardCUDAKernelTemplateIffLj64ELj8ELj64ELb0ELb1ELb0EEEvllPKT_S5_PKT0_S8_PS3_S9_
	.p2align	8
	.type	_ZN2at6native12_GLOBAL__N_135GammaBetaBackwardCUDAKernelTemplateIffLj64ELj8ELj64ELb0ELb1ELb0EEEvllPKT_S5_PKT0_S8_PS3_S9_,@function
_ZN2at6native12_GLOBAL__N_135GammaBetaBackwardCUDAKernelTemplateIffLj64ELj8ELj64ELb0ELb1ELb0EEEvllPKT_S5_PKT0_S8_PS3_S9_: ; @_ZN2at6native12_GLOBAL__N_135GammaBetaBackwardCUDAKernelTemplateIffLj64ELj8ELj64ELb0ELb1ELb0EEEvllPKT_S5_PKT0_S8_PS3_S9_
; %bb.0:
	s_load_dwordx4 s[16:19], s[0:1], 0x0
	s_lshl_b32 s6, s3, 6
	s_mov_b32 s7, 0
	v_bfe_u32 v12, v0, 10, 10
	s_waitcnt lgkmcnt(0)
	v_mov_b64_e32 v[2:3], s[16:17]
	v_cmp_lt_i64_e32 vcc, s[6:7], v[2:3]
	s_cbranch_vccnz .LBB54_2
; %bb.1:
	s_mov_b64 s[4:5], 0
	v_bfe_u32 v4, v0, 10, 10
	s_branch .LBB54_3
.LBB54_2:
	s_mov_b64 s[4:5], -1
                                        ; implicit-def: $vgpr4
.LBB54_3:
	v_and_b32_e32 v10, 0x3ff, v0
	s_andn2_b64 vcc, exec, s[4:5]
	v_mov_b32_e32 v1, s7
	v_mbcnt_lo_u32_b32 v11, -1, 0
	v_mov_b32_e32 v0, s7
	s_cbranch_vccnz .LBB54_11
; %bb.4:
	s_load_dword s3, s[0:1], 0x4c
	s_load_dword s20, s[0:1], 0x44
	s_load_dwordx8 s[8:15], s[0:1], 0x10
	v_lshlrev_b32_e32 v0, 3, v12
	v_mbcnt_hi_u32_b32 v4, -1, v11
	s_waitcnt lgkmcnt(0)
	s_and_b32 s3, s3, 0xffff
	v_mad_u32_u24 v1, v12, s3, v10
	v_and_b32_e32 v2, 63, v1
	v_mov_b32_e32 v1, 0
	v_mov_b32_e32 v3, v1
	v_lshl_add_u64 v[8:9], v[0:1], 0, s[6:7]
	v_cmp_gt_u32_e64 s[4:5], 8, v2
	s_lshl_b32 s20, s20, 6
	v_lshl_add_u64 v[2:3], v[8:9], 0, v[2:3]
	v_mul_lo_u32 v0, s19, v8
	v_mul_lo_u32 v21, s18, v9
	v_mad_u64_u32 v[8:9], s[24:25], s18, v8, 0
	v_lshl_add_u32 v6, s2, 6, v10
	v_mov_b32_e32 v7, v1
	v_lshlrev_b32_e32 v4, 2, v4
	s_mul_i32 s3, s19, s20
	s_mul_hi_u32 s24, s18, s20
	s_mov_b32 s21, 0
	v_and_b32_e32 v13, 0x100, v4
	v_add3_u32 v9, v9, v21, v0
	v_lshlrev_b64 v[6:7], 2, v[6:7]
	s_add_i32 s25, s24, s3
	s_mul_i32 s24, s18, s20
	v_or_b32_e32 v14, 4, v13
	v_or_b32_e32 v15, 8, v13
	;; [unrolled: 1-line block ×7, first 2 shown]
	v_lshlrev_b64 v[4:5], 2, v[2:3]
	s_lshl_b64 s[22:23], s[20:21], 2
	v_lshl_add_u64 v[6:7], v[8:9], 2, v[6:7]
	s_lshl_b64 s[24:25], s[24:25], 2
	s_lshl_b64 s[18:19], s[18:19], 2
	v_mov_b64_e32 v[8:9], s[16:17]
	v_mov_b32_e32 v0, v1
	s_branch .LBB54_7
.LBB54_5:                               ;   in Loop: Header=BB54_7 Depth=1
	s_or_b64 exec, exec, s[28:29]
.LBB54_6:                               ;   in Loop: Header=BB54_7 Depth=1
	s_or_b64 exec, exec, s[26:27]
	v_lshl_add_u64 v[26:27], s[10:11], 0, v[6:7]
	v_lshl_add_u64 v[24:25], s[8:9], 0, v[6:7]
	global_load_dword v28, v[26:27], off
	v_lshl_add_u64 v[26:27], v[26:27], 0, s[18:19]
	global_load_dword v23, v[24:25], off
	;; [unrolled: 2-line block ×5, first 2 shown]
	global_load_dword v31, v[24:25], off
	v_lshl_add_u64 v[26:27], v[26:27], 0, s[18:19]
	global_load_dword v34, v[26:27], off
	v_lshl_add_u64 v[24:25], v[24:25], 0, s[18:19]
	v_lshl_add_u64 v[26:27], v[26:27], 0, s[18:19]
	global_load_dword v33, v[24:25], off
	global_load_dword v36, v[26:27], off
	v_lshl_add_u64 v[24:25], v[24:25], 0, s[18:19]
	v_lshl_add_u64 v[26:27], v[26:27], 0, s[18:19]
	global_load_dword v35, v[24:25], off
	;; [unrolled: 4-line block ×4, first 2 shown]
	v_lshl_add_u64 v[24:25], v[24:25], 0, s[18:19]
	global_load_dword v26, v[26:27], off
	s_waitcnt vmcnt(16)
	ds_bpermute_b32 v27, v13, v21
	global_load_dword v25, v[24:25], off
	ds_bpermute_b32 v42, v14, v21
	s_waitcnt vmcnt(16)
	ds_bpermute_b32 v24, v13, v22
	ds_bpermute_b32 v44, v15, v21
	;; [unrolled: 1-line block ×14, first 2 shown]
	s_add_u32 s6, s6, s20
	s_addc_u32 s7, s7, 0
	v_cmp_lt_i64_e32 vcc, s[6:7], v[8:9]
	v_lshl_add_u64 v[4:5], v[4:5], 0, s[22:23]
	v_lshl_add_u64 v[2:3], v[2:3], 0, s[20:21]
	;; [unrolled: 1-line block ×3, first 2 shown]
	s_and_b64 vcc, exec, vcc
	s_waitcnt vmcnt(15) lgkmcnt(14)
	v_sub_f32_e32 v22, v28, v27
	s_waitcnt vmcnt(14)
	v_mul_f32_e32 v22, v23, v22
	s_waitcnt lgkmcnt(13)
	v_mul_f32_e32 v22, v22, v24
	s_waitcnt vmcnt(13)
	v_sub_f32_e32 v27, v30, v42
	v_pk_add_f32 v[0:1], v[0:1], v[22:23]
	s_waitcnt vmcnt(12)
	v_mul_f32_e32 v24, v29, v27
	s_waitcnt vmcnt(11) lgkmcnt(12)
	v_sub_f32_e32 v27, v32, v44
	s_waitcnt lgkmcnt(11)
	v_mul_f32_e32 v28, v24, v41
	s_waitcnt vmcnt(10)
	v_mul_f32_e32 v24, v31, v27
	s_waitcnt vmcnt(9) lgkmcnt(10)
	v_sub_f32_e32 v27, v34, v46
	s_waitcnt lgkmcnt(9)
	v_mul_f32_e32 v30, v24, v43
	v_pk_add_f32 v[0:1], v[0:1], v[28:29]
	s_waitcnt vmcnt(8)
	v_mul_f32_e32 v22, v33, v27
	s_waitcnt vmcnt(7) lgkmcnt(8)
	v_sub_f32_e32 v23, v36, v48
	s_waitcnt lgkmcnt(7)
	v_mul_f32_e32 v32, v22, v45
	v_pk_add_f32 v[0:1], v[0:1], v[30:31]
	s_waitcnt vmcnt(6)
	v_mul_f32_e32 v22, v35, v23
	s_waitcnt vmcnt(5) lgkmcnt(4)
	v_sub_f32_e32 v23, v38, v50
	v_mul_f32_e32 v34, v22, v47
	v_pk_add_f32 v[0:1], v[0:1], v[32:33]
	s_waitcnt vmcnt(4)
	v_mul_f32_e32 v22, v37, v23
	s_waitcnt vmcnt(3) lgkmcnt(1)
	v_sub_f32_e32 v23, v40, v52
	v_mul_f32_e32 v36, v22, v49
	v_pk_add_f32 v[0:1], v[0:1], v[34:35]
	s_waitcnt vmcnt(2)
	v_mul_f32_e32 v22, v39, v23
	v_mul_f32_e32 v38, v22, v51
	s_waitcnt vmcnt(1) lgkmcnt(0)
	v_sub_f32_e32 v21, v26, v21
	v_pk_add_f32 v[0:1], v[0:1], v[36:37]
	s_waitcnt vmcnt(0)
	v_mul_f32_e32 v21, v25, v21
	v_pk_add_f32 v[0:1], v[0:1], v[38:39]
	v_mul_f32_e32 v24, v21, v53
	v_pk_add_f32 v[0:1], v[0:1], v[24:25]
	s_cbranch_vccz .LBB54_10
.LBB54_7:                               ; =>This Inner Loop Header: Depth=1
	v_mov_b32_e32 v22, 0
	v_mov_b32_e32 v21, 0
	s_and_saveexec_b64 s[26:27], s[4:5]
	s_cbranch_execz .LBB54_6
; %bb.8:                                ;   in Loop: Header=BB54_7 Depth=1
	v_cmp_gt_i64_e32 vcc, s[16:17], v[2:3]
	v_mov_b32_e32 v21, 0
	v_mov_b32_e32 v22, 0
	s_and_saveexec_b64 s[28:29], vcc
	s_cbranch_execz .LBB54_5
; %bb.9:                                ;   in Loop: Header=BB54_7 Depth=1
	v_lshl_add_u64 v[26:27], s[12:13], 0, v[4:5]
	v_lshl_add_u64 v[24:25], s[14:15], 0, v[4:5]
	global_load_dword v21, v[26:27], off
	global_load_dword v22, v[24:25], off
	s_branch .LBB54_5
.LBB54_10:
	v_mov_b32_e32 v4, v12
.LBB54_11:
	s_load_dwordx4 s[4:7], s[0:1], 0x30
	s_movk_i32 s0, 0x41
	v_mad_u32_u24 v2, v4, s0, v10
	v_lshl_add_u32 v2, v2, 2, 0
	v_lshrrev_b32_e32 v12, 6, v10
	ds_write_b32 v2, v0
	ds_write_b32 v2, v1 offset:2080
	v_add_u32_e32 v0, v12, v4
	s_mov_b32 s3, 0
	v_cmp_gt_u32_e32 vcc, 64, v0
	s_waitcnt lgkmcnt(0)
	s_barrier
	s_and_saveexec_b64 s[0:1], vcc
	s_cbranch_execz .LBB54_21
; %bb.12:
	v_and_b32_e32 v1, 63, v10
	v_cmp_gt_u32_e64 s[0:1], 8, v1
	v_mul_u32_u24_e32 v13, 0x41, v1
	v_mbcnt_hi_u32_b32 v1, -1, v11
	v_and_b32_e32 v2, 64, v1
	v_add_u32_e32 v2, 64, v2
	v_xor_b32_e32 v3, 4, v1
	v_cmp_lt_i32_e32 vcc, v3, v2
	s_lshl_b64 s[10:11], s[2:3], 6
	v_mov_b32_e32 v5, 0
	v_cndmask_b32_e32 v3, v1, v3, vcc
	v_lshlrev_b32_e32 v6, 2, v3
	v_xor_b32_e32 v3, 2, v1
	v_cmp_lt_i32_e32 vcc, v3, v2
	v_add_u32_e32 v9, -8, v0
	v_or_b32_e32 v0, s10, v12
	v_cndmask_b32_e32 v3, v1, v3, vcc
	v_lshlrev_b32_e32 v7, 2, v3
	v_xor_b32_e32 v3, 1, v1
	v_cmp_lt_i32_e32 vcc, v3, v2
	s_cmp_lg_u64 s[4:5], 0
	s_cselect_b64 s[12:13], -1, 0
	v_cndmask_b32_e32 v1, v1, v3, vcc
	v_lshlrev_b32_e32 v8, 2, v1
	v_mov_b32_e32 v1, s11
	v_lshl_add_u64 v[0:1], v[0:1], 0, v[4:5]
	s_cmp_lg_u64 s[6:7], 0
	v_lshlrev_b64 v[2:3], 2, v[0:1]
	v_add3_u32 v4, v13, v4, v12
	v_cmp_eq_u32_e64 s[2:3], 0, v10
	v_lshl_add_u64 v[0:1], s[6:7], 0, v[2:3]
	v_lshl_add_u32 v10, v4, 2, 0
	v_cndmask_b32_e64 v4, 0, 1, s[12:13]
	s_cselect_b64 s[6:7], -1, 0
	v_lshl_add_u64 v[2:3], s[4:5], 0, v[2:3]
	v_cmp_ne_u32_e64 s[4:5], 1, v4
	v_cndmask_b32_e64 v4, 0, 1, s[6:7]
	s_mov_b64 s[8:9], 0
	v_cmp_ne_u32_e64 s[6:7], 1, v4
                                        ; implicit-def: $vgpr4
	s_branch .LBB54_14
.LBB54_13:                              ;   in Loop: Header=BB54_14 Depth=1
	s_or_b64 exec, exec, s[10:11]
	v_add_u32_e32 v9, 8, v9
	v_cmp_lt_u32_e32 vcc, 55, v9
	v_lshl_add_u64 v[0:1], v[0:1], 0, 32
	v_lshl_add_u64 v[2:3], v[2:3], 0, 32
	s_or_b64 s[8:9], vcc, s[8:9]
	v_add_u32_e32 v10, 32, v10
	s_andn2_b64 exec, exec, s[8:9]
	s_cbranch_execz .LBB54_21
.LBB54_14:                              ; =>This Inner Loop Header: Depth=1
	s_and_saveexec_b64 s[10:11], s[0:1]
	s_cbranch_execz .LBB54_16
; %bb.15:                               ;   in Loop: Header=BB54_14 Depth=1
	ds_read_b32 v5, v10
	ds_read_b32 v4, v10 offset:2080
.LBB54_16:                              ;   in Loop: Header=BB54_14 Depth=1
	s_or_b64 exec, exec, s[10:11]
	s_waitcnt lgkmcnt(1)
	ds_bpermute_b32 v13, v6, v5
	s_waitcnt lgkmcnt(1)
	ds_bpermute_b32 v12, v6, v4
	s_waitcnt lgkmcnt(0)
	v_pk_add_f32 v[4:5], v[4:5], v[12:13]
	ds_bpermute_b32 v13, v7, v5
	ds_bpermute_b32 v12, v7, v4
	s_waitcnt lgkmcnt(0)
	v_pk_add_f32 v[4:5], v[4:5], v[12:13]
	ds_bpermute_b32 v13, v8, v5
	ds_bpermute_b32 v12, v8, v4
	s_waitcnt lgkmcnt(0)
	v_pk_add_f32 v[4:5], v[4:5], v[12:13]
	s_and_saveexec_b64 s[10:11], s[2:3]
	s_cbranch_execz .LBB54_13
; %bb.17:                               ;   in Loop: Header=BB54_14 Depth=1
	s_and_b64 vcc, exec, s[4:5]
	s_cbranch_vccnz .LBB54_19
; %bb.18:                               ;   in Loop: Header=BB54_14 Depth=1
	global_store_dword v[2:3], v5, off
.LBB54_19:                              ;   in Loop: Header=BB54_14 Depth=1
	s_and_b64 vcc, exec, s[6:7]
	s_cbranch_vccnz .LBB54_13
; %bb.20:                               ;   in Loop: Header=BB54_14 Depth=1
	global_store_dword v[0:1], v4, off
	s_branch .LBB54_13
.LBB54_21:
	s_endpgm
	.section	.rodata,"a",@progbits
	.p2align	6, 0x0
	.amdhsa_kernel _ZN2at6native12_GLOBAL__N_135GammaBetaBackwardCUDAKernelTemplateIffLj64ELj8ELj64ELb0ELb1ELb0EEEvllPKT_S5_PKT0_S8_PS3_S9_
		.amdhsa_group_segment_fixed_size 0
		.amdhsa_private_segment_fixed_size 0
		.amdhsa_kernarg_size 320
		.amdhsa_user_sgpr_count 2
		.amdhsa_user_sgpr_dispatch_ptr 0
		.amdhsa_user_sgpr_queue_ptr 0
		.amdhsa_user_sgpr_kernarg_segment_ptr 1
		.amdhsa_user_sgpr_dispatch_id 0
		.amdhsa_user_sgpr_kernarg_preload_length 0
		.amdhsa_user_sgpr_kernarg_preload_offset 0
		.amdhsa_user_sgpr_private_segment_size 0
		.amdhsa_uses_dynamic_stack 0
		.amdhsa_enable_private_segment 0
		.amdhsa_system_sgpr_workgroup_id_x 1
		.amdhsa_system_sgpr_workgroup_id_y 1
		.amdhsa_system_sgpr_workgroup_id_z 0
		.amdhsa_system_sgpr_workgroup_info 0
		.amdhsa_system_vgpr_workitem_id 1
		.amdhsa_next_free_vgpr 54
		.amdhsa_next_free_sgpr 30
		.amdhsa_accum_offset 56
		.amdhsa_reserve_vcc 1
		.amdhsa_float_round_mode_32 0
		.amdhsa_float_round_mode_16_64 0
		.amdhsa_float_denorm_mode_32 3
		.amdhsa_float_denorm_mode_16_64 3
		.amdhsa_dx10_clamp 1
		.amdhsa_ieee_mode 1
		.amdhsa_fp16_overflow 0
		.amdhsa_tg_split 0
		.amdhsa_exception_fp_ieee_invalid_op 0
		.amdhsa_exception_fp_denorm_src 0
		.amdhsa_exception_fp_ieee_div_zero 0
		.amdhsa_exception_fp_ieee_overflow 0
		.amdhsa_exception_fp_ieee_underflow 0
		.amdhsa_exception_fp_ieee_inexact 0
		.amdhsa_exception_int_div_zero 0
	.end_amdhsa_kernel
	.section	.text._ZN2at6native12_GLOBAL__N_135GammaBetaBackwardCUDAKernelTemplateIffLj64ELj8ELj64ELb0ELb1ELb0EEEvllPKT_S5_PKT0_S8_PS3_S9_,"axG",@progbits,_ZN2at6native12_GLOBAL__N_135GammaBetaBackwardCUDAKernelTemplateIffLj64ELj8ELj64ELb0ELb1ELb0EEEvllPKT_S5_PKT0_S8_PS3_S9_,comdat
.Lfunc_end54:
	.size	_ZN2at6native12_GLOBAL__N_135GammaBetaBackwardCUDAKernelTemplateIffLj64ELj8ELj64ELb0ELb1ELb0EEEvllPKT_S5_PKT0_S8_PS3_S9_, .Lfunc_end54-_ZN2at6native12_GLOBAL__N_135GammaBetaBackwardCUDAKernelTemplateIffLj64ELj8ELj64ELb0ELb1ELb0EEEvllPKT_S5_PKT0_S8_PS3_S9_
                                        ; -- End function
	.section	.AMDGPU.csdata,"",@progbits
; Kernel info:
; codeLenInByte = 1604
; NumSgprs: 36
; NumVgprs: 54
; NumAgprs: 0
; TotalNumVgprs: 54
; ScratchSize: 0
; MemoryBound: 0
; FloatMode: 240
; IeeeMode: 1
; LDSByteSize: 0 bytes/workgroup (compile time only)
; SGPRBlocks: 4
; VGPRBlocks: 6
; NumSGPRsForWavesPerEU: 36
; NumVGPRsForWavesPerEU: 54
; AccumOffset: 56
; Occupancy: 8
; WaveLimiterHint : 0
; COMPUTE_PGM_RSRC2:SCRATCH_EN: 0
; COMPUTE_PGM_RSRC2:USER_SGPR: 2
; COMPUTE_PGM_RSRC2:TRAP_HANDLER: 0
; COMPUTE_PGM_RSRC2:TGID_X_EN: 1
; COMPUTE_PGM_RSRC2:TGID_Y_EN: 1
; COMPUTE_PGM_RSRC2:TGID_Z_EN: 0
; COMPUTE_PGM_RSRC2:TIDIG_COMP_CNT: 1
; COMPUTE_PGM_RSRC3_GFX90A:ACCUM_OFFSET: 13
; COMPUTE_PGM_RSRC3_GFX90A:TG_SPLIT: 0
	.section	.text._ZN2at6native12_GLOBAL__N_135GammaBetaBackwardCUDAKernelTemplateIffLj64ELj8ELj64ELb0ELb0ELb0EEEvllPKT_S5_PKT0_S8_PS3_S9_,"axG",@progbits,_ZN2at6native12_GLOBAL__N_135GammaBetaBackwardCUDAKernelTemplateIffLj64ELj8ELj64ELb0ELb0ELb0EEEvllPKT_S5_PKT0_S8_PS3_S9_,comdat
	.globl	_ZN2at6native12_GLOBAL__N_135GammaBetaBackwardCUDAKernelTemplateIffLj64ELj8ELj64ELb0ELb0ELb0EEEvllPKT_S5_PKT0_S8_PS3_S9_ ; -- Begin function _ZN2at6native12_GLOBAL__N_135GammaBetaBackwardCUDAKernelTemplateIffLj64ELj8ELj64ELb0ELb0ELb0EEEvllPKT_S5_PKT0_S8_PS3_S9_
	.p2align	8
	.type	_ZN2at6native12_GLOBAL__N_135GammaBetaBackwardCUDAKernelTemplateIffLj64ELj8ELj64ELb0ELb0ELb0EEEvllPKT_S5_PKT0_S8_PS3_S9_,@function
_ZN2at6native12_GLOBAL__N_135GammaBetaBackwardCUDAKernelTemplateIffLj64ELj8ELj64ELb0ELb0ELb0EEEvllPKT_S5_PKT0_S8_PS3_S9_: ; @_ZN2at6native12_GLOBAL__N_135GammaBetaBackwardCUDAKernelTemplateIffLj64ELj8ELj64ELb0ELb0ELb0EEEvllPKT_S5_PKT0_S8_PS3_S9_
; %bb.0:
	s_load_dwordx8 s[8:15], s[0:1], 0x0
	s_load_dwordx4 s[24:27], s[0:1], 0x20
	s_lshl_b32 s33, s2, 6
	s_mov_b32 s16, 0
	s_or_b32 s4, s33, 63
	s_mov_b32 s5, s16
	s_waitcnt lgkmcnt(0)
	v_mov_b64_e32 v[2:3], s[10:11]
	v_cmp_ge_i64_e32 vcc, s[4:5], v[2:3]
	s_lshl_b32 s28, s3, 6
	s_mov_b32 s29, s16
	v_mov_b64_e32 v[2:3], s[8:9]
	v_cmp_lt_i64_e64 s[4:5], s[28:29], v[2:3]
	s_nop 1
	v_cndmask_b32_e64 v1, 0, 1, s[4:5]
	v_cmp_ne_u32_e64 s[4:5], 1, v1
	s_cbranch_vccz .LBB55_48
; %bb.1:
	v_mov_b32_e32 v27, 0
	s_and_b64 vcc, exec, s[4:5]
	v_mov_b32_e32 v26, v27
	s_cbranch_vccnz .LBB55_49
; %bb.2:
	v_mov_b32_e32 v3, 0
	v_bfe_u32 v66, v0, 10, 10
	s_load_dword s3, s[0:1], 0x44
	v_lshlrev_b32_e32 v28, 3, v66
	v_mov_b32_e32 v29, v3
	v_and_b32_e32 v1, 0x3ff, v0
	v_lshl_add_u64 v[4:5], v[28:29], 0, s[28:29]
	v_add_u32_e32 v2, s33, v1
	v_lshl_add_u64 v[6:7], v[4:5], 0, 7
	s_add_u32 s30, s0, 64
	v_cmp_gt_i64_e64 s[6:7], s[10:11], v[2:3]
	v_lshlrev_b64 v[30:31], 2, v[2:3]
	v_mul_lo_u32 v2, s11, v6
	v_mul_lo_u32 v8, s10, v7
	v_mad_u64_u32 v[6:7], s[18:19], s10, v6, 0
	s_addc_u32 s31, s1, 0
	s_waitcnt lgkmcnt(0)
	s_lshl_b32 s3, s3, 6
	v_add3_u32 v7, v7, v8, v2
	v_lshlrev_b64 v[6:7], 2, v[6:7]
	s_mul_i32 s17, s11, s3
	s_mul_hi_u32 s18, s10, s3
	v_lshl_add_u64 v[32:33], s[12:13], 0, v[6:7]
	s_add_i32 s19, s18, s17
	s_mul_i32 s18, s10, s3
	v_lshl_add_u64 v[34:35], s[14:15], 0, v[6:7]
	v_lshl_add_u64 v[6:7], v[4:5], 0, 6
	s_lshl_b64 s[34:35], s[18:19], 2
	v_mul_lo_u32 v2, s11, v6
	v_mul_lo_u32 v8, s10, v7
	v_mad_u64_u32 v[6:7], s[18:19], s10, v6, 0
	v_add3_u32 v7, v7, v8, v2
	v_lshlrev_b64 v[6:7], 2, v[6:7]
	v_lshl_add_u64 v[36:37], s[12:13], 0, v[6:7]
	v_lshl_add_u64 v[38:39], s[14:15], 0, v[6:7]
	v_lshl_add_u64 v[6:7], v[4:5], 0, 5
	v_mul_lo_u32 v2, s11, v6
	v_mul_lo_u32 v8, s10, v7
	v_mad_u64_u32 v[6:7], s[18:19], s10, v6, 0
	v_add3_u32 v7, v7, v8, v2
	v_lshlrev_b64 v[6:7], 2, v[6:7]
	v_lshl_add_u64 v[40:41], s[12:13], 0, v[6:7]
	v_lshl_add_u64 v[42:43], s[14:15], 0, v[6:7]
	v_lshl_add_u64 v[6:7], v[4:5], 0, 4
	;; [unrolled: 8-line block ×4, first 2 shown]
	v_mul_lo_u32 v2, s11, v6
	v_mul_lo_u32 v8, s10, v7
	v_mad_u64_u32 v[6:7], s[18:19], s10, v6, 0
	v_add3_u32 v7, v7, v8, v2
	v_lshlrev_b64 v[6:7], 2, v[6:7]
	v_lshl_add_u64 v[52:53], s[12:13], 0, v[6:7]
	v_lshl_add_u64 v[54:55], s[14:15], 0, v[6:7]
	v_mov_b64_e32 v[6:7], s[10:11]
	v_mad_u64_u32 v[6:7], s[18:19], s10, v4, v[6:7]
	v_mul_lo_u32 v2, s10, v5
	v_mul_lo_u32 v8, s11, v4
	v_mad_u64_u32 v[4:5], s[18:19], s10, v4, 0
	v_add3_u32 v7, v8, v7, v2
	v_add3_u32 v5, v5, v2, v8
	v_mbcnt_lo_u32_b32 v2, -1, 0
	v_mbcnt_hi_u32_b32 v2, -1, v2
	v_lshlrev_b64 v[6:7], 2, v[6:7]
	s_add_u32 s36, s28, 63
	v_lshlrev_b64 v[4:5], 2, v[4:5]
	s_movk_i32 s38, 0xffc1
	s_movk_i32 s40, 0xffc2
	;; [unrolled: 1-line block ×8, first 2 shown]
	v_lshlrev_b32_e32 v2, 2, v2
	v_lshl_add_u64 v[56:57], s[12:13], 0, v[6:7]
	v_lshl_add_u64 v[58:59], s[14:15], 0, v[6:7]
	s_addc_u32 s37, 0, 0
	v_lshl_add_u64 v[60:61], s[12:13], 0, v[4:5]
	v_lshl_add_u64 v[62:63], s[14:15], 0, v[4:5]
	s_mov_b32 s39, -1
	s_mov_b32 s41, -1
	;; [unrolled: 1-line block ×8, first 2 shown]
	v_and_b32_e32 v67, 0x100, v2
	s_mov_b64 s[54:55], s[28:29]
	v_mov_b32_e32 v26, v3
	v_mov_b32_e32 v27, v3
	s_branch .LBB55_5
.LBB55_3:                               ;   in Loop: Header=BB55_5 Depth=1
	s_or_b64 exec, exec, s[18:19]
	s_waitcnt vmcnt(1)
	ds_bpermute_b32 v2, v67, v69
	ds_bpermute_b32 v4, v67, v69 offset:4
	s_waitcnt vmcnt(0)
	ds_bpermute_b32 v5, v67, v68
	ds_bpermute_b32 v6, v67, v68 offset:4
	ds_bpermute_b32 v9, v67, v68 offset:12
	s_waitcnt lgkmcnt(4)
	v_sub_f32_e32 v2, v10, v2
	v_mul_f32_e32 v2, v18, v2
	s_waitcnt lgkmcnt(3)
	v_sub_f32_e32 v7, v11, v4
	s_waitcnt lgkmcnt(2)
	v_mul_f32_e32 v4, v2, v5
	ds_bpermute_b32 v2, v67, v69 offset:8
	v_mul_f32_e32 v5, v19, v7
	s_waitcnt lgkmcnt(2)
	v_mul_f32_e32 v6, v5, v6
	ds_bpermute_b32 v5, v67, v68 offset:8
	ds_bpermute_b32 v7, v67, v69 offset:12
	s_waitcnt lgkmcnt(2)
	v_sub_f32_e32 v2, v12, v2
	v_mul_f32_e32 v2, v20, v2
	v_mov_b32_e32 v11, v21
	s_waitcnt lgkmcnt(1)
	v_mul_f32_e32 v8, v2, v5
	s_waitcnt lgkmcnt(0)
	v_sub_f32_e32 v2, v13, v7
	ds_bpermute_b32 v5, v67, v69 offset:16
	v_mul_f32_e32 v2, v21, v2
	v_mul_f32_e32 v10, v2, v9
	ds_bpermute_b32 v2, v67, v68 offset:16
	ds_bpermute_b32 v7, v67, v69 offset:20
	;; [unrolled: 1-line block ×3, first 2 shown]
	s_waitcnt lgkmcnt(3)
	v_sub_f32_e32 v5, v14, v5
	v_mul_f32_e32 v5, v22, v5
	s_waitcnt lgkmcnt(2)
	v_mul_f32_e32 v12, v5, v2
	s_waitcnt lgkmcnt(1)
	v_sub_f32_e32 v2, v15, v7
	v_mul_f32_e32 v2, v23, v2
	s_waitcnt lgkmcnt(0)
	v_mul_f32_e32 v14, v2, v9
	v_mov_b32_e32 v5, v18
	ds_bpermute_b32 v2, v67, v69 offset:24
	v_pk_add_f32 v[4:5], v[26:27], v[4:5]
	v_mov_b32_e32 v7, v19
	v_pk_add_f32 v[4:5], v[6:7], v[4:5]
	ds_bpermute_b32 v7, v67, v68 offset:24
	v_mov_b32_e32 v9, v20
	v_pk_add_f32 v[4:5], v[8:9], v[4:5]
	v_mov_b32_e32 v13, v22
	v_pk_add_f32 v[4:5], v[10:11], v[4:5]
	s_waitcnt lgkmcnt(1)
	v_sub_f32_e32 v8, v16, v2
	v_pk_add_f32 v[4:5], v[12:13], v[4:5]
	v_mov_b32_e32 v15, v23
	v_mul_f32_e32 v8, v24, v8
	v_pk_add_f32 v[4:5], v[14:15], v[4:5]
	s_waitcnt lgkmcnt(0)
	v_mul_f32_e32 v8, v8, v7
	v_mov_b32_e32 v9, v24
	ds_bpermute_b32 v2, v67, v68 offset:28
	ds_bpermute_b32 v6, v67, v69 offset:28
	v_pk_add_f32 v[4:5], v[8:9], v[4:5]
.LBB55_4:                               ;   in Loop: Header=BB55_5 Depth=1
	s_waitcnt lgkmcnt(0)
	v_sub_f32_e32 v6, v17, v6
	v_mul_f32_e32 v6, v25, v6
	v_mul_f32_e32 v24, v6, v2
	s_add_u32 s54, s54, s3
	v_pk_add_f32 v[26:27], v[4:5], v[24:25]
	s_addc_u32 s55, s55, 0
	v_mov_b64_e32 v[4:5], s[8:9]
	s_add_u32 s36, s36, s3
	v_cmp_lt_i64_e32 vcc, s[54:55], v[4:5]
	v_lshl_add_u64 v[32:33], v[32:33], 0, s[34:35]
	v_lshl_add_u64 v[34:35], v[34:35], 0, s[34:35]
	v_lshl_add_u64 v[36:37], v[36:37], 0, s[34:35]
	v_lshl_add_u64 v[38:39], v[38:39], 0, s[34:35]
	v_lshl_add_u64 v[40:41], v[40:41], 0, s[34:35]
	v_lshl_add_u64 v[42:43], v[42:43], 0, s[34:35]
	v_lshl_add_u64 v[44:45], v[44:45], 0, s[34:35]
	v_lshl_add_u64 v[46:47], v[46:47], 0, s[34:35]
	v_lshl_add_u64 v[48:49], v[48:49], 0, s[34:35]
	v_lshl_add_u64 v[50:51], v[50:51], 0, s[34:35]
	v_lshl_add_u64 v[52:53], v[52:53], 0, s[34:35]
	v_lshl_add_u64 v[54:55], v[54:55], 0, s[34:35]
	v_lshl_add_u64 v[56:57], v[56:57], 0, s[34:35]
	v_lshl_add_u64 v[58:59], v[58:59], 0, s[34:35]
	s_addc_u32 s37, s37, 0
	v_lshl_add_u64 v[60:61], v[60:61], 0, s[34:35]
	v_lshl_add_u64 v[62:63], v[62:63], 0, s[34:35]
	s_cbranch_vccz .LBB55_49
.LBB55_5:                               ; =>This Inner Loop Header: Depth=1
	v_mov_b64_e32 v[4:5], s[8:9]
	v_cmp_ge_i64_e32 vcc, s[36:37], v[4:5]
	v_lshl_add_u64 v[64:65], v[28:29], 0, s[36:37]
	s_cbranch_vccz .LBB55_27
; %bb.6:                                ;   in Loop: Header=BB55_5 Depth=1
	s_load_dword s17, s[30:31], 0xc
	v_mov_b32_e32 v68, 0
	v_mov_b32_e32 v69, 0
	s_waitcnt lgkmcnt(0)
	s_and_b32 s17, s17, 0xffff
	v_mad_u32_u24 v2, v66, s17, v1
	v_and_b32_e32 v2, 63, v2
	v_cmp_gt_u32_e32 vcc, 8, v2
	s_and_saveexec_b64 s[18:19], vcc
	s_cbranch_execz .LBB55_10
; %bb.7:                                ;   in Loop: Header=BB55_5 Depth=1
	v_lshl_add_u64 v[4:5], v[64:65], 0, v[2:3]
	v_lshl_add_u64 v[4:5], v[4:5], 0, s[38:39]
	v_cmp_gt_i64_e32 vcc, s[8:9], v[4:5]
	v_mov_b32_e32 v69, 0
	v_mov_b32_e32 v68, 0
	s_and_saveexec_b64 s[20:21], vcc
	s_cbranch_execz .LBB55_9
; %bb.8:                                ;   in Loop: Header=BB55_5 Depth=1
	v_lshlrev_b64 v[4:5], 2, v[4:5]
	v_lshl_add_u64 v[6:7], s[26:27], 0, v[4:5]
	v_lshl_add_u64 v[4:5], s[24:25], 0, v[4:5]
	global_load_dword v69, v[4:5], off
	global_load_dword v68, v[6:7], off
.LBB55_9:                               ;   in Loop: Header=BB55_5 Depth=1
	s_or_b64 exec, exec, s[20:21]
.LBB55_10:                              ;   in Loop: Header=BB55_5 Depth=1
	s_or_b64 exec, exec, s[18:19]
	s_mov_b32 s17, s16
	s_mov_b32 s18, s16
	;; [unrolled: 1-line block ×7, first 2 shown]
	v_mov_b64_e32 v[10:11], s[16:17]
	v_lshl_add_u64 v[4:5], v[64:65], 0, s[38:39]
	v_mov_b64_e32 v[16:17], s[22:23]
	v_cmp_gt_i64_e32 vcc, s[8:9], v[4:5]
	v_mov_b64_e32 v[12:13], s[18:19]
	v_mov_b64_e32 v[14:15], s[20:21]
	v_mov_b64_e32 v[24:25], v[16:17]
	s_and_b64 s[56:57], s[6:7], vcc
	v_mov_b64_e32 v[22:23], v[14:15]
	v_mov_b64_e32 v[20:21], v[12:13]
	;; [unrolled: 1-line block ×3, first 2 shown]
	s_and_saveexec_b64 s[18:19], s[56:57]
	s_cbranch_execz .LBB55_12
; %bb.11:                               ;   in Loop: Header=BB55_5 Depth=1
	v_lshl_add_u64 v[4:5], v[60:61], 0, v[30:31]
	global_load_dword v2, v[4:5], off
	v_lshl_add_u64 v[4:5], v[62:63], 0, v[30:31]
	global_load_dword v10, v[4:5], off
	v_mov_b32_e32 v8, v3
	v_mov_b32_e32 v9, v3
	;; [unrolled: 1-line block ×6, first 2 shown]
	s_waitcnt vmcnt(1)
	v_mov_b64_e32 v[24:25], v[8:9]
	v_mov_b32_e32 v11, v3
	v_mov_b32_e32 v12, v3
	;; [unrolled: 1-line block ×7, first 2 shown]
	v_mov_b64_e32 v[22:23], v[6:7]
	v_mov_b64_e32 v[20:21], v[4:5]
	;; [unrolled: 1-line block ×3, first 2 shown]
.LBB55_12:                              ;   in Loop: Header=BB55_5 Depth=1
	s_or_b64 exec, exec, s[18:19]
	v_lshl_add_u64 v[4:5], v[64:65], 0, s[40:41]
	v_cmp_gt_i64_e32 vcc, s[8:9], v[4:5]
	s_and_b64 s[20:21], s[6:7], vcc
	s_and_saveexec_b64 s[18:19], s[20:21]
	s_cbranch_execz .LBB55_14
; %bb.13:                               ;   in Loop: Header=BB55_5 Depth=1
	v_lshl_add_u64 v[4:5], v[56:57], 0, v[30:31]
	global_load_dword v19, v[4:5], off
	v_lshl_add_u64 v[4:5], v[58:59], 0, v[30:31]
	global_load_dword v11, v[4:5], off
.LBB55_14:                              ;   in Loop: Header=BB55_5 Depth=1
	s_or_b64 exec, exec, s[18:19]
	v_lshl_add_u64 v[4:5], v[64:65], 0, s[42:43]
	v_cmp_gt_i64_e32 vcc, s[8:9], v[4:5]
	s_and_b64 s[20:21], s[6:7], vcc
	s_and_saveexec_b64 s[18:19], s[20:21]
	s_cbranch_execz .LBB55_16
; %bb.15:                               ;   in Loop: Header=BB55_5 Depth=1
	v_lshl_add_u64 v[4:5], v[52:53], 0, v[30:31]
	global_load_dword v20, v[4:5], off
	v_lshl_add_u64 v[4:5], v[54:55], 0, v[30:31]
	global_load_dword v12, v[4:5], off
.LBB55_16:                              ;   in Loop: Header=BB55_5 Depth=1
	;; [unrolled: 12-line block ×7, first 2 shown]
	s_or_b64 exec, exec, s[18:19]
	s_waitcnt vmcnt(1)
	ds_bpermute_b32 v2, v67, v69
	ds_bpermute_b32 v4, v67, v69 offset:4
	s_waitcnt vmcnt(0)
	ds_bpermute_b32 v5, v67, v68
	ds_bpermute_b32 v6, v67, v68 offset:4
	ds_bpermute_b32 v9, v67, v68 offset:12
	s_waitcnt lgkmcnt(4)
	v_sub_f32_e32 v2, v10, v2
	v_mul_f32_e32 v2, v18, v2
	s_waitcnt lgkmcnt(3)
	v_sub_f32_e32 v7, v11, v4
	s_waitcnt lgkmcnt(2)
	v_mul_f32_e32 v4, v2, v5
	ds_bpermute_b32 v2, v67, v69 offset:8
	v_mul_f32_e32 v5, v19, v7
	s_waitcnt lgkmcnt(2)
	v_mul_f32_e32 v6, v5, v6
	ds_bpermute_b32 v5, v67, v68 offset:8
	ds_bpermute_b32 v7, v67, v69 offset:12
	s_waitcnt lgkmcnt(2)
	v_sub_f32_e32 v2, v12, v2
	v_mul_f32_e32 v2, v20, v2
	v_mov_b32_e32 v11, v21
	s_waitcnt lgkmcnt(1)
	v_mul_f32_e32 v8, v2, v5
	s_waitcnt lgkmcnt(0)
	v_sub_f32_e32 v2, v13, v7
	ds_bpermute_b32 v5, v67, v69 offset:16
	v_mul_f32_e32 v2, v21, v2
	v_mul_f32_e32 v10, v2, v9
	ds_bpermute_b32 v2, v67, v68 offset:16
	ds_bpermute_b32 v7, v67, v69 offset:20
	;; [unrolled: 1-line block ×3, first 2 shown]
	s_waitcnt lgkmcnt(3)
	v_sub_f32_e32 v5, v14, v5
	v_mul_f32_e32 v5, v22, v5
	s_waitcnt lgkmcnt(2)
	v_mul_f32_e32 v12, v5, v2
	s_waitcnt lgkmcnt(1)
	v_sub_f32_e32 v2, v15, v7
	v_mul_f32_e32 v2, v23, v2
	s_waitcnt lgkmcnt(0)
	v_mul_f32_e32 v14, v2, v9
	ds_bpermute_b32 v2, v67, v69 offset:24
	v_mov_b32_e32 v5, v18
	v_pk_add_f32 v[4:5], v[26:27], v[4:5]
	v_mov_b32_e32 v7, v19
	v_pk_add_f32 v[4:5], v[6:7], v[4:5]
	ds_bpermute_b32 v7, v67, v68 offset:24
	v_mov_b32_e32 v9, v20
	s_waitcnt lgkmcnt(1)
	v_sub_f32_e32 v2, v16, v2
	v_pk_add_f32 v[4:5], v[8:9], v[4:5]
	v_mul_f32_e32 v8, v24, v2
	ds_bpermute_b32 v2, v67, v68 offset:28
	ds_bpermute_b32 v6, v67, v69 offset:28
	v_pk_add_f32 v[4:5], v[10:11], v[4:5]
	v_mov_b32_e32 v13, v22
	v_pk_add_f32 v[4:5], v[12:13], v[4:5]
	v_mov_b32_e32 v15, v23
	v_pk_add_f32 v[4:5], v[14:15], v[4:5]
	s_waitcnt lgkmcnt(2)
	v_mul_f32_e32 v8, v8, v7
	v_mov_b32_e32 v9, v24
	v_pk_add_f32 v[4:5], v[8:9], v[4:5]
	s_branch .LBB55_4
.LBB55_27:                              ;   in Loop: Header=BB55_5 Depth=1
                                        ; implicit-def: $vgpr4_vgpr5
                                        ; implicit-def: $vgpr2
                                        ; implicit-def: $vgpr10_vgpr11_vgpr12_vgpr13_vgpr14_vgpr15_vgpr16_vgpr17
                                        ; implicit-def: $vgpr18_vgpr19_vgpr20_vgpr21_vgpr22_vgpr23_vgpr24_vgpr25
                                        ; implicit-def: $vgpr6
	s_cbranch_execz .LBB55_4
; %bb.28:                               ;   in Loop: Header=BB55_5 Depth=1
	s_load_dword s17, s[30:31], 0x0
	v_mov_b32_e32 v68, 0
	v_mov_b32_e32 v69, 0
	s_waitcnt lgkmcnt(0)
	s_cmp_lt_u32 s2, s17
	s_cselect_b32 s17, 12, 18
	s_add_u32 s18, s30, s17
	s_addc_u32 s19, s31, 0
	global_load_ushort v2, v3, s[18:19]
	s_waitcnt vmcnt(0)
	v_mad_u32_u24 v2, v66, v2, v1
	v_and_b32_e32 v2, 63, v2
	v_cmp_gt_u32_e32 vcc, 8, v2
	s_and_saveexec_b64 s[18:19], vcc
	s_cbranch_execz .LBB55_32
; %bb.29:                               ;   in Loop: Header=BB55_5 Depth=1
	v_lshl_add_u64 v[4:5], v[64:65], 0, v[2:3]
	v_lshl_add_u64 v[4:5], v[4:5], 0, s[38:39]
	v_cmp_gt_i64_e32 vcc, s[8:9], v[4:5]
	v_mov_b32_e32 v69, 0
	v_mov_b32_e32 v68, 0
	s_and_saveexec_b64 s[20:21], vcc
	s_cbranch_execz .LBB55_31
; %bb.30:                               ;   in Loop: Header=BB55_5 Depth=1
	v_lshlrev_b64 v[4:5], 2, v[4:5]
	v_lshl_add_u64 v[6:7], s[26:27], 0, v[4:5]
	v_lshl_add_u64 v[4:5], s[24:25], 0, v[4:5]
	global_load_dword v69, v[4:5], off
	global_load_dword v68, v[6:7], off
.LBB55_31:                              ;   in Loop: Header=BB55_5 Depth=1
	s_or_b64 exec, exec, s[20:21]
.LBB55_32:                              ;   in Loop: Header=BB55_5 Depth=1
	s_or_b64 exec, exec, s[18:19]
	s_mov_b32 s17, s16
	s_mov_b32 s18, s16
	;; [unrolled: 1-line block ×7, first 2 shown]
	v_mov_b64_e32 v[10:11], s[16:17]
	v_mov_b64_e32 v[16:17], s[22:23]
	;; [unrolled: 1-line block ×8, first 2 shown]
	s_and_saveexec_b64 s[18:19], s[6:7]
	s_cbranch_execnz .LBB55_40
; %bb.33:                               ;   in Loop: Header=BB55_5 Depth=1
	s_or_b64 exec, exec, s[18:19]
	s_and_saveexec_b64 s[18:19], s[6:7]
	s_cbranch_execnz .LBB55_41
.LBB55_34:                              ;   in Loop: Header=BB55_5 Depth=1
	s_or_b64 exec, exec, s[18:19]
	s_and_saveexec_b64 s[18:19], s[6:7]
	s_cbranch_execnz .LBB55_42
.LBB55_35:                              ;   in Loop: Header=BB55_5 Depth=1
	s_or_b64 exec, exec, s[18:19]
	s_and_saveexec_b64 s[18:19], s[6:7]
	s_cbranch_execnz .LBB55_43
.LBB55_36:                              ;   in Loop: Header=BB55_5 Depth=1
	s_or_b64 exec, exec, s[18:19]
	s_and_saveexec_b64 s[18:19], s[6:7]
	s_cbranch_execnz .LBB55_44
.LBB55_37:                              ;   in Loop: Header=BB55_5 Depth=1
	s_or_b64 exec, exec, s[18:19]
	s_and_saveexec_b64 s[18:19], s[6:7]
	s_cbranch_execnz .LBB55_45
.LBB55_38:                              ;   in Loop: Header=BB55_5 Depth=1
	s_or_b64 exec, exec, s[18:19]
	s_and_saveexec_b64 s[18:19], s[6:7]
	s_cbranch_execnz .LBB55_46
.LBB55_39:                              ;   in Loop: Header=BB55_5 Depth=1
	s_or_b64 exec, exec, s[18:19]
	s_and_saveexec_b64 s[18:19], s[6:7]
	s_cbranch_execz .LBB55_3
	s_branch .LBB55_47
.LBB55_40:                              ;   in Loop: Header=BB55_5 Depth=1
	v_lshl_add_u64 v[4:5], v[60:61], 0, v[30:31]
	global_load_dword v2, v[4:5], off
	v_lshl_add_u64 v[4:5], v[62:63], 0, v[30:31]
	global_load_dword v10, v[4:5], off
	v_mov_b32_e32 v8, v3
	v_mov_b32_e32 v9, v3
	;; [unrolled: 1-line block ×6, first 2 shown]
	s_waitcnt vmcnt(1)
	v_mov_b64_e32 v[24:25], v[8:9]
	v_mov_b32_e32 v11, v3
	v_mov_b32_e32 v12, v3
	;; [unrolled: 1-line block ×7, first 2 shown]
	v_mov_b64_e32 v[22:23], v[6:7]
	v_mov_b64_e32 v[20:21], v[4:5]
	;; [unrolled: 1-line block ×3, first 2 shown]
	s_or_b64 exec, exec, s[18:19]
	s_and_saveexec_b64 s[18:19], s[6:7]
	s_cbranch_execz .LBB55_34
.LBB55_41:                              ;   in Loop: Header=BB55_5 Depth=1
	v_lshl_add_u64 v[4:5], v[56:57], 0, v[30:31]
	global_load_dword v19, v[4:5], off
	v_lshl_add_u64 v[4:5], v[58:59], 0, v[30:31]
	global_load_dword v11, v[4:5], off
	s_or_b64 exec, exec, s[18:19]
	s_and_saveexec_b64 s[18:19], s[6:7]
	s_cbranch_execz .LBB55_35
.LBB55_42:                              ;   in Loop: Header=BB55_5 Depth=1
	v_lshl_add_u64 v[4:5], v[52:53], 0, v[30:31]
	global_load_dword v20, v[4:5], off
	v_lshl_add_u64 v[4:5], v[54:55], 0, v[30:31]
	global_load_dword v12, v[4:5], off
	s_or_b64 exec, exec, s[18:19]
	s_and_saveexec_b64 s[18:19], s[6:7]
	s_cbranch_execz .LBB55_36
.LBB55_43:                              ;   in Loop: Header=BB55_5 Depth=1
	v_lshl_add_u64 v[4:5], v[48:49], 0, v[30:31]
	global_load_dword v21, v[4:5], off
	v_lshl_add_u64 v[4:5], v[50:51], 0, v[30:31]
	global_load_dword v13, v[4:5], off
	s_or_b64 exec, exec, s[18:19]
	s_and_saveexec_b64 s[18:19], s[6:7]
	s_cbranch_execz .LBB55_37
.LBB55_44:                              ;   in Loop: Header=BB55_5 Depth=1
	v_lshl_add_u64 v[4:5], v[44:45], 0, v[30:31]
	global_load_dword v22, v[4:5], off
	v_lshl_add_u64 v[4:5], v[46:47], 0, v[30:31]
	global_load_dword v14, v[4:5], off
	s_or_b64 exec, exec, s[18:19]
	s_and_saveexec_b64 s[18:19], s[6:7]
	s_cbranch_execz .LBB55_38
.LBB55_45:                              ;   in Loop: Header=BB55_5 Depth=1
	v_lshl_add_u64 v[4:5], v[40:41], 0, v[30:31]
	global_load_dword v23, v[4:5], off
	v_lshl_add_u64 v[4:5], v[42:43], 0, v[30:31]
	global_load_dword v15, v[4:5], off
	s_or_b64 exec, exec, s[18:19]
	s_and_saveexec_b64 s[18:19], s[6:7]
	s_cbranch_execz .LBB55_39
.LBB55_46:                              ;   in Loop: Header=BB55_5 Depth=1
	v_lshl_add_u64 v[4:5], v[36:37], 0, v[30:31]
	global_load_dword v24, v[4:5], off
	v_lshl_add_u64 v[4:5], v[38:39], 0, v[30:31]
	global_load_dword v16, v[4:5], off
	s_or_b64 exec, exec, s[18:19]
	s_and_saveexec_b64 s[18:19], s[6:7]
	s_cbranch_execz .LBB55_3
.LBB55_47:                              ;   in Loop: Header=BB55_5 Depth=1
	v_lshl_add_u64 v[4:5], v[32:33], 0, v[30:31]
	global_load_dword v25, v[4:5], off
	v_lshl_add_u64 v[4:5], v[34:35], 0, v[30:31]
	global_load_dword v17, v[4:5], off
	s_branch .LBB55_3
.LBB55_48:
                                        ; implicit-def: $vgpr27
	s_branch .LBB55_50
.LBB55_49:
	s_cbranch_execnz .LBB55_81
.LBB55_50:
	v_mov_b32_e32 v27, 0
	s_mov_b32 s16, 0
	s_and_b64 vcc, exec, s[4:5]
	v_mov_b32_e32 v26, v27
	s_cbranch_vccnz .LBB55_81
; %bb.51:
	v_and_b32_e32 v1, 0x3ff, v0
	v_add_u32_e32 v2, s33, v1
	v_mov_b32_e32 v3, 0
	v_bfe_u32 v88, v0, 10, 10
	v_lshlrev_b64 v[22:23], 2, v[2:3]
	v_lshlrev_b32_e32 v2, 5, v88
	v_lshl_add_u64 v[4:5], s[28:29], 2, v[2:3]
	v_lshl_add_u64 v[6:7], v[4:5], 0, 4
	v_mov_b64_e32 v[8:9], s[12:13]
	v_lshl_add_u64 v[10:11], v[4:5], 0, 8
	v_lshl_add_u64 v[12:13], v[4:5], 0, 12
	;; [unrolled: 1-line block ×6, first 2 shown]
	v_mad_u64_u32 v[24:25], s[4:5], s10, v6, v[8:9]
	v_mad_u64_u32 v[28:29], s[4:5], s10, v10, v[8:9]
	;; [unrolled: 1-line block ×7, first 2 shown]
	v_mov_b64_e32 v[8:9], s[14:15]
	v_mul_lo_u32 v15, s10, v15
	v_mul_lo_u32 v48, s11, v14
	v_mad_u64_u32 v[46:47], s[4:5], s10, v14, v[8:9]
	v_add3_u32 v33, v48, v33, v15
	v_mul_lo_u32 v17, s10, v17
	v_mul_lo_u32 v50, s11, v16
	v_add3_u32 v47, v48, v47, v15
	v_mad_u64_u32 v[48:49], s[4:5], s10, v16, v[8:9]
	v_lshlrev_b32_e32 v20, 3, v88
	v_mov_b32_e32 v21, v3
	v_mul_lo_u32 v2, s10, v7
	v_mul_lo_u32 v7, s11, v6
	v_add3_u32 v35, v50, v35, v17
	v_mul_lo_u32 v19, s10, v19
	v_mul_lo_u32 v52, s11, v18
	v_mad_u64_u32 v[40:41], s[4:5], s10, v6, v[8:9]
	v_add3_u32 v49, v50, v49, v17
	v_mad_u64_u32 v[50:51], s[4:5], s10, v18, v[8:9]
	v_add3_u32 v25, v7, v25, v2
	v_add3_u32 v37, v52, v37, v19
	v_mul_lo_u32 v5, s10, v5
	v_mul_lo_u32 v54, s11, v4
	v_add3_u32 v41, v7, v41, v2
	v_lshl_add_u64 v[6:7], v[20:21], 0, s[28:29]
	v_add3_u32 v51, v52, v51, v19
	v_mad_u64_u32 v[52:53], s[4:5], s10, v4, v[8:9]
	v_add3_u32 v39, v54, v39, v5
	v_add3_u32 v53, v54, v53, v5
	v_lshl_add_u64 v[4:5], v[6:7], 0, 7
	v_mad_u64_u32 v[42:43], s[4:5], s10, v10, v[8:9]
	v_mad_u64_u32 v[44:45], s[4:5], s10, v12, v[8:9]
	v_mul_lo_u32 v8, s11, v4
	v_mul_lo_u32 v9, s10, v5
	v_mad_u64_u32 v[4:5], s[4:5], s10, v4, 0
	v_mul_lo_u32 v11, s10, v11
	v_mul_lo_u32 v26, s11, v10
	v_add3_u32 v5, v5, v9, v8
	v_lshl_add_u64 v[8:9], v[6:7], 0, 6
	v_add3_u32 v29, v26, v29, v11
	v_add3_u32 v43, v26, v43, v11
	v_mul_lo_u32 v10, s11, v8
	v_mul_lo_u32 v11, s10, v9
	v_mad_u64_u32 v[8:9], s[4:5], s10, v8, 0
	v_mul_lo_u32 v13, s10, v13
	v_mul_lo_u32 v27, s11, v12
	v_add3_u32 v9, v9, v11, v10
	v_lshl_add_u64 v[10:11], v[6:7], 0, 5
	v_add3_u32 v31, v27, v31, v13
	v_add3_u32 v45, v27, v45, v13
	v_mul_lo_u32 v12, s11, v10
	v_mul_lo_u32 v13, s10, v11
	v_mad_u64_u32 v[10:11], s[4:5], s10, v10, 0
	v_add3_u32 v11, v11, v13, v12
	v_lshl_add_u64 v[12:13], v[6:7], 0, 4
	v_mul_lo_u32 v14, s11, v12
	v_mul_lo_u32 v15, s10, v13
	v_mad_u64_u32 v[12:13], s[4:5], s10, v12, 0
	v_add3_u32 v13, v13, v15, v14
	v_lshl_add_u64 v[14:15], v[6:7], 0, 3
	;; [unrolled: 5-line block ×3, first 2 shown]
	s_load_dword s3, s[0:1], 0x44
	v_lshlrev_b64 v[4:5], 2, v[4:5]
	v_mul_lo_u32 v18, s11, v16
	v_mul_lo_u32 v19, s10, v17
	v_mad_u64_u32 v[16:17], s[4:5], s10, v16, 0
	v_lshl_add_u64 v[58:59], s[12:13], 0, v[4:5]
	v_lshl_add_u64 v[60:61], s[14:15], 0, v[4:5]
	v_lshlrev_b64 v[4:5], 2, v[8:9]
	v_add3_u32 v17, v17, v19, v18
	v_mov_b64_e32 v[18:19], s[10:11]
	v_lshl_add_u64 v[62:63], s[12:13], 0, v[4:5]
	v_lshl_add_u64 v[64:65], s[14:15], 0, v[4:5]
	v_lshlrev_b64 v[4:5], 2, v[10:11]
	v_mul_lo_u32 v2, s11, v6
	v_mad_u64_u32 v[18:19], s[4:5], s10, v6, v[18:19]
	v_mul_lo_u32 v26, s10, v7
	v_mad_u64_u32 v[6:7], s[4:5], s10, v6, 0
	v_lshl_add_u64 v[66:67], s[12:13], 0, v[4:5]
	v_lshl_add_u64 v[68:69], s[14:15], 0, v[4:5]
	v_lshlrev_b64 v[4:5], 2, v[12:13]
	s_add_u32 s4, s0, 64
	v_lshl_add_u64 v[70:71], s[12:13], 0, v[4:5]
	v_lshl_add_u64 v[72:73], s[14:15], 0, v[4:5]
	v_lshlrev_b64 v[4:5], 2, v[14:15]
	v_add3_u32 v7, v7, v26, v2
	v_add3_u32 v19, v2, v19, v26
	s_addc_u32 s5, s1, 0
	s_waitcnt lgkmcnt(0)
	s_lshl_b32 s3, s3, 6
	v_lshl_add_u64 v[74:75], s[12:13], 0, v[4:5]
	v_lshl_add_u64 v[76:77], s[14:15], 0, v[4:5]
	v_lshlrev_b64 v[4:5], 2, v[16:17]
	v_mbcnt_lo_u32_b32 v2, -1, 0
	s_add_u32 s6, s28, 63
	s_mul_i32 s17, s11, s3
	s_mul_hi_u32 s18, s10, s3
	v_lshlrev_b64 v[6:7], 2, v[6:7]
	v_lshl_add_u64 v[78:79], s[12:13], 0, v[4:5]
	v_lshl_add_u64 v[80:81], s[14:15], 0, v[4:5]
	v_lshlrev_b64 v[4:5], 2, v[18:19]
	v_mbcnt_hi_u32_b32 v2, -1, v2
	s_addc_u32 s7, 0, 0
	s_add_i32 s19, s18, s17
	s_mul_i32 s18, s10, s3
	v_lshl_add_u64 v[54:55], s[12:13], 0, v[6:7]
	v_lshl_add_u64 v[56:57], s[14:15], 0, v[6:7]
	;; [unrolled: 1-line block ×4, first 2 shown]
	s_movk_i32 s12, 0xffc1
	s_movk_i32 s14, 0xffc2
	;; [unrolled: 1-line block ×8, first 2 shown]
	v_lshlrev_b32_e32 v2, 2, v2
	s_lshl_b64 s[30:31], s[18:19], 2
	s_mov_b32 s13, -1
	s_mov_b32 s15, -1
	;; [unrolled: 1-line block ×8, first 2 shown]
	v_and_b32_e32 v89, 0x100, v2
	v_mov_b32_e32 v26, v3
	v_mov_b32_e32 v27, v3
	s_branch .LBB55_55
.LBB55_52:                              ;   in Loop: Header=BB55_55 Depth=1
	s_or_b64 exec, exec, s[20:21]
.LBB55_53:                              ;   in Loop: Header=BB55_55 Depth=1
	s_or_b64 exec, exec, s[18:19]
	v_lshl_add_u64 v[4:5], v[54:55], 0, v[22:23]
	v_lshl_add_u64 v[10:11], v[40:41], 0, v[22:23]
	global_load_dword v5, v[4:5], off
	v_lshl_add_u64 v[8:9], v[56:57], 0, v[22:23]
	global_load_dword v4, v[10:11], off
	;; [unrolled: 2-line block ×5, first 2 shown]
	s_waitcnt vmcnt(6)
	ds_bpermute_b32 v90, v89, v6
	global_load_dword v8, v[10:11], off
	v_lshl_add_u64 v[10:11], v[30:31], 0, v[22:23]
	global_load_dword v15, v[10:11], off
	v_lshl_add_u64 v[10:11], v[44:45], 0, v[22:23]
	;; [unrolled: 2-line block ×10, first 2 shown]
	global_load_dword v11, v[10:11], off
	ds_bpermute_b32 v92, v89, v6 offset:4
	s_waitcnt vmcnt(16)
	ds_bpermute_b32 v10, v89, v7
	ds_bpermute_b32 v94, v89, v6 offset:8
	ds_bpermute_b32 v96, v89, v6 offset:12
	;; [unrolled: 1-line block ×13, first 2 shown]
	s_waitcnt vmcnt(14) lgkmcnt(14)
	v_sub_f32_e32 v4, v4, v92
	s_waitcnt vmcnt(13)
	v_sub_f32_e32 v2, v2, v90
	v_mul_f32_e32 v2, v5, v2
	s_waitcnt vmcnt(10) lgkmcnt(12)
	v_sub_f32_e32 v8, v8, v94
	v_mul_f32_e32 v90, v13, v8
	s_waitcnt vmcnt(8) lgkmcnt(11)
	;; [unrolled: 3-line block ×3, first 2 shown]
	v_sub_f32_e32 v14, v14, v98
	s_waitcnt lgkmcnt(5)
	v_mul_f32_e32 v12, v90, v93
	s_waitcnt vmcnt(6)
	v_sub_f32_e32 v16, v16, v100
	s_waitcnt vmcnt(5)
	v_sub_f32_e32 v18, v18, v102
	;; [unrolled: 2-line block ×3, first 2 shown]
	v_mul_f32_e32 v86, v9, v4
	v_mul_f32_e32 v4, v2, v10
	;; [unrolled: 1-line block ×3, first 2 shown]
	v_pk_add_f32 v[4:5], v[26:27], v[4:5]
	s_waitcnt vmcnt(3)
	v_mul_f32_e32 v94, v17, v14
	v_pk_add_f32 v[4:5], v[4:5], v[8:9]
	s_waitcnt lgkmcnt(4)
	v_mul_f32_e32 v14, v92, v95
	v_pk_add_f32 v[4:5], v[4:5], v[12:13]
	s_waitcnt vmcnt(2)
	v_mul_f32_e32 v96, v19, v16
	s_waitcnt lgkmcnt(3)
	v_mul_f32_e32 v16, v94, v97
	v_pk_add_f32 v[4:5], v[4:5], v[14:15]
	s_waitcnt vmcnt(1)
	v_mul_f32_e32 v98, v87, v18
	s_waitcnt lgkmcnt(2)
	v_mul_f32_e32 v18, v96, v99
	v_pk_add_f32 v[4:5], v[4:5], v[16:17]
	s_waitcnt vmcnt(0)
	v_mul_f32_e32 v6, v11, v6
	s_waitcnt lgkmcnt(1)
	v_mul_f32_e32 v86, v98, v101
	v_pk_add_f32 v[4:5], v[4:5], v[18:19]
	s_waitcnt lgkmcnt(0)
	v_mul_f32_e32 v10, v6, v7
	v_pk_add_f32 v[4:5], v[4:5], v[86:87]
.LBB55_54:                              ;   in Loop: Header=BB55_55 Depth=1
	s_add_u32 s28, s28, s3
	v_pk_add_f32 v[26:27], v[4:5], v[10:11]
	s_addc_u32 s29, s29, 0
	v_mov_b64_e32 v[4:5], s[8:9]
	s_add_u32 s6, s6, s3
	v_cmp_ge_i64_e32 vcc, s[28:29], v[4:5]
	s_addc_u32 s7, s7, 0
	v_lshl_add_u64 v[24:25], v[24:25], 0, s[30:31]
	v_lshl_add_u64 v[28:29], v[28:29], 0, s[30:31]
	;; [unrolled: 1-line block ×30, first 2 shown]
	s_cbranch_vccnz .LBB55_81
.LBB55_55:                              ; =>This Inner Loop Header: Depth=1
	v_mov_b64_e32 v[4:5], s[8:9]
	v_cmp_ge_i64_e32 vcc, s[6:7], v[4:5]
	v_lshl_add_u64 v[86:87], v[20:21], 0, s[6:7]
	s_cbranch_vccz .LBB55_77
; %bb.56:                               ;   in Loop: Header=BB55_55 Depth=1
	s_load_dword s17, s[4:5], 0xc
	v_mov_b32_e32 v90, 0
	v_mov_b32_e32 v91, 0
	s_waitcnt lgkmcnt(0)
	s_and_b32 s17, s17, 0xffff
	v_mad_u32_u24 v2, v88, s17, v1
	v_and_b32_e32 v2, 63, v2
	v_cmp_gt_u32_e32 vcc, 8, v2
	s_and_saveexec_b64 s[18:19], vcc
	s_cbranch_execz .LBB55_60
; %bb.57:                               ;   in Loop: Header=BB55_55 Depth=1
	v_lshl_add_u64 v[4:5], v[86:87], 0, v[2:3]
	v_lshl_add_u64 v[4:5], v[4:5], 0, s[12:13]
	v_cmp_gt_i64_e32 vcc, s[8:9], v[4:5]
	v_mov_b32_e32 v91, 0
	v_mov_b32_e32 v90, 0
	s_and_saveexec_b64 s[20:21], vcc
	s_cbranch_execz .LBB55_59
; %bb.58:                               ;   in Loop: Header=BB55_55 Depth=1
	v_lshlrev_b64 v[4:5], 2, v[4:5]
	v_lshl_add_u64 v[6:7], s[26:27], 0, v[4:5]
	v_lshl_add_u64 v[4:5], s[24:25], 0, v[4:5]
	global_load_dword v91, v[4:5], off
	global_load_dword v90, v[6:7], off
.LBB55_59:                              ;   in Loop: Header=BB55_55 Depth=1
	s_or_b64 exec, exec, s[20:21]
.LBB55_60:                              ;   in Loop: Header=BB55_55 Depth=1
	s_or_b64 exec, exec, s[18:19]
	s_mov_b32 s17, s16
	v_lshl_add_u64 v[4:5], v[86:87], 0, s[12:13]
	s_mov_b32 s18, s16
	s_mov_b32 s19, s16
	;; [unrolled: 1-line block ×6, first 2 shown]
	v_mov_b64_e32 v[12:13], s[16:17]
	v_cmp_gt_i64_e32 vcc, s[8:9], v[4:5]
	v_mov_b64_e32 v[14:15], s[18:19]
	v_mov_b64_e32 v[16:17], s[20:21]
	;; [unrolled: 1-line block ×7, first 2 shown]
	s_and_saveexec_b64 s[18:19], vcc
	s_cbranch_execz .LBB55_62
; %bb.61:                               ;   in Loop: Header=BB55_55 Depth=1
	v_lshl_add_u64 v[4:5], v[54:55], 0, v[22:23]
	global_load_dword v2, v[4:5], off
	v_lshl_add_u64 v[4:5], v[56:57], 0, v[22:23]
	global_load_dword v12, v[4:5], off
	v_mov_b32_e32 v4, v3
	v_mov_b32_e32 v5, v3
	;; [unrolled: 1-line block ×6, first 2 shown]
	s_waitcnt vmcnt(1)
	v_mov_b64_e32 v[10:11], v[8:9]
	v_mov_b32_e32 v13, v3
	v_mov_b32_e32 v14, v3
	;; [unrolled: 1-line block ×7, first 2 shown]
	v_mov_b64_e32 v[8:9], v[6:7]
	v_mov_b64_e32 v[6:7], v[4:5]
	;; [unrolled: 1-line block ×3, first 2 shown]
.LBB55_62:                              ;   in Loop: Header=BB55_55 Depth=1
	s_or_b64 exec, exec, s[18:19]
	v_lshl_add_u64 v[92:93], v[86:87], 0, s[14:15]
	v_cmp_gt_i64_e32 vcc, s[8:9], v[92:93]
	s_and_saveexec_b64 s[18:19], vcc
	s_cbranch_execz .LBB55_64
; %bb.63:                               ;   in Loop: Header=BB55_55 Depth=1
	v_lshl_add_u64 v[92:93], v[82:83], 0, v[22:23]
	global_load_dword v5, v[92:93], off
	v_lshl_add_u64 v[92:93], v[84:85], 0, v[22:23]
	global_load_dword v13, v[92:93], off
.LBB55_64:                              ;   in Loop: Header=BB55_55 Depth=1
	s_or_b64 exec, exec, s[18:19]
	v_lshl_add_u64 v[92:93], v[86:87], 0, s[34:35]
	v_cmp_gt_i64_e32 vcc, s[8:9], v[92:93]
	s_and_saveexec_b64 s[18:19], vcc
	s_cbranch_execz .LBB55_66
; %bb.65:                               ;   in Loop: Header=BB55_55 Depth=1
	v_lshl_add_u64 v[92:93], v[78:79], 0, v[22:23]
	global_load_dword v6, v[92:93], off
	v_lshl_add_u64 v[92:93], v[80:81], 0, v[22:23]
	global_load_dword v14, v[92:93], off
.LBB55_66:                              ;   in Loop: Header=BB55_55 Depth=1
	;; [unrolled: 11-line block ×7, first 2 shown]
	s_or_b64 exec, exec, s[18:19]
	s_waitcnt vmcnt(1)
	ds_bpermute_b32 v2, v89, v91
	ds_bpermute_b32 v92, v89, v91 offset:4
	s_waitcnt vmcnt(0)
	ds_bpermute_b32 v93, v89, v90
	ds_bpermute_b32 v94, v89, v90 offset:4
	v_mov_b32_e32 v95, v7
	s_waitcnt lgkmcnt(3)
	v_sub_f32_e32 v2, v12, v2
	v_mul_f32_e32 v2, v4, v2
	s_waitcnt lgkmcnt(2)
	v_sub_f32_e32 v13, v13, v92
	s_waitcnt lgkmcnt(1)
	v_mul_f32_e32 v12, v2, v93
	ds_bpermute_b32 v2, v89, v91 offset:8
	v_mul_f32_e32 v13, v5, v13
	s_waitcnt lgkmcnt(1)
	v_mul_f32_e32 v92, v13, v94
	ds_bpermute_b32 v13, v89, v90 offset:8
	ds_bpermute_b32 v93, v89, v91 offset:12
	;; [unrolled: 1-line block ×3, first 2 shown]
	s_waitcnt lgkmcnt(3)
	v_sub_f32_e32 v2, v14, v2
	v_mul_f32_e32 v2, v6, v2
	s_waitcnt lgkmcnt(2)
	v_mul_f32_e32 v14, v2, v13
	s_waitcnt lgkmcnt(1)
	v_sub_f32_e32 v2, v15, v93
	ds_bpermute_b32 v13, v89, v91 offset:16
	v_mul_f32_e32 v2, v7, v2
	s_waitcnt lgkmcnt(1)
	v_mul_f32_e32 v94, v2, v94
	ds_bpermute_b32 v2, v89, v90 offset:16
	ds_bpermute_b32 v15, v89, v91 offset:20
	;; [unrolled: 1-line block ×3, first 2 shown]
	s_waitcnt lgkmcnt(3)
	v_sub_f32_e32 v13, v16, v13
	v_mul_f32_e32 v13, v8, v13
	s_waitcnt lgkmcnt(2)
	v_mul_f32_e32 v16, v13, v2
	s_waitcnt lgkmcnt(1)
	v_sub_f32_e32 v2, v17, v15
	v_mul_f32_e32 v2, v9, v2
	s_waitcnt lgkmcnt(0)
	v_mul_f32_e32 v96, v2, v93
	ds_bpermute_b32 v2, v89, v91 offset:24
	v_mov_b32_e32 v15, v6
	ds_bpermute_b32 v6, v89, v90 offset:24
	v_mov_b32_e32 v13, v4
	v_pk_add_f32 v[12:13], v[26:27], v[12:13]
	v_mov_b32_e32 v93, v5
	v_pk_add_f32 v[4:5], v[92:93], v[12:13]
	v_mov_b32_e32 v17, v8
	s_waitcnt lgkmcnt(1)
	v_sub_f32_e32 v2, v18, v2
	ds_bpermute_b32 v8, v89, v91 offset:28
	v_pk_add_f32 v[4:5], v[14:15], v[4:5]
	v_mul_f32_e32 v2, v10, v2
	v_pk_add_f32 v[4:5], v[94:95], v[4:5]
	s_waitcnt lgkmcnt(1)
	v_mul_f32_e32 v6, v2, v6
	ds_bpermute_b32 v2, v89, v90 offset:28
	v_pk_add_f32 v[4:5], v[16:17], v[4:5]
	v_mov_b32_e32 v97, v9
	v_pk_add_f32 v[4:5], v[96:97], v[4:5]
	v_mov_b32_e32 v7, v10
	v_pk_add_f32 v[4:5], v[6:7], v[4:5]
	s_waitcnt lgkmcnt(1)
	v_sub_f32_e32 v6, v19, v8
	v_mul_f32_e32 v6, v11, v6
	s_waitcnt lgkmcnt(0)
	v_mul_f32_e32 v10, v6, v2
	s_branch .LBB55_54
.LBB55_77:                              ;   in Loop: Header=BB55_55 Depth=1
                                        ; implicit-def: $vgpr4_vgpr5
                                        ; implicit-def: $vgpr10_vgpr11
	s_cbranch_execz .LBB55_54
; %bb.78:                               ;   in Loop: Header=BB55_55 Depth=1
	s_load_dword s17, s[4:5], 0x0
	v_mov_b32_e32 v7, 0
	v_mov_b32_e32 v6, 0
	s_waitcnt lgkmcnt(0)
	s_cmp_lt_u32 s2, s17
	s_cselect_b32 s17, 12, 18
	s_add_u32 s18, s4, s17
	s_addc_u32 s19, s5, 0
	global_load_ushort v2, v3, s[18:19]
	s_waitcnt vmcnt(0)
	v_mad_u32_u24 v2, v88, v2, v1
	v_and_b32_e32 v2, 63, v2
	v_cmp_gt_u32_e32 vcc, 8, v2
	s_and_saveexec_b64 s[18:19], vcc
	s_cbranch_execz .LBB55_53
; %bb.79:                               ;   in Loop: Header=BB55_55 Depth=1
	v_lshl_add_u64 v[4:5], v[86:87], 0, v[2:3]
	v_lshl_add_u64 v[4:5], v[4:5], 0, s[12:13]
	v_cmp_gt_i64_e32 vcc, s[8:9], v[4:5]
	v_mov_b32_e32 v6, 0
	v_mov_b32_e32 v7, 0
	s_and_saveexec_b64 s[20:21], vcc
	s_cbranch_execz .LBB55_52
; %bb.80:                               ;   in Loop: Header=BB55_55 Depth=1
	v_lshlrev_b64 v[4:5], 2, v[4:5]
	v_lshl_add_u64 v[8:9], s[26:27], 0, v[4:5]
	v_lshl_add_u64 v[4:5], s[24:25], 0, v[4:5]
	global_load_dword v6, v[4:5], off
	global_load_dword v7, v[8:9], off
	s_branch .LBB55_52
.LBB55_81:
	v_bfe_u32 v6, v0, 10, 10
	v_and_b32_e32 v0, 0x3ff, v0
	s_movk_i32 s3, 0x41
	v_mad_u32_u24 v1, v6, s3, v0
	v_lshl_add_u32 v1, v1, 2, 0
	v_lshrrev_b32_e32 v8, 6, v0
	ds_write_b32 v1, v26
	ds_write_b32 v1, v27 offset:2080
	v_add_u32_e32 v1, v8, v6
	s_mov_b32 s3, 0
	v_cmp_gt_u32_e32 vcc, 64, v1
	s_waitcnt lgkmcnt(0)
	s_barrier
	s_and_saveexec_b64 s[4:5], vcc
	s_cbranch_execz .LBB55_91
; %bb.82:
	v_and_b32_e32 v1, 63, v0
	s_load_dwordx4 s[4:7], s[0:1], 0x30
	v_cmp_gt_u32_e64 s[0:1], 8, v1
	v_mul_u32_u24_e32 v13, 0x41, v1
	v_mbcnt_lo_u32_b32 v1, -1, 0
	v_mbcnt_hi_u32_b32 v1, -1, v1
	v_and_b32_e32 v2, 64, v1
	v_add_u32_e32 v2, 64, v2
	s_lshl_b64 s[8:9], s[2:3], 6
	v_cmp_eq_u32_e64 s[2:3], 0, v0
	v_xor_b32_e32 v0, 4, v1
	v_cmp_lt_i32_e32 vcc, v0, v2
	v_mov_b32_e32 v9, 0
	v_mov_b32_e32 v7, v9
	v_cndmask_b32_e32 v0, v1, v0, vcc
	v_lshlrev_b32_e32 v10, 2, v0
	v_xor_b32_e32 v0, 2, v1
	v_cmp_lt_i32_e32 vcc, v0, v2
	s_waitcnt lgkmcnt(0)
	s_cmp_lg_u64 s[4:5], 0
	s_cselect_b64 s[14:15], -1, 0
	v_cndmask_b32_e32 v0, v1, v0, vcc
	v_lshlrev_b32_e32 v11, 2, v0
	v_xor_b32_e32 v0, 1, v1
	v_cmp_lt_i32_e32 vcc, v0, v2
	s_cmp_lg_u64 s[6:7], 0
	s_mov_b64 s[12:13], 0
	v_cndmask_b32_e32 v0, v1, v0, vcc
	v_lshlrev_b32_e32 v12, 2, v0
	v_lshl_add_u64 v[0:1], v[8:9], 0, v[6:7]
	v_lshl_add_u64 v[2:3], v[0:1], 0, s[8:9]
	v_lshlrev_b64 v[4:5], 2, v[2:3]
	v_add3_u32 v6, v13, v6, v8
	v_lshl_add_u64 v[2:3], s[6:7], 0, v[4:5]
	v_lshl_add_u32 v8, v6, 2, 0
	v_cndmask_b32_e64 v6, 0, 1, s[14:15]
	s_cselect_b64 s[6:7], -1, 0
	v_lshl_add_u64 v[4:5], s[4:5], 0, v[4:5]
	v_cmp_ne_u32_e64 s[4:5], 1, v6
	v_cndmask_b32_e64 v6, 0, 1, s[6:7]
	v_cmp_ne_u32_e64 s[6:7], 1, v6
                                        ; implicit-def: $vgpr6
	s_branch .LBB55_84
.LBB55_83:                              ;   in Loop: Header=BB55_84 Depth=1
	s_or_b64 exec, exec, s[14:15]
	v_lshl_add_u64 v[0:1], v[0:1], 0, 8
	v_add_u32_e32 v9, -8, v0
	v_cmp_lt_u32_e32 vcc, 55, v9
	v_lshl_add_u64 v[2:3], v[2:3], 0, 32
	v_lshl_add_u64 v[4:5], v[4:5], 0, 32
	s_or_b64 s[12:13], vcc, s[12:13]
	v_add_u32_e32 v8, 32, v8
	s_andn2_b64 exec, exec, s[12:13]
	s_cbranch_execz .LBB55_91
.LBB55_84:                              ; =>This Inner Loop Header: Depth=1
	s_and_saveexec_b64 s[14:15], s[0:1]
	s_cbranch_execz .LBB55_86
; %bb.85:                               ;   in Loop: Header=BB55_84 Depth=1
	ds_read_b32 v7, v8
	ds_read_b32 v6, v8 offset:2080
.LBB55_86:                              ;   in Loop: Header=BB55_84 Depth=1
	s_or_b64 exec, exec, s[14:15]
	s_waitcnt lgkmcnt(1)
	ds_bpermute_b32 v15, v10, v7
	s_waitcnt lgkmcnt(1)
	ds_bpermute_b32 v14, v10, v6
	v_lshl_add_u64 v[16:17], s[8:9], 0, v[0:1]
	v_cmp_gt_i64_e32 vcc, s[10:11], v[16:17]
	s_and_b64 s[16:17], s[2:3], vcc
	s_waitcnt lgkmcnt(0)
	v_pk_add_f32 v[6:7], v[6:7], v[14:15]
	ds_bpermute_b32 v15, v11, v7
	ds_bpermute_b32 v14, v11, v6
	s_waitcnt lgkmcnt(0)
	v_pk_add_f32 v[6:7], v[6:7], v[14:15]
	ds_bpermute_b32 v15, v12, v7
	ds_bpermute_b32 v14, v12, v6
	s_waitcnt lgkmcnt(0)
	v_pk_add_f32 v[6:7], v[6:7], v[14:15]
	s_and_saveexec_b64 s[14:15], s[16:17]
	s_cbranch_execz .LBB55_83
; %bb.87:                               ;   in Loop: Header=BB55_84 Depth=1
	s_and_b64 vcc, exec, s[4:5]
	s_cbranch_vccnz .LBB55_89
; %bb.88:                               ;   in Loop: Header=BB55_84 Depth=1
	global_store_dword v[4:5], v7, off
.LBB55_89:                              ;   in Loop: Header=BB55_84 Depth=1
	s_and_b64 vcc, exec, s[6:7]
	s_cbranch_vccnz .LBB55_83
; %bb.90:                               ;   in Loop: Header=BB55_84 Depth=1
	global_store_dword v[2:3], v6, off
	s_branch .LBB55_83
.LBB55_91:
	s_endpgm
	.section	.rodata,"a",@progbits
	.p2align	6, 0x0
	.amdhsa_kernel _ZN2at6native12_GLOBAL__N_135GammaBetaBackwardCUDAKernelTemplateIffLj64ELj8ELj64ELb0ELb0ELb0EEEvllPKT_S5_PKT0_S8_PS3_S9_
		.amdhsa_group_segment_fixed_size 0
		.amdhsa_private_segment_fixed_size 0
		.amdhsa_kernarg_size 320
		.amdhsa_user_sgpr_count 2
		.amdhsa_user_sgpr_dispatch_ptr 0
		.amdhsa_user_sgpr_queue_ptr 0
		.amdhsa_user_sgpr_kernarg_segment_ptr 1
		.amdhsa_user_sgpr_dispatch_id 0
		.amdhsa_user_sgpr_kernarg_preload_length 0
		.amdhsa_user_sgpr_kernarg_preload_offset 0
		.amdhsa_user_sgpr_private_segment_size 0
		.amdhsa_uses_dynamic_stack 0
		.amdhsa_enable_private_segment 0
		.amdhsa_system_sgpr_workgroup_id_x 1
		.amdhsa_system_sgpr_workgroup_id_y 1
		.amdhsa_system_sgpr_workgroup_id_z 0
		.amdhsa_system_sgpr_workgroup_info 0
		.amdhsa_system_vgpr_workitem_id 1
		.amdhsa_next_free_vgpr 103
		.amdhsa_next_free_sgpr 58
		.amdhsa_accum_offset 104
		.amdhsa_reserve_vcc 1
		.amdhsa_float_round_mode_32 0
		.amdhsa_float_round_mode_16_64 0
		.amdhsa_float_denorm_mode_32 3
		.amdhsa_float_denorm_mode_16_64 3
		.amdhsa_dx10_clamp 1
		.amdhsa_ieee_mode 1
		.amdhsa_fp16_overflow 0
		.amdhsa_tg_split 0
		.amdhsa_exception_fp_ieee_invalid_op 0
		.amdhsa_exception_fp_denorm_src 0
		.amdhsa_exception_fp_ieee_div_zero 0
		.amdhsa_exception_fp_ieee_overflow 0
		.amdhsa_exception_fp_ieee_underflow 0
		.amdhsa_exception_fp_ieee_inexact 0
		.amdhsa_exception_int_div_zero 0
	.end_amdhsa_kernel
	.section	.text._ZN2at6native12_GLOBAL__N_135GammaBetaBackwardCUDAKernelTemplateIffLj64ELj8ELj64ELb0ELb0ELb0EEEvllPKT_S5_PKT0_S8_PS3_S9_,"axG",@progbits,_ZN2at6native12_GLOBAL__N_135GammaBetaBackwardCUDAKernelTemplateIffLj64ELj8ELj64ELb0ELb0ELb0EEEvllPKT_S5_PKT0_S8_PS3_S9_,comdat
.Lfunc_end55:
	.size	_ZN2at6native12_GLOBAL__N_135GammaBetaBackwardCUDAKernelTemplateIffLj64ELj8ELj64ELb0ELb0ELb0EEEvllPKT_S5_PKT0_S8_PS3_S9_, .Lfunc_end55-_ZN2at6native12_GLOBAL__N_135GammaBetaBackwardCUDAKernelTemplateIffLj64ELj8ELj64ELb0ELb0ELb0EEEvllPKT_S5_PKT0_S8_PS3_S9_
                                        ; -- End function
	.section	.AMDGPU.csdata,"",@progbits
; Kernel info:
; codeLenInByte = 7064
; NumSgprs: 64
; NumVgprs: 103
; NumAgprs: 0
; TotalNumVgprs: 103
; ScratchSize: 0
; MemoryBound: 0
; FloatMode: 240
; IeeeMode: 1
; LDSByteSize: 0 bytes/workgroup (compile time only)
; SGPRBlocks: 7
; VGPRBlocks: 12
; NumSGPRsForWavesPerEU: 64
; NumVGPRsForWavesPerEU: 103
; AccumOffset: 104
; Occupancy: 4
; WaveLimiterHint : 0
; COMPUTE_PGM_RSRC2:SCRATCH_EN: 0
; COMPUTE_PGM_RSRC2:USER_SGPR: 2
; COMPUTE_PGM_RSRC2:TRAP_HANDLER: 0
; COMPUTE_PGM_RSRC2:TGID_X_EN: 1
; COMPUTE_PGM_RSRC2:TGID_Y_EN: 1
; COMPUTE_PGM_RSRC2:TGID_Z_EN: 0
; COMPUTE_PGM_RSRC2:TIDIG_COMP_CNT: 1
; COMPUTE_PGM_RSRC3_GFX90A:ACCUM_OFFSET: 25
; COMPUTE_PGM_RSRC3_GFX90A:TG_SPLIT: 0
	.section	.text._ZN2at6native12_GLOBAL__N_135GammaBetaBackwardCUDAKernelTemplateIffLj64ELj16ELj128ELb0ELb1ELb0EEEvllPKT_S5_PKT0_S8_PS3_S9_,"axG",@progbits,_ZN2at6native12_GLOBAL__N_135GammaBetaBackwardCUDAKernelTemplateIffLj64ELj16ELj128ELb0ELb1ELb0EEEvllPKT_S5_PKT0_S8_PS3_S9_,comdat
	.globl	_ZN2at6native12_GLOBAL__N_135GammaBetaBackwardCUDAKernelTemplateIffLj64ELj16ELj128ELb0ELb1ELb0EEEvllPKT_S5_PKT0_S8_PS3_S9_ ; -- Begin function _ZN2at6native12_GLOBAL__N_135GammaBetaBackwardCUDAKernelTemplateIffLj64ELj16ELj128ELb0ELb1ELb0EEEvllPKT_S5_PKT0_S8_PS3_S9_
	.p2align	8
	.type	_ZN2at6native12_GLOBAL__N_135GammaBetaBackwardCUDAKernelTemplateIffLj64ELj16ELj128ELb0ELb1ELb0EEEvllPKT_S5_PKT0_S8_PS3_S9_,@function
_ZN2at6native12_GLOBAL__N_135GammaBetaBackwardCUDAKernelTemplateIffLj64ELj16ELj128ELb0ELb1ELb0EEEvllPKT_S5_PKT0_S8_PS3_S9_: ; @_ZN2at6native12_GLOBAL__N_135GammaBetaBackwardCUDAKernelTemplateIffLj64ELj16ELj128ELb0ELb1ELb0EEEvllPKT_S5_PKT0_S8_PS3_S9_
; %bb.0:
	s_load_dwordx4 s[16:19], s[0:1], 0x0
	s_lshl_b32 s6, s3, 7
	s_mov_b32 s7, 0
	v_bfe_u32 v12, v0, 10, 10
	s_waitcnt lgkmcnt(0)
	v_mov_b64_e32 v[2:3], s[16:17]
	v_cmp_lt_i64_e32 vcc, s[6:7], v[2:3]
	s_cbranch_vccnz .LBB56_2
; %bb.1:
	s_mov_b64 s[4:5], 0
	v_bfe_u32 v4, v0, 10, 10
	s_branch .LBB56_3
.LBB56_2:
	s_mov_b64 s[4:5], -1
                                        ; implicit-def: $vgpr4
.LBB56_3:
	v_and_b32_e32 v10, 0x3ff, v0
	s_andn2_b64 vcc, exec, s[4:5]
	v_mov_b32_e32 v1, s7
	v_mbcnt_lo_u32_b32 v11, -1, 0
	v_mov_b32_e32 v0, s7
	s_cbranch_vccnz .LBB56_11
; %bb.4:
	s_load_dword s3, s[0:1], 0x4c
	s_load_dword s20, s[0:1], 0x44
	s_load_dwordx8 s[8:15], s[0:1], 0x10
	v_lshlrev_b32_e32 v0, 3, v12
	v_mbcnt_hi_u32_b32 v4, -1, v11
	s_waitcnt lgkmcnt(0)
	s_and_b32 s3, s3, 0xffff
	v_mad_u32_u24 v1, v12, s3, v10
	v_and_b32_e32 v2, 63, v1
	v_mov_b32_e32 v1, 0
	v_mov_b32_e32 v3, v1
	v_lshl_add_u64 v[8:9], v[0:1], 0, s[6:7]
	v_cmp_gt_u32_e64 s[4:5], 8, v2
	s_lshl_b32 s20, s20, 7
	v_lshl_add_u64 v[2:3], v[8:9], 0, v[2:3]
	v_mul_lo_u32 v0, s19, v8
	v_mul_lo_u32 v21, s18, v9
	v_mad_u64_u32 v[8:9], s[24:25], s18, v8, 0
	v_lshl_add_u32 v6, s2, 6, v10
	v_mov_b32_e32 v7, v1
	v_lshlrev_b32_e32 v4, 2, v4
	s_mul_i32 s3, s19, s20
	s_mul_hi_u32 s24, s18, s20
	s_mov_b32 s21, 0
	v_and_b32_e32 v13, 0x100, v4
	v_add3_u32 v9, v9, v21, v0
	v_lshlrev_b64 v[6:7], 2, v[6:7]
	s_add_i32 s25, s24, s3
	s_mul_i32 s24, s18, s20
	v_or_b32_e32 v14, 4, v13
	v_or_b32_e32 v15, 8, v13
	;; [unrolled: 1-line block ×7, first 2 shown]
	v_lshlrev_b64 v[4:5], 2, v[2:3]
	s_lshl_b64 s[22:23], s[20:21], 2
	v_lshl_add_u64 v[6:7], v[8:9], 2, v[6:7]
	s_lshl_b64 s[24:25], s[24:25], 2
	s_lshl_b64 s[18:19], s[18:19], 2
	v_mov_b64_e32 v[8:9], s[16:17]
	v_mov_b32_e32 v0, v1
	s_branch .LBB56_7
.LBB56_5:                               ;   in Loop: Header=BB56_7 Depth=1
	s_or_b64 exec, exec, s[28:29]
.LBB56_6:                               ;   in Loop: Header=BB56_7 Depth=1
	s_or_b64 exec, exec, s[26:27]
	v_lshl_add_u64 v[26:27], s[10:11], 0, v[6:7]
	v_lshl_add_u64 v[24:25], s[8:9], 0, v[6:7]
	global_load_dword v28, v[26:27], off
	v_lshl_add_u64 v[26:27], v[26:27], 0, s[18:19]
	global_load_dword v23, v[24:25], off
	;; [unrolled: 2-line block ×5, first 2 shown]
	global_load_dword v31, v[24:25], off
	v_lshl_add_u64 v[26:27], v[26:27], 0, s[18:19]
	global_load_dword v34, v[26:27], off
	v_lshl_add_u64 v[24:25], v[24:25], 0, s[18:19]
	v_lshl_add_u64 v[26:27], v[26:27], 0, s[18:19]
	global_load_dword v33, v[24:25], off
	global_load_dword v36, v[26:27], off
	v_lshl_add_u64 v[24:25], v[24:25], 0, s[18:19]
	v_lshl_add_u64 v[26:27], v[26:27], 0, s[18:19]
	global_load_dword v35, v[24:25], off
	;; [unrolled: 4-line block ×4, first 2 shown]
	v_lshl_add_u64 v[24:25], v[24:25], 0, s[18:19]
	global_load_dword v26, v[26:27], off
	s_waitcnt vmcnt(16)
	ds_bpermute_b32 v27, v13, v21
	global_load_dword v25, v[24:25], off
	ds_bpermute_b32 v42, v14, v21
	s_waitcnt vmcnt(16)
	ds_bpermute_b32 v24, v13, v22
	ds_bpermute_b32 v44, v15, v21
	;; [unrolled: 1-line block ×14, first 2 shown]
	s_add_u32 s6, s6, s20
	s_addc_u32 s7, s7, 0
	v_cmp_lt_i64_e32 vcc, s[6:7], v[8:9]
	v_lshl_add_u64 v[4:5], v[4:5], 0, s[22:23]
	v_lshl_add_u64 v[2:3], v[2:3], 0, s[20:21]
	;; [unrolled: 1-line block ×3, first 2 shown]
	s_and_b64 vcc, exec, vcc
	s_waitcnt vmcnt(15) lgkmcnt(14)
	v_sub_f32_e32 v22, v28, v27
	s_waitcnt vmcnt(14)
	v_mul_f32_e32 v22, v23, v22
	s_waitcnt lgkmcnt(13)
	v_mul_f32_e32 v22, v22, v24
	s_waitcnt vmcnt(13)
	v_sub_f32_e32 v27, v30, v42
	v_pk_add_f32 v[0:1], v[0:1], v[22:23]
	s_waitcnt vmcnt(12)
	v_mul_f32_e32 v24, v29, v27
	s_waitcnt vmcnt(11) lgkmcnt(12)
	v_sub_f32_e32 v27, v32, v44
	s_waitcnt lgkmcnt(11)
	v_mul_f32_e32 v28, v24, v41
	s_waitcnt vmcnt(10)
	v_mul_f32_e32 v24, v31, v27
	s_waitcnt vmcnt(9) lgkmcnt(10)
	v_sub_f32_e32 v27, v34, v46
	s_waitcnt lgkmcnt(9)
	v_mul_f32_e32 v30, v24, v43
	v_pk_add_f32 v[0:1], v[0:1], v[28:29]
	s_waitcnt vmcnt(8)
	v_mul_f32_e32 v22, v33, v27
	s_waitcnt vmcnt(7) lgkmcnt(8)
	v_sub_f32_e32 v23, v36, v48
	s_waitcnt lgkmcnt(7)
	v_mul_f32_e32 v32, v22, v45
	v_pk_add_f32 v[0:1], v[0:1], v[30:31]
	s_waitcnt vmcnt(6)
	v_mul_f32_e32 v22, v35, v23
	s_waitcnt vmcnt(5) lgkmcnt(4)
	v_sub_f32_e32 v23, v38, v50
	v_mul_f32_e32 v34, v22, v47
	v_pk_add_f32 v[0:1], v[0:1], v[32:33]
	s_waitcnt vmcnt(4)
	v_mul_f32_e32 v22, v37, v23
	s_waitcnt vmcnt(3) lgkmcnt(1)
	v_sub_f32_e32 v23, v40, v52
	v_mul_f32_e32 v36, v22, v49
	v_pk_add_f32 v[0:1], v[0:1], v[34:35]
	s_waitcnt vmcnt(2)
	v_mul_f32_e32 v22, v39, v23
	v_mul_f32_e32 v38, v22, v51
	s_waitcnt vmcnt(1) lgkmcnt(0)
	v_sub_f32_e32 v21, v26, v21
	v_pk_add_f32 v[0:1], v[0:1], v[36:37]
	s_waitcnt vmcnt(0)
	v_mul_f32_e32 v21, v25, v21
	v_pk_add_f32 v[0:1], v[0:1], v[38:39]
	v_mul_f32_e32 v24, v21, v53
	v_pk_add_f32 v[0:1], v[0:1], v[24:25]
	s_cbranch_vccz .LBB56_10
.LBB56_7:                               ; =>This Inner Loop Header: Depth=1
	v_mov_b32_e32 v22, 0
	v_mov_b32_e32 v21, 0
	s_and_saveexec_b64 s[26:27], s[4:5]
	s_cbranch_execz .LBB56_6
; %bb.8:                                ;   in Loop: Header=BB56_7 Depth=1
	v_cmp_gt_i64_e32 vcc, s[16:17], v[2:3]
	v_mov_b32_e32 v21, 0
	v_mov_b32_e32 v22, 0
	s_and_saveexec_b64 s[28:29], vcc
	s_cbranch_execz .LBB56_5
; %bb.9:                                ;   in Loop: Header=BB56_7 Depth=1
	v_lshl_add_u64 v[26:27], s[12:13], 0, v[4:5]
	v_lshl_add_u64 v[24:25], s[14:15], 0, v[4:5]
	global_load_dword v21, v[26:27], off
	global_load_dword v22, v[24:25], off
	s_branch .LBB56_5
.LBB56_10:
	v_mov_b32_e32 v4, v12
.LBB56_11:
	s_load_dwordx4 s[4:7], s[0:1], 0x30
	s_movk_i32 s0, 0x41
	v_mad_u32_u24 v2, v4, s0, v10
	v_lshl_add_u32 v2, v2, 2, 0
	v_lshrrev_b32_e32 v12, 6, v10
	ds_write_b32 v2, v0
	ds_write_b32 v2, v1 offset:4160
	v_add_u32_e32 v0, v12, v4
	s_mov_b32 s3, 0
	v_cmp_gt_u32_e32 vcc, 64, v0
	s_waitcnt lgkmcnt(0)
	s_barrier
	s_and_saveexec_b64 s[0:1], vcc
	s_cbranch_execz .LBB56_21
; %bb.12:
	v_and_b32_e32 v1, 63, v10
	v_cmp_gt_u32_e64 s[0:1], 16, v1
	v_mul_u32_u24_e32 v13, 0x41, v1
	v_mbcnt_hi_u32_b32 v1, -1, v11
	v_and_b32_e32 v2, 64, v1
	v_add_u32_e32 v2, 64, v2
	v_xor_b32_e32 v3, 8, v1
	v_cmp_lt_i32_e32 vcc, v3, v2
	s_lshl_b64 s[10:11], s[2:3], 6
	v_mov_b32_e32 v5, 0
	v_cndmask_b32_e32 v3, v1, v3, vcc
	v_lshlrev_b32_e32 v6, 2, v3
	v_xor_b32_e32 v3, 4, v1
	v_cmp_lt_i32_e32 vcc, v3, v2
	v_cmp_eq_u32_e64 s[2:3], 0, v10
	v_add_u32_e32 v10, -16, v0
	v_cndmask_b32_e32 v3, v1, v3, vcc
	v_lshlrev_b32_e32 v7, 2, v3
	v_xor_b32_e32 v3, 2, v1
	v_cmp_lt_i32_e32 vcc, v3, v2
	v_or_b32_e32 v0, s10, v12
	s_cmp_lg_u64 s[4:5], 0
	v_cndmask_b32_e32 v3, v1, v3, vcc
	v_lshlrev_b32_e32 v8, 2, v3
	v_xor_b32_e32 v3, 1, v1
	v_cmp_lt_i32_e32 vcc, v3, v2
	s_cselect_b64 s[12:13], -1, 0
	s_cmp_lg_u64 s[6:7], 0
	v_cndmask_b32_e32 v1, v1, v3, vcc
	v_lshlrev_b32_e32 v9, 2, v1
	v_mov_b32_e32 v1, s11
	v_lshl_add_u64 v[0:1], v[0:1], 0, v[4:5]
	v_lshlrev_b64 v[2:3], 2, v[0:1]
	v_add3_u32 v4, v13, v4, v12
	v_lshl_add_u64 v[0:1], s[6:7], 0, v[2:3]
	v_lshl_add_u32 v11, v4, 2, 0
	v_cndmask_b32_e64 v4, 0, 1, s[12:13]
	s_cselect_b64 s[6:7], -1, 0
	v_lshl_add_u64 v[2:3], s[4:5], 0, v[2:3]
	v_cmp_ne_u32_e64 s[4:5], 1, v4
	v_cndmask_b32_e64 v4, 0, 1, s[6:7]
	s_mov_b64 s[8:9], 0
	v_cmp_ne_u32_e64 s[6:7], 1, v4
                                        ; implicit-def: $vgpr4
	s_branch .LBB56_14
.LBB56_13:                              ;   in Loop: Header=BB56_14 Depth=1
	s_or_b64 exec, exec, s[10:11]
	v_add_u32_e32 v10, 16, v10
	v_cmp_lt_u32_e32 vcc, 47, v10
	v_lshl_add_u64 v[0:1], v[0:1], 0, 64
	v_lshl_add_u64 v[2:3], v[2:3], 0, 64
	s_or_b64 s[8:9], vcc, s[8:9]
	v_add_u32_e32 v11, 64, v11
	s_andn2_b64 exec, exec, s[8:9]
	s_cbranch_execz .LBB56_21
.LBB56_14:                              ; =>This Inner Loop Header: Depth=1
	s_and_saveexec_b64 s[10:11], s[0:1]
	s_cbranch_execz .LBB56_16
; %bb.15:                               ;   in Loop: Header=BB56_14 Depth=1
	ds_read_b32 v5, v11
	ds_read_b32 v4, v11 offset:4160
.LBB56_16:                              ;   in Loop: Header=BB56_14 Depth=1
	s_or_b64 exec, exec, s[10:11]
	s_waitcnt lgkmcnt(1)
	ds_bpermute_b32 v13, v6, v5
	s_waitcnt lgkmcnt(1)
	ds_bpermute_b32 v12, v6, v4
	s_waitcnt lgkmcnt(0)
	v_pk_add_f32 v[4:5], v[4:5], v[12:13]
	ds_bpermute_b32 v13, v7, v5
	ds_bpermute_b32 v12, v7, v4
	s_waitcnt lgkmcnt(0)
	v_pk_add_f32 v[4:5], v[4:5], v[12:13]
	ds_bpermute_b32 v13, v8, v5
	;; [unrolled: 4-line block ×3, first 2 shown]
	ds_bpermute_b32 v12, v9, v4
	s_waitcnt lgkmcnt(0)
	v_pk_add_f32 v[4:5], v[4:5], v[12:13]
	s_and_saveexec_b64 s[10:11], s[2:3]
	s_cbranch_execz .LBB56_13
; %bb.17:                               ;   in Loop: Header=BB56_14 Depth=1
	s_and_b64 vcc, exec, s[4:5]
	s_cbranch_vccnz .LBB56_19
; %bb.18:                               ;   in Loop: Header=BB56_14 Depth=1
	global_store_dword v[2:3], v5, off
.LBB56_19:                              ;   in Loop: Header=BB56_14 Depth=1
	s_and_b64 vcc, exec, s[6:7]
	s_cbranch_vccnz .LBB56_13
; %bb.20:                               ;   in Loop: Header=BB56_14 Depth=1
	global_store_dword v[0:1], v4, off
	s_branch .LBB56_13
.LBB56_21:
	s_endpgm
	.section	.rodata,"a",@progbits
	.p2align	6, 0x0
	.amdhsa_kernel _ZN2at6native12_GLOBAL__N_135GammaBetaBackwardCUDAKernelTemplateIffLj64ELj16ELj128ELb0ELb1ELb0EEEvllPKT_S5_PKT0_S8_PS3_S9_
		.amdhsa_group_segment_fixed_size 0
		.amdhsa_private_segment_fixed_size 0
		.amdhsa_kernarg_size 320
		.amdhsa_user_sgpr_count 2
		.amdhsa_user_sgpr_dispatch_ptr 0
		.amdhsa_user_sgpr_queue_ptr 0
		.amdhsa_user_sgpr_kernarg_segment_ptr 1
		.amdhsa_user_sgpr_dispatch_id 0
		.amdhsa_user_sgpr_kernarg_preload_length 0
		.amdhsa_user_sgpr_kernarg_preload_offset 0
		.amdhsa_user_sgpr_private_segment_size 0
		.amdhsa_uses_dynamic_stack 0
		.amdhsa_enable_private_segment 0
		.amdhsa_system_sgpr_workgroup_id_x 1
		.amdhsa_system_sgpr_workgroup_id_y 1
		.amdhsa_system_sgpr_workgroup_id_z 0
		.amdhsa_system_sgpr_workgroup_info 0
		.amdhsa_system_vgpr_workitem_id 1
		.amdhsa_next_free_vgpr 54
		.amdhsa_next_free_sgpr 30
		.amdhsa_accum_offset 56
		.amdhsa_reserve_vcc 1
		.amdhsa_float_round_mode_32 0
		.amdhsa_float_round_mode_16_64 0
		.amdhsa_float_denorm_mode_32 3
		.amdhsa_float_denorm_mode_16_64 3
		.amdhsa_dx10_clamp 1
		.amdhsa_ieee_mode 1
		.amdhsa_fp16_overflow 0
		.amdhsa_tg_split 0
		.amdhsa_exception_fp_ieee_invalid_op 0
		.amdhsa_exception_fp_denorm_src 0
		.amdhsa_exception_fp_ieee_div_zero 0
		.amdhsa_exception_fp_ieee_overflow 0
		.amdhsa_exception_fp_ieee_underflow 0
		.amdhsa_exception_fp_ieee_inexact 0
		.amdhsa_exception_int_div_zero 0
	.end_amdhsa_kernel
	.section	.text._ZN2at6native12_GLOBAL__N_135GammaBetaBackwardCUDAKernelTemplateIffLj64ELj16ELj128ELb0ELb1ELb0EEEvllPKT_S5_PKT0_S8_PS3_S9_,"axG",@progbits,_ZN2at6native12_GLOBAL__N_135GammaBetaBackwardCUDAKernelTemplateIffLj64ELj16ELj128ELb0ELb1ELb0EEEvllPKT_S5_PKT0_S8_PS3_S9_,comdat
.Lfunc_end56:
	.size	_ZN2at6native12_GLOBAL__N_135GammaBetaBackwardCUDAKernelTemplateIffLj64ELj16ELj128ELb0ELb1ELb0EEEvllPKT_S5_PKT0_S8_PS3_S9_, .Lfunc_end56-_ZN2at6native12_GLOBAL__N_135GammaBetaBackwardCUDAKernelTemplateIffLj64ELj16ELj128ELb0ELb1ELb0EEEvllPKT_S5_PKT0_S8_PS3_S9_
                                        ; -- End function
	.section	.AMDGPU.csdata,"",@progbits
; Kernel info:
; codeLenInByte = 1648
; NumSgprs: 36
; NumVgprs: 54
; NumAgprs: 0
; TotalNumVgprs: 54
; ScratchSize: 0
; MemoryBound: 0
; FloatMode: 240
; IeeeMode: 1
; LDSByteSize: 0 bytes/workgroup (compile time only)
; SGPRBlocks: 4
; VGPRBlocks: 6
; NumSGPRsForWavesPerEU: 36
; NumVGPRsForWavesPerEU: 54
; AccumOffset: 56
; Occupancy: 8
; WaveLimiterHint : 0
; COMPUTE_PGM_RSRC2:SCRATCH_EN: 0
; COMPUTE_PGM_RSRC2:USER_SGPR: 2
; COMPUTE_PGM_RSRC2:TRAP_HANDLER: 0
; COMPUTE_PGM_RSRC2:TGID_X_EN: 1
; COMPUTE_PGM_RSRC2:TGID_Y_EN: 1
; COMPUTE_PGM_RSRC2:TGID_Z_EN: 0
; COMPUTE_PGM_RSRC2:TIDIG_COMP_CNT: 1
; COMPUTE_PGM_RSRC3_GFX90A:ACCUM_OFFSET: 13
; COMPUTE_PGM_RSRC3_GFX90A:TG_SPLIT: 0
	.section	.text._ZN2at6native12_GLOBAL__N_135GammaBetaBackwardCUDAKernelTemplateIffLj64ELj16ELj128ELb0ELb0ELb0EEEvllPKT_S5_PKT0_S8_PS3_S9_,"axG",@progbits,_ZN2at6native12_GLOBAL__N_135GammaBetaBackwardCUDAKernelTemplateIffLj64ELj16ELj128ELb0ELb0ELb0EEEvllPKT_S5_PKT0_S8_PS3_S9_,comdat
	.globl	_ZN2at6native12_GLOBAL__N_135GammaBetaBackwardCUDAKernelTemplateIffLj64ELj16ELj128ELb0ELb0ELb0EEEvllPKT_S5_PKT0_S8_PS3_S9_ ; -- Begin function _ZN2at6native12_GLOBAL__N_135GammaBetaBackwardCUDAKernelTemplateIffLj64ELj16ELj128ELb0ELb0ELb0EEEvllPKT_S5_PKT0_S8_PS3_S9_
	.p2align	8
	.type	_ZN2at6native12_GLOBAL__N_135GammaBetaBackwardCUDAKernelTemplateIffLj64ELj16ELj128ELb0ELb0ELb0EEEvllPKT_S5_PKT0_S8_PS3_S9_,@function
_ZN2at6native12_GLOBAL__N_135GammaBetaBackwardCUDAKernelTemplateIffLj64ELj16ELj128ELb0ELb0ELb0EEEvllPKT_S5_PKT0_S8_PS3_S9_: ; @_ZN2at6native12_GLOBAL__N_135GammaBetaBackwardCUDAKernelTemplateIffLj64ELj16ELj128ELb0ELb0ELb0EEEvllPKT_S5_PKT0_S8_PS3_S9_
; %bb.0:
	s_load_dwordx8 s[8:15], s[0:1], 0x0
	s_load_dwordx4 s[24:27], s[0:1], 0x20
	s_lshl_b32 s33, s2, 6
	s_mov_b32 s16, 0
	s_or_b32 s4, s33, 63
	s_mov_b32 s5, s16
	s_waitcnt lgkmcnt(0)
	v_mov_b64_e32 v[2:3], s[10:11]
	v_cmp_ge_i64_e32 vcc, s[4:5], v[2:3]
	s_lshl_b32 s28, s3, 7
	s_mov_b32 s29, s16
	v_mov_b64_e32 v[2:3], s[8:9]
	v_cmp_lt_i64_e64 s[4:5], s[28:29], v[2:3]
	s_nop 1
	v_cndmask_b32_e64 v1, 0, 1, s[4:5]
	v_cmp_ne_u32_e64 s[4:5], 1, v1
	s_cbranch_vccz .LBB57_48
; %bb.1:
	v_mov_b32_e32 v27, 0
	s_and_b64 vcc, exec, s[4:5]
	v_mov_b32_e32 v26, v27
	s_cbranch_vccnz .LBB57_49
; %bb.2:
	v_mov_b32_e32 v3, 0
	v_bfe_u32 v66, v0, 10, 10
	s_load_dword s3, s[0:1], 0x44
	v_lshlrev_b32_e32 v28, 3, v66
	v_mov_b32_e32 v29, v3
	v_and_b32_e32 v1, 0x3ff, v0
	v_lshl_add_u64 v[4:5], v[28:29], 0, s[28:29]
	v_add_u32_e32 v2, s33, v1
	v_lshl_add_u64 v[6:7], v[4:5], 0, 7
	s_add_u32 s30, s0, 64
	v_cmp_gt_i64_e64 s[6:7], s[10:11], v[2:3]
	v_lshlrev_b64 v[30:31], 2, v[2:3]
	v_mul_lo_u32 v2, s11, v6
	v_mul_lo_u32 v8, s10, v7
	v_mad_u64_u32 v[6:7], s[18:19], s10, v6, 0
	s_addc_u32 s31, s1, 0
	s_waitcnt lgkmcnt(0)
	s_lshl_b32 s3, s3, 7
	v_add3_u32 v7, v7, v8, v2
	v_lshlrev_b64 v[6:7], 2, v[6:7]
	s_mul_i32 s17, s11, s3
	s_mul_hi_u32 s18, s10, s3
	v_lshl_add_u64 v[32:33], s[12:13], 0, v[6:7]
	s_add_i32 s19, s18, s17
	s_mul_i32 s18, s10, s3
	v_lshl_add_u64 v[34:35], s[14:15], 0, v[6:7]
	v_lshl_add_u64 v[6:7], v[4:5], 0, 6
	s_lshl_b64 s[34:35], s[18:19], 2
	v_mul_lo_u32 v2, s11, v6
	v_mul_lo_u32 v8, s10, v7
	v_mad_u64_u32 v[6:7], s[18:19], s10, v6, 0
	v_add3_u32 v7, v7, v8, v2
	v_lshlrev_b64 v[6:7], 2, v[6:7]
	v_lshl_add_u64 v[36:37], s[12:13], 0, v[6:7]
	v_lshl_add_u64 v[38:39], s[14:15], 0, v[6:7]
	v_lshl_add_u64 v[6:7], v[4:5], 0, 5
	v_mul_lo_u32 v2, s11, v6
	v_mul_lo_u32 v8, s10, v7
	v_mad_u64_u32 v[6:7], s[18:19], s10, v6, 0
	v_add3_u32 v7, v7, v8, v2
	v_lshlrev_b64 v[6:7], 2, v[6:7]
	v_lshl_add_u64 v[40:41], s[12:13], 0, v[6:7]
	v_lshl_add_u64 v[42:43], s[14:15], 0, v[6:7]
	v_lshl_add_u64 v[6:7], v[4:5], 0, 4
	v_mul_lo_u32 v2, s11, v6
	v_mul_lo_u32 v8, s10, v7
	v_mad_u64_u32 v[6:7], s[18:19], s10, v6, 0
	v_add3_u32 v7, v7, v8, v2
	v_lshlrev_b64 v[6:7], 2, v[6:7]
	v_lshl_add_u64 v[44:45], s[12:13], 0, v[6:7]
	v_lshl_add_u64 v[46:47], s[14:15], 0, v[6:7]
	v_lshl_add_u64 v[6:7], v[4:5], 0, 3
	v_mul_lo_u32 v2, s11, v6
	v_mul_lo_u32 v8, s10, v7
	v_mad_u64_u32 v[6:7], s[18:19], s10, v6, 0
	v_add3_u32 v7, v7, v8, v2
	v_lshlrev_b64 v[6:7], 2, v[6:7]
	v_lshl_add_u64 v[48:49], s[12:13], 0, v[6:7]
	v_lshl_add_u64 v[50:51], s[14:15], 0, v[6:7]
	v_lshl_add_u64 v[6:7], v[4:5], 0, 2
	v_mul_lo_u32 v2, s11, v6
	v_mul_lo_u32 v8, s10, v7
	v_mad_u64_u32 v[6:7], s[18:19], s10, v6, 0
	v_add3_u32 v7, v7, v8, v2
	v_lshlrev_b64 v[6:7], 2, v[6:7]
	v_lshl_add_u64 v[52:53], s[12:13], 0, v[6:7]
	v_lshl_add_u64 v[54:55], s[14:15], 0, v[6:7]
	v_mov_b64_e32 v[6:7], s[10:11]
	v_mad_u64_u32 v[6:7], s[18:19], s10, v4, v[6:7]
	v_mul_lo_u32 v2, s10, v5
	v_mul_lo_u32 v8, s11, v4
	v_mad_u64_u32 v[4:5], s[18:19], s10, v4, 0
	v_add3_u32 v7, v8, v7, v2
	v_add3_u32 v5, v5, v2, v8
	v_mbcnt_lo_u32_b32 v2, -1, 0
	v_mbcnt_hi_u32_b32 v2, -1, v2
	v_lshlrev_b64 v[6:7], 2, v[6:7]
	s_add_u32 s36, s28, 0x7f
	v_lshlrev_b64 v[4:5], 2, v[4:5]
	s_movk_i32 s38, 0xff81
	s_movk_i32 s40, 0xff82
	;; [unrolled: 1-line block ×8, first 2 shown]
	v_lshlrev_b32_e32 v2, 2, v2
	v_lshl_add_u64 v[56:57], s[12:13], 0, v[6:7]
	v_lshl_add_u64 v[58:59], s[14:15], 0, v[6:7]
	s_addc_u32 s37, 0, 0
	v_lshl_add_u64 v[60:61], s[12:13], 0, v[4:5]
	v_lshl_add_u64 v[62:63], s[14:15], 0, v[4:5]
	s_mov_b32 s39, -1
	s_mov_b32 s41, -1
	;; [unrolled: 1-line block ×8, first 2 shown]
	v_and_b32_e32 v67, 0x100, v2
	s_mov_b64 s[54:55], s[28:29]
	v_mov_b32_e32 v26, v3
	v_mov_b32_e32 v27, v3
	s_branch .LBB57_5
.LBB57_3:                               ;   in Loop: Header=BB57_5 Depth=1
	s_or_b64 exec, exec, s[18:19]
	s_waitcnt vmcnt(1)
	ds_bpermute_b32 v2, v67, v69
	ds_bpermute_b32 v4, v67, v69 offset:4
	s_waitcnt vmcnt(0)
	ds_bpermute_b32 v5, v67, v68
	ds_bpermute_b32 v6, v67, v68 offset:4
	ds_bpermute_b32 v9, v67, v68 offset:12
	s_waitcnt lgkmcnt(4)
	v_sub_f32_e32 v2, v10, v2
	v_mul_f32_e32 v2, v18, v2
	s_waitcnt lgkmcnt(3)
	v_sub_f32_e32 v7, v11, v4
	s_waitcnt lgkmcnt(2)
	v_mul_f32_e32 v4, v2, v5
	ds_bpermute_b32 v2, v67, v69 offset:8
	v_mul_f32_e32 v5, v19, v7
	s_waitcnt lgkmcnt(2)
	v_mul_f32_e32 v6, v5, v6
	ds_bpermute_b32 v5, v67, v68 offset:8
	ds_bpermute_b32 v7, v67, v69 offset:12
	s_waitcnt lgkmcnt(2)
	v_sub_f32_e32 v2, v12, v2
	v_mul_f32_e32 v2, v20, v2
	v_mov_b32_e32 v11, v21
	s_waitcnt lgkmcnt(1)
	v_mul_f32_e32 v8, v2, v5
	s_waitcnt lgkmcnt(0)
	v_sub_f32_e32 v2, v13, v7
	ds_bpermute_b32 v5, v67, v69 offset:16
	v_mul_f32_e32 v2, v21, v2
	v_mul_f32_e32 v10, v2, v9
	ds_bpermute_b32 v2, v67, v68 offset:16
	ds_bpermute_b32 v7, v67, v69 offset:20
	;; [unrolled: 1-line block ×3, first 2 shown]
	s_waitcnt lgkmcnt(3)
	v_sub_f32_e32 v5, v14, v5
	v_mul_f32_e32 v5, v22, v5
	s_waitcnt lgkmcnt(2)
	v_mul_f32_e32 v12, v5, v2
	s_waitcnt lgkmcnt(1)
	v_sub_f32_e32 v2, v15, v7
	v_mul_f32_e32 v2, v23, v2
	s_waitcnt lgkmcnt(0)
	v_mul_f32_e32 v14, v2, v9
	v_mov_b32_e32 v5, v18
	ds_bpermute_b32 v2, v67, v69 offset:24
	v_pk_add_f32 v[4:5], v[26:27], v[4:5]
	v_mov_b32_e32 v7, v19
	v_pk_add_f32 v[4:5], v[6:7], v[4:5]
	ds_bpermute_b32 v7, v67, v68 offset:24
	v_mov_b32_e32 v9, v20
	v_pk_add_f32 v[4:5], v[8:9], v[4:5]
	v_mov_b32_e32 v13, v22
	v_pk_add_f32 v[4:5], v[10:11], v[4:5]
	s_waitcnt lgkmcnt(1)
	v_sub_f32_e32 v8, v16, v2
	v_pk_add_f32 v[4:5], v[12:13], v[4:5]
	v_mov_b32_e32 v15, v23
	v_mul_f32_e32 v8, v24, v8
	v_pk_add_f32 v[4:5], v[14:15], v[4:5]
	s_waitcnt lgkmcnt(0)
	v_mul_f32_e32 v8, v8, v7
	v_mov_b32_e32 v9, v24
	ds_bpermute_b32 v2, v67, v68 offset:28
	ds_bpermute_b32 v6, v67, v69 offset:28
	v_pk_add_f32 v[4:5], v[8:9], v[4:5]
.LBB57_4:                               ;   in Loop: Header=BB57_5 Depth=1
	s_waitcnt lgkmcnt(0)
	v_sub_f32_e32 v6, v17, v6
	v_mul_f32_e32 v6, v25, v6
	v_mul_f32_e32 v24, v6, v2
	s_add_u32 s54, s54, s3
	v_pk_add_f32 v[26:27], v[4:5], v[24:25]
	s_addc_u32 s55, s55, 0
	v_mov_b64_e32 v[4:5], s[8:9]
	s_add_u32 s36, s36, s3
	v_cmp_lt_i64_e32 vcc, s[54:55], v[4:5]
	v_lshl_add_u64 v[32:33], v[32:33], 0, s[34:35]
	v_lshl_add_u64 v[34:35], v[34:35], 0, s[34:35]
	;; [unrolled: 1-line block ×14, first 2 shown]
	s_addc_u32 s37, s37, 0
	v_lshl_add_u64 v[60:61], v[60:61], 0, s[34:35]
	v_lshl_add_u64 v[62:63], v[62:63], 0, s[34:35]
	s_cbranch_vccz .LBB57_49
.LBB57_5:                               ; =>This Inner Loop Header: Depth=1
	v_mov_b64_e32 v[4:5], s[8:9]
	v_cmp_ge_i64_e32 vcc, s[36:37], v[4:5]
	v_lshl_add_u64 v[64:65], v[28:29], 0, s[36:37]
	s_cbranch_vccz .LBB57_27
; %bb.6:                                ;   in Loop: Header=BB57_5 Depth=1
	s_load_dword s17, s[30:31], 0xc
	v_mov_b32_e32 v68, 0
	v_mov_b32_e32 v69, 0
	s_waitcnt lgkmcnt(0)
	s_and_b32 s17, s17, 0xffff
	v_mad_u32_u24 v2, v66, s17, v1
	v_and_b32_e32 v2, 63, v2
	v_cmp_gt_u32_e32 vcc, 8, v2
	s_and_saveexec_b64 s[18:19], vcc
	s_cbranch_execz .LBB57_10
; %bb.7:                                ;   in Loop: Header=BB57_5 Depth=1
	v_lshl_add_u64 v[4:5], v[64:65], 0, v[2:3]
	v_lshl_add_u64 v[4:5], v[4:5], 0, s[38:39]
	v_cmp_gt_i64_e32 vcc, s[8:9], v[4:5]
	v_mov_b32_e32 v69, 0
	v_mov_b32_e32 v68, 0
	s_and_saveexec_b64 s[20:21], vcc
	s_cbranch_execz .LBB57_9
; %bb.8:                                ;   in Loop: Header=BB57_5 Depth=1
	v_lshlrev_b64 v[4:5], 2, v[4:5]
	v_lshl_add_u64 v[6:7], s[26:27], 0, v[4:5]
	v_lshl_add_u64 v[4:5], s[24:25], 0, v[4:5]
	global_load_dword v69, v[4:5], off
	global_load_dword v68, v[6:7], off
.LBB57_9:                               ;   in Loop: Header=BB57_5 Depth=1
	s_or_b64 exec, exec, s[20:21]
.LBB57_10:                              ;   in Loop: Header=BB57_5 Depth=1
	s_or_b64 exec, exec, s[18:19]
	s_mov_b32 s17, s16
	s_mov_b32 s18, s16
	;; [unrolled: 1-line block ×7, first 2 shown]
	v_mov_b64_e32 v[10:11], s[16:17]
	v_lshl_add_u64 v[4:5], v[64:65], 0, s[38:39]
	v_mov_b64_e32 v[16:17], s[22:23]
	v_cmp_gt_i64_e32 vcc, s[8:9], v[4:5]
	v_mov_b64_e32 v[12:13], s[18:19]
	v_mov_b64_e32 v[14:15], s[20:21]
	;; [unrolled: 1-line block ×3, first 2 shown]
	s_and_b64 s[56:57], s[6:7], vcc
	v_mov_b64_e32 v[22:23], v[14:15]
	v_mov_b64_e32 v[20:21], v[12:13]
	;; [unrolled: 1-line block ×3, first 2 shown]
	s_and_saveexec_b64 s[18:19], s[56:57]
	s_cbranch_execz .LBB57_12
; %bb.11:                               ;   in Loop: Header=BB57_5 Depth=1
	v_lshl_add_u64 v[4:5], v[60:61], 0, v[30:31]
	global_load_dword v2, v[4:5], off
	v_lshl_add_u64 v[4:5], v[62:63], 0, v[30:31]
	global_load_dword v10, v[4:5], off
	v_mov_b32_e32 v8, v3
	v_mov_b32_e32 v9, v3
	v_mov_b32_e32 v4, v3
	v_mov_b32_e32 v5, v3
	v_mov_b32_e32 v6, v3
	v_mov_b32_e32 v7, v3
	s_waitcnt vmcnt(1)
	v_mov_b64_e32 v[24:25], v[8:9]
	v_mov_b32_e32 v11, v3
	v_mov_b32_e32 v12, v3
	v_mov_b32_e32 v13, v3
	v_mov_b32_e32 v14, v3
	v_mov_b32_e32 v15, v3
	v_mov_b32_e32 v16, v3
	v_mov_b32_e32 v17, v3
	v_mov_b64_e32 v[22:23], v[6:7]
	v_mov_b64_e32 v[20:21], v[4:5]
	;; [unrolled: 1-line block ×3, first 2 shown]
.LBB57_12:                              ;   in Loop: Header=BB57_5 Depth=1
	s_or_b64 exec, exec, s[18:19]
	v_lshl_add_u64 v[4:5], v[64:65], 0, s[40:41]
	v_cmp_gt_i64_e32 vcc, s[8:9], v[4:5]
	s_and_b64 s[20:21], s[6:7], vcc
	s_and_saveexec_b64 s[18:19], s[20:21]
	s_cbranch_execz .LBB57_14
; %bb.13:                               ;   in Loop: Header=BB57_5 Depth=1
	v_lshl_add_u64 v[4:5], v[56:57], 0, v[30:31]
	global_load_dword v19, v[4:5], off
	v_lshl_add_u64 v[4:5], v[58:59], 0, v[30:31]
	global_load_dword v11, v[4:5], off
.LBB57_14:                              ;   in Loop: Header=BB57_5 Depth=1
	s_or_b64 exec, exec, s[18:19]
	v_lshl_add_u64 v[4:5], v[64:65], 0, s[42:43]
	v_cmp_gt_i64_e32 vcc, s[8:9], v[4:5]
	s_and_b64 s[20:21], s[6:7], vcc
	s_and_saveexec_b64 s[18:19], s[20:21]
	s_cbranch_execz .LBB57_16
; %bb.15:                               ;   in Loop: Header=BB57_5 Depth=1
	v_lshl_add_u64 v[4:5], v[52:53], 0, v[30:31]
	global_load_dword v20, v[4:5], off
	v_lshl_add_u64 v[4:5], v[54:55], 0, v[30:31]
	global_load_dword v12, v[4:5], off
.LBB57_16:                              ;   in Loop: Header=BB57_5 Depth=1
	;; [unrolled: 12-line block ×7, first 2 shown]
	s_or_b64 exec, exec, s[18:19]
	s_waitcnt vmcnt(1)
	ds_bpermute_b32 v2, v67, v69
	ds_bpermute_b32 v4, v67, v69 offset:4
	s_waitcnt vmcnt(0)
	ds_bpermute_b32 v5, v67, v68
	ds_bpermute_b32 v6, v67, v68 offset:4
	ds_bpermute_b32 v9, v67, v68 offset:12
	s_waitcnt lgkmcnt(4)
	v_sub_f32_e32 v2, v10, v2
	v_mul_f32_e32 v2, v18, v2
	s_waitcnt lgkmcnt(3)
	v_sub_f32_e32 v7, v11, v4
	s_waitcnt lgkmcnt(2)
	v_mul_f32_e32 v4, v2, v5
	ds_bpermute_b32 v2, v67, v69 offset:8
	v_mul_f32_e32 v5, v19, v7
	s_waitcnt lgkmcnt(2)
	v_mul_f32_e32 v6, v5, v6
	ds_bpermute_b32 v5, v67, v68 offset:8
	ds_bpermute_b32 v7, v67, v69 offset:12
	s_waitcnt lgkmcnt(2)
	v_sub_f32_e32 v2, v12, v2
	v_mul_f32_e32 v2, v20, v2
	v_mov_b32_e32 v11, v21
	s_waitcnt lgkmcnt(1)
	v_mul_f32_e32 v8, v2, v5
	s_waitcnt lgkmcnt(0)
	v_sub_f32_e32 v2, v13, v7
	ds_bpermute_b32 v5, v67, v69 offset:16
	v_mul_f32_e32 v2, v21, v2
	v_mul_f32_e32 v10, v2, v9
	ds_bpermute_b32 v2, v67, v68 offset:16
	ds_bpermute_b32 v7, v67, v69 offset:20
	;; [unrolled: 1-line block ×3, first 2 shown]
	s_waitcnt lgkmcnt(3)
	v_sub_f32_e32 v5, v14, v5
	v_mul_f32_e32 v5, v22, v5
	s_waitcnt lgkmcnt(2)
	v_mul_f32_e32 v12, v5, v2
	s_waitcnt lgkmcnt(1)
	v_sub_f32_e32 v2, v15, v7
	v_mul_f32_e32 v2, v23, v2
	s_waitcnt lgkmcnt(0)
	v_mul_f32_e32 v14, v2, v9
	ds_bpermute_b32 v2, v67, v69 offset:24
	v_mov_b32_e32 v5, v18
	v_pk_add_f32 v[4:5], v[26:27], v[4:5]
	v_mov_b32_e32 v7, v19
	v_pk_add_f32 v[4:5], v[6:7], v[4:5]
	ds_bpermute_b32 v7, v67, v68 offset:24
	v_mov_b32_e32 v9, v20
	s_waitcnt lgkmcnt(1)
	v_sub_f32_e32 v2, v16, v2
	v_pk_add_f32 v[4:5], v[8:9], v[4:5]
	v_mul_f32_e32 v8, v24, v2
	ds_bpermute_b32 v2, v67, v68 offset:28
	ds_bpermute_b32 v6, v67, v69 offset:28
	v_pk_add_f32 v[4:5], v[10:11], v[4:5]
	v_mov_b32_e32 v13, v22
	v_pk_add_f32 v[4:5], v[12:13], v[4:5]
	v_mov_b32_e32 v15, v23
	v_pk_add_f32 v[4:5], v[14:15], v[4:5]
	s_waitcnt lgkmcnt(2)
	v_mul_f32_e32 v8, v8, v7
	v_mov_b32_e32 v9, v24
	v_pk_add_f32 v[4:5], v[8:9], v[4:5]
	s_branch .LBB57_4
.LBB57_27:                              ;   in Loop: Header=BB57_5 Depth=1
                                        ; implicit-def: $vgpr4_vgpr5
                                        ; implicit-def: $vgpr2
                                        ; implicit-def: $vgpr10_vgpr11_vgpr12_vgpr13_vgpr14_vgpr15_vgpr16_vgpr17
                                        ; implicit-def: $vgpr18_vgpr19_vgpr20_vgpr21_vgpr22_vgpr23_vgpr24_vgpr25
                                        ; implicit-def: $vgpr6
	s_cbranch_execz .LBB57_4
; %bb.28:                               ;   in Loop: Header=BB57_5 Depth=1
	s_load_dword s17, s[30:31], 0x0
	v_mov_b32_e32 v68, 0
	v_mov_b32_e32 v69, 0
	s_waitcnt lgkmcnt(0)
	s_cmp_lt_u32 s2, s17
	s_cselect_b32 s17, 12, 18
	s_add_u32 s18, s30, s17
	s_addc_u32 s19, s31, 0
	global_load_ushort v2, v3, s[18:19]
	s_waitcnt vmcnt(0)
	v_mad_u32_u24 v2, v66, v2, v1
	v_and_b32_e32 v2, 63, v2
	v_cmp_gt_u32_e32 vcc, 8, v2
	s_and_saveexec_b64 s[18:19], vcc
	s_cbranch_execz .LBB57_32
; %bb.29:                               ;   in Loop: Header=BB57_5 Depth=1
	v_lshl_add_u64 v[4:5], v[64:65], 0, v[2:3]
	v_lshl_add_u64 v[4:5], v[4:5], 0, s[38:39]
	v_cmp_gt_i64_e32 vcc, s[8:9], v[4:5]
	v_mov_b32_e32 v69, 0
	v_mov_b32_e32 v68, 0
	s_and_saveexec_b64 s[20:21], vcc
	s_cbranch_execz .LBB57_31
; %bb.30:                               ;   in Loop: Header=BB57_5 Depth=1
	v_lshlrev_b64 v[4:5], 2, v[4:5]
	v_lshl_add_u64 v[6:7], s[26:27], 0, v[4:5]
	v_lshl_add_u64 v[4:5], s[24:25], 0, v[4:5]
	global_load_dword v69, v[4:5], off
	global_load_dword v68, v[6:7], off
.LBB57_31:                              ;   in Loop: Header=BB57_5 Depth=1
	s_or_b64 exec, exec, s[20:21]
.LBB57_32:                              ;   in Loop: Header=BB57_5 Depth=1
	s_or_b64 exec, exec, s[18:19]
	s_mov_b32 s17, s16
	s_mov_b32 s18, s16
	;; [unrolled: 1-line block ×7, first 2 shown]
	v_mov_b64_e32 v[10:11], s[16:17]
	v_mov_b64_e32 v[16:17], s[22:23]
	;; [unrolled: 1-line block ×8, first 2 shown]
	s_and_saveexec_b64 s[18:19], s[6:7]
	s_cbranch_execnz .LBB57_40
; %bb.33:                               ;   in Loop: Header=BB57_5 Depth=1
	s_or_b64 exec, exec, s[18:19]
	s_and_saveexec_b64 s[18:19], s[6:7]
	s_cbranch_execnz .LBB57_41
.LBB57_34:                              ;   in Loop: Header=BB57_5 Depth=1
	s_or_b64 exec, exec, s[18:19]
	s_and_saveexec_b64 s[18:19], s[6:7]
	s_cbranch_execnz .LBB57_42
.LBB57_35:                              ;   in Loop: Header=BB57_5 Depth=1
	s_or_b64 exec, exec, s[18:19]
	s_and_saveexec_b64 s[18:19], s[6:7]
	s_cbranch_execnz .LBB57_43
.LBB57_36:                              ;   in Loop: Header=BB57_5 Depth=1
	s_or_b64 exec, exec, s[18:19]
	s_and_saveexec_b64 s[18:19], s[6:7]
	s_cbranch_execnz .LBB57_44
.LBB57_37:                              ;   in Loop: Header=BB57_5 Depth=1
	s_or_b64 exec, exec, s[18:19]
	s_and_saveexec_b64 s[18:19], s[6:7]
	s_cbranch_execnz .LBB57_45
.LBB57_38:                              ;   in Loop: Header=BB57_5 Depth=1
	s_or_b64 exec, exec, s[18:19]
	s_and_saveexec_b64 s[18:19], s[6:7]
	s_cbranch_execnz .LBB57_46
.LBB57_39:                              ;   in Loop: Header=BB57_5 Depth=1
	s_or_b64 exec, exec, s[18:19]
	s_and_saveexec_b64 s[18:19], s[6:7]
	s_cbranch_execz .LBB57_3
	s_branch .LBB57_47
.LBB57_40:                              ;   in Loop: Header=BB57_5 Depth=1
	v_lshl_add_u64 v[4:5], v[60:61], 0, v[30:31]
	global_load_dword v2, v[4:5], off
	v_lshl_add_u64 v[4:5], v[62:63], 0, v[30:31]
	global_load_dword v10, v[4:5], off
	v_mov_b32_e32 v8, v3
	v_mov_b32_e32 v9, v3
	;; [unrolled: 1-line block ×6, first 2 shown]
	s_waitcnt vmcnt(1)
	v_mov_b64_e32 v[24:25], v[8:9]
	v_mov_b32_e32 v11, v3
	v_mov_b32_e32 v12, v3
	;; [unrolled: 1-line block ×7, first 2 shown]
	v_mov_b64_e32 v[22:23], v[6:7]
	v_mov_b64_e32 v[20:21], v[4:5]
	;; [unrolled: 1-line block ×3, first 2 shown]
	s_or_b64 exec, exec, s[18:19]
	s_and_saveexec_b64 s[18:19], s[6:7]
	s_cbranch_execz .LBB57_34
.LBB57_41:                              ;   in Loop: Header=BB57_5 Depth=1
	v_lshl_add_u64 v[4:5], v[56:57], 0, v[30:31]
	global_load_dword v19, v[4:5], off
	v_lshl_add_u64 v[4:5], v[58:59], 0, v[30:31]
	global_load_dword v11, v[4:5], off
	s_or_b64 exec, exec, s[18:19]
	s_and_saveexec_b64 s[18:19], s[6:7]
	s_cbranch_execz .LBB57_35
.LBB57_42:                              ;   in Loop: Header=BB57_5 Depth=1
	v_lshl_add_u64 v[4:5], v[52:53], 0, v[30:31]
	global_load_dword v20, v[4:5], off
	v_lshl_add_u64 v[4:5], v[54:55], 0, v[30:31]
	global_load_dword v12, v[4:5], off
	s_or_b64 exec, exec, s[18:19]
	s_and_saveexec_b64 s[18:19], s[6:7]
	s_cbranch_execz .LBB57_36
.LBB57_43:                              ;   in Loop: Header=BB57_5 Depth=1
	v_lshl_add_u64 v[4:5], v[48:49], 0, v[30:31]
	global_load_dword v21, v[4:5], off
	v_lshl_add_u64 v[4:5], v[50:51], 0, v[30:31]
	global_load_dword v13, v[4:5], off
	s_or_b64 exec, exec, s[18:19]
	s_and_saveexec_b64 s[18:19], s[6:7]
	s_cbranch_execz .LBB57_37
.LBB57_44:                              ;   in Loop: Header=BB57_5 Depth=1
	v_lshl_add_u64 v[4:5], v[44:45], 0, v[30:31]
	global_load_dword v22, v[4:5], off
	v_lshl_add_u64 v[4:5], v[46:47], 0, v[30:31]
	global_load_dword v14, v[4:5], off
	s_or_b64 exec, exec, s[18:19]
	s_and_saveexec_b64 s[18:19], s[6:7]
	s_cbranch_execz .LBB57_38
.LBB57_45:                              ;   in Loop: Header=BB57_5 Depth=1
	v_lshl_add_u64 v[4:5], v[40:41], 0, v[30:31]
	global_load_dword v23, v[4:5], off
	v_lshl_add_u64 v[4:5], v[42:43], 0, v[30:31]
	global_load_dword v15, v[4:5], off
	s_or_b64 exec, exec, s[18:19]
	s_and_saveexec_b64 s[18:19], s[6:7]
	s_cbranch_execz .LBB57_39
.LBB57_46:                              ;   in Loop: Header=BB57_5 Depth=1
	v_lshl_add_u64 v[4:5], v[36:37], 0, v[30:31]
	global_load_dword v24, v[4:5], off
	v_lshl_add_u64 v[4:5], v[38:39], 0, v[30:31]
	global_load_dword v16, v[4:5], off
	s_or_b64 exec, exec, s[18:19]
	s_and_saveexec_b64 s[18:19], s[6:7]
	s_cbranch_execz .LBB57_3
.LBB57_47:                              ;   in Loop: Header=BB57_5 Depth=1
	v_lshl_add_u64 v[4:5], v[32:33], 0, v[30:31]
	global_load_dword v25, v[4:5], off
	v_lshl_add_u64 v[4:5], v[34:35], 0, v[30:31]
	global_load_dword v17, v[4:5], off
	s_branch .LBB57_3
.LBB57_48:
                                        ; implicit-def: $vgpr27
	s_branch .LBB57_50
.LBB57_49:
	s_cbranch_execnz .LBB57_81
.LBB57_50:
	v_mov_b32_e32 v27, 0
	s_mov_b32 s16, 0
	s_and_b64 vcc, exec, s[4:5]
	v_mov_b32_e32 v26, v27
	s_cbranch_vccnz .LBB57_81
; %bb.51:
	v_and_b32_e32 v1, 0x3ff, v0
	v_add_u32_e32 v2, s33, v1
	v_mov_b32_e32 v3, 0
	v_bfe_u32 v88, v0, 10, 10
	v_lshlrev_b64 v[22:23], 2, v[2:3]
	v_lshlrev_b32_e32 v2, 5, v88
	v_lshl_add_u64 v[4:5], s[28:29], 2, v[2:3]
	v_lshl_add_u64 v[6:7], v[4:5], 0, 4
	v_mov_b64_e32 v[8:9], s[12:13]
	v_lshl_add_u64 v[10:11], v[4:5], 0, 8
	v_lshl_add_u64 v[12:13], v[4:5], 0, 12
	;; [unrolled: 1-line block ×6, first 2 shown]
	v_mad_u64_u32 v[24:25], s[4:5], s10, v6, v[8:9]
	v_mad_u64_u32 v[28:29], s[4:5], s10, v10, v[8:9]
	;; [unrolled: 1-line block ×7, first 2 shown]
	v_mov_b64_e32 v[8:9], s[14:15]
	v_mul_lo_u32 v15, s10, v15
	v_mul_lo_u32 v48, s11, v14
	v_mad_u64_u32 v[46:47], s[4:5], s10, v14, v[8:9]
	v_add3_u32 v33, v48, v33, v15
	v_mul_lo_u32 v17, s10, v17
	v_mul_lo_u32 v50, s11, v16
	v_add3_u32 v47, v48, v47, v15
	v_mad_u64_u32 v[48:49], s[4:5], s10, v16, v[8:9]
	v_lshlrev_b32_e32 v20, 3, v88
	v_mov_b32_e32 v21, v3
	v_mul_lo_u32 v2, s10, v7
	v_mul_lo_u32 v7, s11, v6
	v_add3_u32 v35, v50, v35, v17
	v_mul_lo_u32 v19, s10, v19
	v_mul_lo_u32 v52, s11, v18
	v_mad_u64_u32 v[40:41], s[4:5], s10, v6, v[8:9]
	v_add3_u32 v49, v50, v49, v17
	v_mad_u64_u32 v[50:51], s[4:5], s10, v18, v[8:9]
	v_add3_u32 v25, v7, v25, v2
	v_add3_u32 v37, v52, v37, v19
	v_mul_lo_u32 v5, s10, v5
	v_mul_lo_u32 v54, s11, v4
	v_add3_u32 v41, v7, v41, v2
	v_lshl_add_u64 v[6:7], v[20:21], 0, s[28:29]
	v_add3_u32 v51, v52, v51, v19
	v_mad_u64_u32 v[52:53], s[4:5], s10, v4, v[8:9]
	v_add3_u32 v39, v54, v39, v5
	v_add3_u32 v53, v54, v53, v5
	v_lshl_add_u64 v[4:5], v[6:7], 0, 7
	v_mad_u64_u32 v[42:43], s[4:5], s10, v10, v[8:9]
	v_mad_u64_u32 v[44:45], s[4:5], s10, v12, v[8:9]
	v_mul_lo_u32 v8, s11, v4
	v_mul_lo_u32 v9, s10, v5
	v_mad_u64_u32 v[4:5], s[4:5], s10, v4, 0
	v_mul_lo_u32 v11, s10, v11
	v_mul_lo_u32 v26, s11, v10
	v_add3_u32 v5, v5, v9, v8
	v_lshl_add_u64 v[8:9], v[6:7], 0, 6
	v_add3_u32 v29, v26, v29, v11
	v_add3_u32 v43, v26, v43, v11
	v_mul_lo_u32 v10, s11, v8
	v_mul_lo_u32 v11, s10, v9
	v_mad_u64_u32 v[8:9], s[4:5], s10, v8, 0
	v_mul_lo_u32 v13, s10, v13
	v_mul_lo_u32 v27, s11, v12
	v_add3_u32 v9, v9, v11, v10
	v_lshl_add_u64 v[10:11], v[6:7], 0, 5
	v_add3_u32 v31, v27, v31, v13
	v_add3_u32 v45, v27, v45, v13
	v_mul_lo_u32 v12, s11, v10
	v_mul_lo_u32 v13, s10, v11
	v_mad_u64_u32 v[10:11], s[4:5], s10, v10, 0
	v_add3_u32 v11, v11, v13, v12
	v_lshl_add_u64 v[12:13], v[6:7], 0, 4
	v_mul_lo_u32 v14, s11, v12
	v_mul_lo_u32 v15, s10, v13
	v_mad_u64_u32 v[12:13], s[4:5], s10, v12, 0
	v_add3_u32 v13, v13, v15, v14
	v_lshl_add_u64 v[14:15], v[6:7], 0, 3
	;; [unrolled: 5-line block ×3, first 2 shown]
	s_load_dword s3, s[0:1], 0x44
	v_lshlrev_b64 v[4:5], 2, v[4:5]
	v_mul_lo_u32 v18, s11, v16
	v_mul_lo_u32 v19, s10, v17
	v_mad_u64_u32 v[16:17], s[4:5], s10, v16, 0
	v_lshl_add_u64 v[58:59], s[12:13], 0, v[4:5]
	v_lshl_add_u64 v[60:61], s[14:15], 0, v[4:5]
	v_lshlrev_b64 v[4:5], 2, v[8:9]
	v_add3_u32 v17, v17, v19, v18
	v_mov_b64_e32 v[18:19], s[10:11]
	v_lshl_add_u64 v[62:63], s[12:13], 0, v[4:5]
	v_lshl_add_u64 v[64:65], s[14:15], 0, v[4:5]
	v_lshlrev_b64 v[4:5], 2, v[10:11]
	v_mul_lo_u32 v2, s11, v6
	v_mad_u64_u32 v[18:19], s[4:5], s10, v6, v[18:19]
	v_mul_lo_u32 v26, s10, v7
	v_mad_u64_u32 v[6:7], s[4:5], s10, v6, 0
	v_lshl_add_u64 v[66:67], s[12:13], 0, v[4:5]
	v_lshl_add_u64 v[68:69], s[14:15], 0, v[4:5]
	v_lshlrev_b64 v[4:5], 2, v[12:13]
	s_add_u32 s4, s0, 64
	v_lshl_add_u64 v[70:71], s[12:13], 0, v[4:5]
	v_lshl_add_u64 v[72:73], s[14:15], 0, v[4:5]
	v_lshlrev_b64 v[4:5], 2, v[14:15]
	v_add3_u32 v7, v7, v26, v2
	v_add3_u32 v19, v2, v19, v26
	s_addc_u32 s5, s1, 0
	s_waitcnt lgkmcnt(0)
	s_lshl_b32 s3, s3, 7
	v_lshl_add_u64 v[74:75], s[12:13], 0, v[4:5]
	v_lshl_add_u64 v[76:77], s[14:15], 0, v[4:5]
	v_lshlrev_b64 v[4:5], 2, v[16:17]
	v_mbcnt_lo_u32_b32 v2, -1, 0
	s_add_u32 s6, s28, 0x7f
	s_mul_i32 s17, s11, s3
	s_mul_hi_u32 s18, s10, s3
	v_lshlrev_b64 v[6:7], 2, v[6:7]
	v_lshl_add_u64 v[78:79], s[12:13], 0, v[4:5]
	v_lshl_add_u64 v[80:81], s[14:15], 0, v[4:5]
	v_lshlrev_b64 v[4:5], 2, v[18:19]
	v_mbcnt_hi_u32_b32 v2, -1, v2
	s_addc_u32 s7, 0, 0
	s_add_i32 s19, s18, s17
	s_mul_i32 s18, s10, s3
	v_lshl_add_u64 v[54:55], s[12:13], 0, v[6:7]
	v_lshl_add_u64 v[56:57], s[14:15], 0, v[6:7]
	;; [unrolled: 1-line block ×4, first 2 shown]
	s_movk_i32 s12, 0xff81
	s_movk_i32 s14, 0xff82
	;; [unrolled: 1-line block ×8, first 2 shown]
	v_lshlrev_b32_e32 v2, 2, v2
	s_lshl_b64 s[30:31], s[18:19], 2
	s_mov_b32 s13, -1
	s_mov_b32 s15, -1
	;; [unrolled: 1-line block ×8, first 2 shown]
	v_and_b32_e32 v89, 0x100, v2
	v_mov_b32_e32 v26, v3
	v_mov_b32_e32 v27, v3
	s_branch .LBB57_55
.LBB57_52:                              ;   in Loop: Header=BB57_55 Depth=1
	s_or_b64 exec, exec, s[20:21]
.LBB57_53:                              ;   in Loop: Header=BB57_55 Depth=1
	s_or_b64 exec, exec, s[18:19]
	v_lshl_add_u64 v[10:11], v[56:57], 0, v[22:23]
	global_load_dword v2, v[10:11], off
	v_lshl_add_u64 v[10:11], v[24:25], 0, v[22:23]
	v_lshl_add_u64 v[4:5], v[54:55], 0, v[22:23]
	global_load_dword v7, v[10:11], off
	v_lshl_add_u64 v[10:11], v[40:41], 0, v[22:23]
	global_load_dword v5, v[4:5], off
	s_waitcnt vmcnt(4)
	ds_bpermute_b32 v90, v89, v6
	global_load_dword v4, v[10:11], off
	v_lshl_add_u64 v[10:11], v[28:29], 0, v[22:23]
	global_load_dword v9, v[10:11], off
	v_lshl_add_u64 v[10:11], v[42:43], 0, v[22:23]
	;; [unrolled: 2-line block ×12, first 2 shown]
	global_load_dword v11, v[10:11], off
	ds_bpermute_b32 v92, v89, v6 offset:4
	s_waitcnt vmcnt(16)
	ds_bpermute_b32 v10, v89, v8
	ds_bpermute_b32 v94, v89, v6 offset:8
	ds_bpermute_b32 v96, v89, v6 offset:12
	;; [unrolled: 1-line block ×13, first 2 shown]
	s_waitcnt vmcnt(15) lgkmcnt(14)
	v_sub_f32_e32 v2, v2, v90
	s_waitcnt vmcnt(13)
	v_mul_f32_e32 v2, v5, v2
	s_waitcnt vmcnt(12)
	v_sub_f32_e32 v4, v4, v92
	s_waitcnt vmcnt(10) lgkmcnt(12)
	v_sub_f32_e32 v8, v12, v94
	v_mul_f32_e32 v8, v9, v8
	s_waitcnt lgkmcnt(5)
	v_mul_f32_e32 v8, v8, v93
	s_waitcnt vmcnt(8)
	v_sub_f32_e32 v12, v14, v96
	v_mul_f32_e32 v12, v13, v12
	s_waitcnt vmcnt(7)
	v_sub_f32_e32 v14, v16, v98
	s_waitcnt lgkmcnt(4)
	v_mul_f32_e32 v12, v12, v95
	s_waitcnt vmcnt(6)
	v_sub_f32_e32 v16, v18, v100
	s_waitcnt vmcnt(5)
	v_sub_f32_e32 v18, v86, v102
	v_mul_f32_e32 v86, v7, v4
	s_waitcnt vmcnt(4)
	v_sub_f32_e32 v6, v87, v6
	v_mul_f32_e32 v4, v2, v10
	v_pk_add_f32 v[4:5], v[26:27], v[4:5]
	s_waitcnt vmcnt(3)
	v_mul_f32_e32 v14, v15, v14
	s_waitcnt vmcnt(2)
	v_mul_f32_e32 v16, v17, v16
	s_waitcnt lgkmcnt(3)
	v_mul_f32_e32 v14, v14, v97
	s_waitcnt vmcnt(1)
	v_mul_f32_e32 v18, v19, v18
	s_waitcnt lgkmcnt(2)
	v_mul_f32_e32 v16, v16, v99
	s_waitcnt vmcnt(0)
	v_mul_f32_e32 v87, v11, v6
	v_mul_f32_e32 v6, v86, v91
	v_pk_add_f32 v[4:5], v[4:5], v[6:7]
	s_waitcnt lgkmcnt(1)
	v_mul_f32_e32 v18, v18, v101
	v_pk_add_f32 v[4:5], v[4:5], v[8:9]
	s_waitcnt lgkmcnt(0)
	v_mul_f32_e32 v10, v87, v103
	v_pk_add_f32 v[4:5], v[4:5], v[12:13]
	s_nop 0
	v_pk_add_f32 v[4:5], v[4:5], v[14:15]
	s_nop 0
	;; [unrolled: 2-line block ×3, first 2 shown]
	v_pk_add_f32 v[4:5], v[4:5], v[18:19]
.LBB57_54:                              ;   in Loop: Header=BB57_55 Depth=1
	s_add_u32 s28, s28, s3
	v_pk_add_f32 v[26:27], v[4:5], v[10:11]
	s_addc_u32 s29, s29, 0
	v_mov_b64_e32 v[4:5], s[8:9]
	s_add_u32 s6, s6, s3
	v_cmp_ge_i64_e32 vcc, s[28:29], v[4:5]
	s_addc_u32 s7, s7, 0
	v_lshl_add_u64 v[24:25], v[24:25], 0, s[30:31]
	v_lshl_add_u64 v[28:29], v[28:29], 0, s[30:31]
	v_lshl_add_u64 v[30:31], v[30:31], 0, s[30:31]
	v_lshl_add_u64 v[32:33], v[32:33], 0, s[30:31]
	v_lshl_add_u64 v[34:35], v[34:35], 0, s[30:31]
	v_lshl_add_u64 v[36:37], v[36:37], 0, s[30:31]
	v_lshl_add_u64 v[38:39], v[38:39], 0, s[30:31]
	v_lshl_add_u64 v[54:55], v[54:55], 0, s[30:31]
	v_lshl_add_u64 v[40:41], v[40:41], 0, s[30:31]
	v_lshl_add_u64 v[42:43], v[42:43], 0, s[30:31]
	v_lshl_add_u64 v[44:45], v[44:45], 0, s[30:31]
	v_lshl_add_u64 v[46:47], v[46:47], 0, s[30:31]
	v_lshl_add_u64 v[48:49], v[48:49], 0, s[30:31]
	v_lshl_add_u64 v[50:51], v[50:51], 0, s[30:31]
	v_lshl_add_u64 v[52:53], v[52:53], 0, s[30:31]
	v_lshl_add_u64 v[56:57], v[56:57], 0, s[30:31]
	v_lshl_add_u64 v[58:59], v[58:59], 0, s[30:31]
	v_lshl_add_u64 v[60:61], v[60:61], 0, s[30:31]
	v_lshl_add_u64 v[62:63], v[62:63], 0, s[30:31]
	v_lshl_add_u64 v[64:65], v[64:65], 0, s[30:31]
	v_lshl_add_u64 v[66:67], v[66:67], 0, s[30:31]
	v_lshl_add_u64 v[68:69], v[68:69], 0, s[30:31]
	v_lshl_add_u64 v[70:71], v[70:71], 0, s[30:31]
	v_lshl_add_u64 v[72:73], v[72:73], 0, s[30:31]
	v_lshl_add_u64 v[74:75], v[74:75], 0, s[30:31]
	v_lshl_add_u64 v[76:77], v[76:77], 0, s[30:31]
	v_lshl_add_u64 v[78:79], v[78:79], 0, s[30:31]
	v_lshl_add_u64 v[80:81], v[80:81], 0, s[30:31]
	v_lshl_add_u64 v[82:83], v[82:83], 0, s[30:31]
	v_lshl_add_u64 v[84:85], v[84:85], 0, s[30:31]
	s_cbranch_vccnz .LBB57_81
.LBB57_55:                              ; =>This Inner Loop Header: Depth=1
	v_mov_b64_e32 v[4:5], s[8:9]
	v_cmp_ge_i64_e32 vcc, s[6:7], v[4:5]
	v_lshl_add_u64 v[86:87], v[20:21], 0, s[6:7]
	s_cbranch_vccz .LBB57_77
; %bb.56:                               ;   in Loop: Header=BB57_55 Depth=1
	s_load_dword s17, s[4:5], 0xc
	v_mov_b32_e32 v90, 0
	v_mov_b32_e32 v91, 0
	s_waitcnt lgkmcnt(0)
	s_and_b32 s17, s17, 0xffff
	v_mad_u32_u24 v2, v88, s17, v1
	v_and_b32_e32 v2, 63, v2
	v_cmp_gt_u32_e32 vcc, 8, v2
	s_and_saveexec_b64 s[18:19], vcc
	s_cbranch_execz .LBB57_60
; %bb.57:                               ;   in Loop: Header=BB57_55 Depth=1
	v_lshl_add_u64 v[4:5], v[86:87], 0, v[2:3]
	v_lshl_add_u64 v[4:5], v[4:5], 0, s[12:13]
	v_cmp_gt_i64_e32 vcc, s[8:9], v[4:5]
	v_mov_b32_e32 v91, 0
	v_mov_b32_e32 v90, 0
	s_and_saveexec_b64 s[20:21], vcc
	s_cbranch_execz .LBB57_59
; %bb.58:                               ;   in Loop: Header=BB57_55 Depth=1
	v_lshlrev_b64 v[4:5], 2, v[4:5]
	v_lshl_add_u64 v[6:7], s[26:27], 0, v[4:5]
	v_lshl_add_u64 v[4:5], s[24:25], 0, v[4:5]
	global_load_dword v91, v[4:5], off
	global_load_dword v90, v[6:7], off
.LBB57_59:                              ;   in Loop: Header=BB57_55 Depth=1
	s_or_b64 exec, exec, s[20:21]
.LBB57_60:                              ;   in Loop: Header=BB57_55 Depth=1
	s_or_b64 exec, exec, s[18:19]
	s_mov_b32 s17, s16
	v_lshl_add_u64 v[4:5], v[86:87], 0, s[12:13]
	s_mov_b32 s18, s16
	s_mov_b32 s19, s16
	;; [unrolled: 1-line block ×6, first 2 shown]
	v_mov_b64_e32 v[12:13], s[16:17]
	v_cmp_gt_i64_e32 vcc, s[8:9], v[4:5]
	v_mov_b64_e32 v[14:15], s[18:19]
	v_mov_b64_e32 v[16:17], s[20:21]
	;; [unrolled: 1-line block ×7, first 2 shown]
	s_and_saveexec_b64 s[18:19], vcc
	s_cbranch_execz .LBB57_62
; %bb.61:                               ;   in Loop: Header=BB57_55 Depth=1
	v_lshl_add_u64 v[4:5], v[54:55], 0, v[22:23]
	global_load_dword v2, v[4:5], off
	v_lshl_add_u64 v[4:5], v[56:57], 0, v[22:23]
	global_load_dword v12, v[4:5], off
	v_mov_b32_e32 v4, v3
	v_mov_b32_e32 v5, v3
	;; [unrolled: 1-line block ×6, first 2 shown]
	s_waitcnt vmcnt(1)
	v_mov_b64_e32 v[10:11], v[8:9]
	v_mov_b32_e32 v13, v3
	v_mov_b32_e32 v14, v3
	;; [unrolled: 1-line block ×7, first 2 shown]
	v_mov_b64_e32 v[8:9], v[6:7]
	v_mov_b64_e32 v[6:7], v[4:5]
	;; [unrolled: 1-line block ×3, first 2 shown]
.LBB57_62:                              ;   in Loop: Header=BB57_55 Depth=1
	s_or_b64 exec, exec, s[18:19]
	v_lshl_add_u64 v[92:93], v[86:87], 0, s[14:15]
	v_cmp_gt_i64_e32 vcc, s[8:9], v[92:93]
	s_and_saveexec_b64 s[18:19], vcc
	s_cbranch_execz .LBB57_64
; %bb.63:                               ;   in Loop: Header=BB57_55 Depth=1
	v_lshl_add_u64 v[92:93], v[82:83], 0, v[22:23]
	global_load_dword v5, v[92:93], off
	v_lshl_add_u64 v[92:93], v[84:85], 0, v[22:23]
	global_load_dword v13, v[92:93], off
.LBB57_64:                              ;   in Loop: Header=BB57_55 Depth=1
	s_or_b64 exec, exec, s[18:19]
	v_lshl_add_u64 v[92:93], v[86:87], 0, s[34:35]
	v_cmp_gt_i64_e32 vcc, s[8:9], v[92:93]
	s_and_saveexec_b64 s[18:19], vcc
	s_cbranch_execz .LBB57_66
; %bb.65:                               ;   in Loop: Header=BB57_55 Depth=1
	v_lshl_add_u64 v[92:93], v[78:79], 0, v[22:23]
	global_load_dword v6, v[92:93], off
	v_lshl_add_u64 v[92:93], v[80:81], 0, v[22:23]
	global_load_dword v14, v[92:93], off
.LBB57_66:                              ;   in Loop: Header=BB57_55 Depth=1
	s_or_b64 exec, exec, s[18:19]
	v_lshl_add_u64 v[92:93], v[86:87], 0, s[36:37]
	v_cmp_gt_i64_e32 vcc, s[8:9], v[92:93]
	s_and_saveexec_b64 s[18:19], vcc
	s_cbranch_execz .LBB57_68
; %bb.67:                               ;   in Loop: Header=BB57_55 Depth=1
	v_lshl_add_u64 v[92:93], v[74:75], 0, v[22:23]
	global_load_dword v7, v[92:93], off
	v_lshl_add_u64 v[92:93], v[76:77], 0, v[22:23]
	global_load_dword v15, v[92:93], off
.LBB57_68:                              ;   in Loop: Header=BB57_55 Depth=1
	s_or_b64 exec, exec, s[18:19]
	v_lshl_add_u64 v[92:93], v[86:87], 0, s[38:39]
	v_cmp_gt_i64_e32 vcc, s[8:9], v[92:93]
	s_and_saveexec_b64 s[18:19], vcc
	s_cbranch_execz .LBB57_70
; %bb.69:                               ;   in Loop: Header=BB57_55 Depth=1
	v_lshl_add_u64 v[92:93], v[70:71], 0, v[22:23]
	global_load_dword v8, v[92:93], off
	v_lshl_add_u64 v[92:93], v[72:73], 0, v[22:23]
	global_load_dword v16, v[92:93], off
.LBB57_70:                              ;   in Loop: Header=BB57_55 Depth=1
	s_or_b64 exec, exec, s[18:19]
	v_lshl_add_u64 v[92:93], v[86:87], 0, s[40:41]
	v_cmp_gt_i64_e32 vcc, s[8:9], v[92:93]
	s_and_saveexec_b64 s[18:19], vcc
	s_cbranch_execz .LBB57_72
; %bb.71:                               ;   in Loop: Header=BB57_55 Depth=1
	v_lshl_add_u64 v[92:93], v[66:67], 0, v[22:23]
	global_load_dword v9, v[92:93], off
	v_lshl_add_u64 v[92:93], v[68:69], 0, v[22:23]
	global_load_dword v17, v[92:93], off
.LBB57_72:                              ;   in Loop: Header=BB57_55 Depth=1
	s_or_b64 exec, exec, s[18:19]
	v_lshl_add_u64 v[92:93], v[86:87], 0, s[42:43]
	v_cmp_gt_i64_e32 vcc, s[8:9], v[92:93]
	s_and_saveexec_b64 s[18:19], vcc
	s_cbranch_execz .LBB57_74
; %bb.73:                               ;   in Loop: Header=BB57_55 Depth=1
	v_lshl_add_u64 v[92:93], v[62:63], 0, v[22:23]
	global_load_dword v10, v[92:93], off
	v_lshl_add_u64 v[92:93], v[64:65], 0, v[22:23]
	global_load_dword v18, v[92:93], off
.LBB57_74:                              ;   in Loop: Header=BB57_55 Depth=1
	s_or_b64 exec, exec, s[18:19]
	v_lshl_add_u64 v[92:93], v[86:87], 0, s[44:45]
	v_cmp_gt_i64_e32 vcc, s[8:9], v[92:93]
	s_and_saveexec_b64 s[18:19], vcc
	s_cbranch_execz .LBB57_76
; %bb.75:                               ;   in Loop: Header=BB57_55 Depth=1
	v_lshl_add_u64 v[92:93], v[58:59], 0, v[22:23]
	global_load_dword v11, v[92:93], off
	v_lshl_add_u64 v[92:93], v[60:61], 0, v[22:23]
	global_load_dword v19, v[92:93], off
.LBB57_76:                              ;   in Loop: Header=BB57_55 Depth=1
	s_or_b64 exec, exec, s[18:19]
	s_waitcnt vmcnt(1)
	ds_bpermute_b32 v2, v89, v91
	ds_bpermute_b32 v92, v89, v91 offset:4
	s_waitcnt vmcnt(0)
	ds_bpermute_b32 v93, v89, v90
	ds_bpermute_b32 v94, v89, v90 offset:4
	v_mov_b32_e32 v95, v7
	s_waitcnt lgkmcnt(3)
	v_sub_f32_e32 v2, v12, v2
	v_mul_f32_e32 v2, v4, v2
	s_waitcnt lgkmcnt(2)
	v_sub_f32_e32 v13, v13, v92
	s_waitcnt lgkmcnt(1)
	v_mul_f32_e32 v12, v2, v93
	ds_bpermute_b32 v2, v89, v91 offset:8
	v_mul_f32_e32 v13, v5, v13
	s_waitcnt lgkmcnt(1)
	v_mul_f32_e32 v92, v13, v94
	ds_bpermute_b32 v13, v89, v90 offset:8
	ds_bpermute_b32 v93, v89, v91 offset:12
	;; [unrolled: 1-line block ×3, first 2 shown]
	s_waitcnt lgkmcnt(3)
	v_sub_f32_e32 v2, v14, v2
	v_mul_f32_e32 v2, v6, v2
	s_waitcnt lgkmcnt(2)
	v_mul_f32_e32 v14, v2, v13
	s_waitcnt lgkmcnt(1)
	v_sub_f32_e32 v2, v15, v93
	ds_bpermute_b32 v13, v89, v91 offset:16
	v_mul_f32_e32 v2, v7, v2
	s_waitcnt lgkmcnt(1)
	v_mul_f32_e32 v94, v2, v94
	ds_bpermute_b32 v2, v89, v90 offset:16
	ds_bpermute_b32 v15, v89, v91 offset:20
	;; [unrolled: 1-line block ×3, first 2 shown]
	s_waitcnt lgkmcnt(3)
	v_sub_f32_e32 v13, v16, v13
	v_mul_f32_e32 v13, v8, v13
	s_waitcnt lgkmcnt(2)
	v_mul_f32_e32 v16, v13, v2
	s_waitcnt lgkmcnt(1)
	v_sub_f32_e32 v2, v17, v15
	v_mul_f32_e32 v2, v9, v2
	s_waitcnt lgkmcnt(0)
	v_mul_f32_e32 v96, v2, v93
	ds_bpermute_b32 v2, v89, v91 offset:24
	v_mov_b32_e32 v15, v6
	ds_bpermute_b32 v6, v89, v90 offset:24
	v_mov_b32_e32 v13, v4
	v_pk_add_f32 v[12:13], v[26:27], v[12:13]
	v_mov_b32_e32 v93, v5
	v_pk_add_f32 v[4:5], v[92:93], v[12:13]
	v_mov_b32_e32 v17, v8
	s_waitcnt lgkmcnt(1)
	v_sub_f32_e32 v2, v18, v2
	ds_bpermute_b32 v8, v89, v91 offset:28
	v_pk_add_f32 v[4:5], v[14:15], v[4:5]
	v_mul_f32_e32 v2, v10, v2
	v_pk_add_f32 v[4:5], v[94:95], v[4:5]
	s_waitcnt lgkmcnt(1)
	v_mul_f32_e32 v6, v2, v6
	ds_bpermute_b32 v2, v89, v90 offset:28
	v_pk_add_f32 v[4:5], v[16:17], v[4:5]
	v_mov_b32_e32 v97, v9
	v_pk_add_f32 v[4:5], v[96:97], v[4:5]
	v_mov_b32_e32 v7, v10
	v_pk_add_f32 v[4:5], v[6:7], v[4:5]
	s_waitcnt lgkmcnt(1)
	v_sub_f32_e32 v6, v19, v8
	v_mul_f32_e32 v6, v11, v6
	s_waitcnt lgkmcnt(0)
	v_mul_f32_e32 v10, v6, v2
	s_branch .LBB57_54
.LBB57_77:                              ;   in Loop: Header=BB57_55 Depth=1
                                        ; implicit-def: $vgpr4_vgpr5
                                        ; implicit-def: $vgpr10_vgpr11
	s_cbranch_execz .LBB57_54
; %bb.78:                               ;   in Loop: Header=BB57_55 Depth=1
	s_load_dword s17, s[4:5], 0x0
	v_mov_b32_e32 v8, 0
	v_mov_b32_e32 v6, 0
	s_waitcnt lgkmcnt(0)
	s_cmp_lt_u32 s2, s17
	s_cselect_b32 s17, 12, 18
	s_add_u32 s18, s4, s17
	s_addc_u32 s19, s5, 0
	global_load_ushort v2, v3, s[18:19]
	s_waitcnt vmcnt(0)
	v_mad_u32_u24 v2, v88, v2, v1
	v_and_b32_e32 v2, 63, v2
	v_cmp_gt_u32_e32 vcc, 8, v2
	s_and_saveexec_b64 s[18:19], vcc
	s_cbranch_execz .LBB57_53
; %bb.79:                               ;   in Loop: Header=BB57_55 Depth=1
	v_lshl_add_u64 v[4:5], v[86:87], 0, v[2:3]
	v_lshl_add_u64 v[4:5], v[4:5], 0, s[12:13]
	v_cmp_gt_i64_e32 vcc, s[8:9], v[4:5]
	v_mov_b32_e32 v6, 0
	v_mov_b32_e32 v8, 0
	s_and_saveexec_b64 s[20:21], vcc
	s_cbranch_execz .LBB57_52
; %bb.80:                               ;   in Loop: Header=BB57_55 Depth=1
	v_lshlrev_b64 v[4:5], 2, v[4:5]
	v_lshl_add_u64 v[8:9], s[26:27], 0, v[4:5]
	v_lshl_add_u64 v[4:5], s[24:25], 0, v[4:5]
	global_load_dword v6, v[4:5], off
	s_nop 0
	global_load_dword v8, v[8:9], off
	s_branch .LBB57_52
.LBB57_81:
	v_bfe_u32 v6, v0, 10, 10
	v_and_b32_e32 v0, 0x3ff, v0
	s_movk_i32 s3, 0x41
	v_mad_u32_u24 v1, v6, s3, v0
	v_lshl_add_u32 v1, v1, 2, 0
	v_lshrrev_b32_e32 v8, 6, v0
	ds_write_b32 v1, v26
	ds_write_b32 v1, v27 offset:4160
	v_add_u32_e32 v1, v8, v6
	s_mov_b32 s3, 0
	v_cmp_gt_u32_e32 vcc, 64, v1
	s_waitcnt lgkmcnt(0)
	s_barrier
	s_and_saveexec_b64 s[4:5], vcc
	s_cbranch_execz .LBB57_91
; %bb.82:
	v_and_b32_e32 v1, 63, v0
	s_load_dwordx4 s[4:7], s[0:1], 0x30
	v_cmp_gt_u32_e64 s[0:1], 16, v1
	v_mul_u32_u24_e32 v14, 0x41, v1
	v_mbcnt_lo_u32_b32 v1, -1, 0
	v_mbcnt_hi_u32_b32 v1, -1, v1
	v_and_b32_e32 v2, 64, v1
	v_add_u32_e32 v2, 64, v2
	s_lshl_b64 s[8:9], s[2:3], 6
	v_cmp_eq_u32_e64 s[2:3], 0, v0
	v_xor_b32_e32 v0, 8, v1
	v_cmp_lt_i32_e32 vcc, v0, v2
	v_mov_b32_e32 v9, 0
	v_mov_b32_e32 v7, v9
	v_cndmask_b32_e32 v0, v1, v0, vcc
	v_lshlrev_b32_e32 v10, 2, v0
	v_xor_b32_e32 v0, 4, v1
	v_cmp_lt_i32_e32 vcc, v0, v2
	s_waitcnt lgkmcnt(0)
	s_cmp_lg_u64 s[4:5], 0
	s_cselect_b64 s[14:15], -1, 0
	v_cndmask_b32_e32 v0, v1, v0, vcc
	v_lshlrev_b32_e32 v11, 2, v0
	v_xor_b32_e32 v0, 2, v1
	v_cmp_lt_i32_e32 vcc, v0, v2
	s_cmp_lg_u64 s[6:7], 0
	s_mov_b64 s[12:13], 0
	v_cndmask_b32_e32 v0, v1, v0, vcc
	v_lshlrev_b32_e32 v12, 2, v0
	v_xor_b32_e32 v0, 1, v1
	v_cmp_lt_i32_e32 vcc, v0, v2
	s_nop 1
	v_cndmask_b32_e32 v0, v1, v0, vcc
	v_lshlrev_b32_e32 v13, 2, v0
	v_lshl_add_u64 v[0:1], v[8:9], 0, v[6:7]
	v_lshl_add_u64 v[2:3], v[0:1], 0, s[8:9]
	v_lshlrev_b64 v[4:5], 2, v[2:3]
	v_add3_u32 v6, v14, v6, v8
	v_lshl_add_u64 v[2:3], s[6:7], 0, v[4:5]
	v_lshl_add_u32 v8, v6, 2, 0
	v_cndmask_b32_e64 v6, 0, 1, s[14:15]
	s_cselect_b64 s[6:7], -1, 0
	v_lshl_add_u64 v[4:5], s[4:5], 0, v[4:5]
	v_cmp_ne_u32_e64 s[4:5], 1, v6
	v_cndmask_b32_e64 v6, 0, 1, s[6:7]
	v_cmp_ne_u32_e64 s[6:7], 1, v6
                                        ; implicit-def: $vgpr6
	s_branch .LBB57_84
.LBB57_83:                              ;   in Loop: Header=BB57_84 Depth=1
	s_or_b64 exec, exec, s[14:15]
	v_lshl_add_u64 v[0:1], v[0:1], 0, 16
	v_add_u32_e32 v9, -16, v0
	v_cmp_lt_u32_e32 vcc, 47, v9
	v_lshl_add_u64 v[2:3], v[2:3], 0, 64
	v_lshl_add_u64 v[4:5], v[4:5], 0, 64
	s_or_b64 s[12:13], vcc, s[12:13]
	v_add_u32_e32 v8, 64, v8
	s_andn2_b64 exec, exec, s[12:13]
	s_cbranch_execz .LBB57_91
.LBB57_84:                              ; =>This Inner Loop Header: Depth=1
	s_and_saveexec_b64 s[14:15], s[0:1]
	s_cbranch_execz .LBB57_86
; %bb.85:                               ;   in Loop: Header=BB57_84 Depth=1
	ds_read_b32 v7, v8
	ds_read_b32 v6, v8 offset:4160
.LBB57_86:                              ;   in Loop: Header=BB57_84 Depth=1
	s_or_b64 exec, exec, s[14:15]
	s_waitcnt lgkmcnt(1)
	ds_bpermute_b32 v15, v10, v7
	s_waitcnt lgkmcnt(1)
	ds_bpermute_b32 v14, v10, v6
	v_lshl_add_u64 v[16:17], s[8:9], 0, v[0:1]
	v_cmp_gt_i64_e32 vcc, s[10:11], v[16:17]
	s_and_b64 s[16:17], s[2:3], vcc
	s_waitcnt lgkmcnt(0)
	v_pk_add_f32 v[6:7], v[6:7], v[14:15]
	ds_bpermute_b32 v15, v11, v7
	ds_bpermute_b32 v14, v11, v6
	s_waitcnt lgkmcnt(0)
	v_pk_add_f32 v[6:7], v[6:7], v[14:15]
	ds_bpermute_b32 v15, v12, v7
	ds_bpermute_b32 v14, v12, v6
	;; [unrolled: 4-line block ×3, first 2 shown]
	s_waitcnt lgkmcnt(0)
	v_pk_add_f32 v[6:7], v[6:7], v[14:15]
	s_and_saveexec_b64 s[14:15], s[16:17]
	s_cbranch_execz .LBB57_83
; %bb.87:                               ;   in Loop: Header=BB57_84 Depth=1
	s_and_b64 vcc, exec, s[4:5]
	s_cbranch_vccnz .LBB57_89
; %bb.88:                               ;   in Loop: Header=BB57_84 Depth=1
	global_store_dword v[4:5], v7, off
.LBB57_89:                              ;   in Loop: Header=BB57_84 Depth=1
	s_and_b64 vcc, exec, s[6:7]
	s_cbranch_vccnz .LBB57_83
; %bb.90:                               ;   in Loop: Header=BB57_84 Depth=1
	global_store_dword v[2:3], v6, off
	s_branch .LBB57_83
.LBB57_91:
	s_endpgm
	.section	.rodata,"a",@progbits
	.p2align	6, 0x0
	.amdhsa_kernel _ZN2at6native12_GLOBAL__N_135GammaBetaBackwardCUDAKernelTemplateIffLj64ELj16ELj128ELb0ELb0ELb0EEEvllPKT_S5_PKT0_S8_PS3_S9_
		.amdhsa_group_segment_fixed_size 0
		.amdhsa_private_segment_fixed_size 0
		.amdhsa_kernarg_size 320
		.amdhsa_user_sgpr_count 2
		.amdhsa_user_sgpr_dispatch_ptr 0
		.amdhsa_user_sgpr_queue_ptr 0
		.amdhsa_user_sgpr_kernarg_segment_ptr 1
		.amdhsa_user_sgpr_dispatch_id 0
		.amdhsa_user_sgpr_kernarg_preload_length 0
		.amdhsa_user_sgpr_kernarg_preload_offset 0
		.amdhsa_user_sgpr_private_segment_size 0
		.amdhsa_uses_dynamic_stack 0
		.amdhsa_enable_private_segment 0
		.amdhsa_system_sgpr_workgroup_id_x 1
		.amdhsa_system_sgpr_workgroup_id_y 1
		.amdhsa_system_sgpr_workgroup_id_z 0
		.amdhsa_system_sgpr_workgroup_info 0
		.amdhsa_system_vgpr_workitem_id 1
		.amdhsa_next_free_vgpr 104
		.amdhsa_next_free_sgpr 58
		.amdhsa_accum_offset 104
		.amdhsa_reserve_vcc 1
		.amdhsa_float_round_mode_32 0
		.amdhsa_float_round_mode_16_64 0
		.amdhsa_float_denorm_mode_32 3
		.amdhsa_float_denorm_mode_16_64 3
		.amdhsa_dx10_clamp 1
		.amdhsa_ieee_mode 1
		.amdhsa_fp16_overflow 0
		.amdhsa_tg_split 0
		.amdhsa_exception_fp_ieee_invalid_op 0
		.amdhsa_exception_fp_denorm_src 0
		.amdhsa_exception_fp_ieee_div_zero 0
		.amdhsa_exception_fp_ieee_overflow 0
		.amdhsa_exception_fp_ieee_underflow 0
		.amdhsa_exception_fp_ieee_inexact 0
		.amdhsa_exception_int_div_zero 0
	.end_amdhsa_kernel
	.section	.text._ZN2at6native12_GLOBAL__N_135GammaBetaBackwardCUDAKernelTemplateIffLj64ELj16ELj128ELb0ELb0ELb0EEEvllPKT_S5_PKT0_S8_PS3_S9_,"axG",@progbits,_ZN2at6native12_GLOBAL__N_135GammaBetaBackwardCUDAKernelTemplateIffLj64ELj16ELj128ELb0ELb0ELb0EEEvllPKT_S5_PKT0_S8_PS3_S9_,comdat
.Lfunc_end57:
	.size	_ZN2at6native12_GLOBAL__N_135GammaBetaBackwardCUDAKernelTemplateIffLj64ELj16ELj128ELb0ELb0ELb0EEEvllPKT_S5_PKT0_S8_PS3_S9_, .Lfunc_end57-_ZN2at6native12_GLOBAL__N_135GammaBetaBackwardCUDAKernelTemplateIffLj64ELj16ELj128ELb0ELb0ELb0EEEvllPKT_S5_PKT0_S8_PS3_S9_
                                        ; -- End function
	.section	.AMDGPU.csdata,"",@progbits
; Kernel info:
; codeLenInByte = 7140
; NumSgprs: 64
; NumVgprs: 104
; NumAgprs: 0
; TotalNumVgprs: 104
; ScratchSize: 0
; MemoryBound: 0
; FloatMode: 240
; IeeeMode: 1
; LDSByteSize: 0 bytes/workgroup (compile time only)
; SGPRBlocks: 7
; VGPRBlocks: 12
; NumSGPRsForWavesPerEU: 64
; NumVGPRsForWavesPerEU: 104
; AccumOffset: 104
; Occupancy: 4
; WaveLimiterHint : 0
; COMPUTE_PGM_RSRC2:SCRATCH_EN: 0
; COMPUTE_PGM_RSRC2:USER_SGPR: 2
; COMPUTE_PGM_RSRC2:TRAP_HANDLER: 0
; COMPUTE_PGM_RSRC2:TGID_X_EN: 1
; COMPUTE_PGM_RSRC2:TGID_Y_EN: 1
; COMPUTE_PGM_RSRC2:TGID_Z_EN: 0
; COMPUTE_PGM_RSRC2:TIDIG_COMP_CNT: 1
; COMPUTE_PGM_RSRC3_GFX90A:ACCUM_OFFSET: 25
; COMPUTE_PGM_RSRC3_GFX90A:TG_SPLIT: 0
	.section	.text._ZN2at6native12_GLOBAL__N_135GammaBetaBackwardCUDAKernelTemplateIffLj64ELj16ELj256ELb0ELb1ELb0EEEvllPKT_S5_PKT0_S8_PS3_S9_,"axG",@progbits,_ZN2at6native12_GLOBAL__N_135GammaBetaBackwardCUDAKernelTemplateIffLj64ELj16ELj256ELb0ELb1ELb0EEEvllPKT_S5_PKT0_S8_PS3_S9_,comdat
	.globl	_ZN2at6native12_GLOBAL__N_135GammaBetaBackwardCUDAKernelTemplateIffLj64ELj16ELj256ELb0ELb1ELb0EEEvllPKT_S5_PKT0_S8_PS3_S9_ ; -- Begin function _ZN2at6native12_GLOBAL__N_135GammaBetaBackwardCUDAKernelTemplateIffLj64ELj16ELj256ELb0ELb1ELb0EEEvllPKT_S5_PKT0_S8_PS3_S9_
	.p2align	8
	.type	_ZN2at6native12_GLOBAL__N_135GammaBetaBackwardCUDAKernelTemplateIffLj64ELj16ELj256ELb0ELb1ELb0EEEvllPKT_S5_PKT0_S8_PS3_S9_,@function
_ZN2at6native12_GLOBAL__N_135GammaBetaBackwardCUDAKernelTemplateIffLj64ELj16ELj256ELb0ELb1ELb0EEEvllPKT_S5_PKT0_S8_PS3_S9_: ; @_ZN2at6native12_GLOBAL__N_135GammaBetaBackwardCUDAKernelTemplateIffLj64ELj16ELj256ELb0ELb1ELb0EEEvllPKT_S5_PKT0_S8_PS3_S9_
; %bb.0:
	s_load_dwordx4 s[16:19], s[0:1], 0x0
	s_lshl_b32 s6, s3, 8
	s_mov_b32 s7, 0
	v_bfe_u32 v22, v0, 10, 10
	s_waitcnt lgkmcnt(0)
	v_mov_b64_e32 v[2:3], s[16:17]
	v_cmp_lt_i64_e32 vcc, s[6:7], v[2:3]
	s_cbranch_vccnz .LBB58_2
; %bb.1:
	s_mov_b64 s[4:5], 0
	v_bfe_u32 v4, v0, 10, 10
	s_branch .LBB58_3
.LBB58_2:
	s_mov_b64 s[4:5], -1
                                        ; implicit-def: $vgpr4
.LBB58_3:
	v_and_b32_e32 v20, 0x3ff, v0
	s_andn2_b64 vcc, exec, s[4:5]
	v_mov_b32_e32 v9, s7
	v_mbcnt_lo_u32_b32 v21, -1, 0
	v_mov_b32_e32 v8, s7
	s_cbranch_vccnz .LBB58_11
; %bb.4:
	s_load_dword s3, s[0:1], 0x4c
	s_load_dword s20, s[0:1], 0x44
	s_load_dwordx8 s[8:15], s[0:1], 0x10
	v_lshlrev_b32_e32 v8, 4, v22
	v_mov_b32_e32 v9, 0
	s_waitcnt lgkmcnt(0)
	s_and_b32 s3, s3, 0xffff
	v_mad_u32_u24 v0, v22, s3, v20
	v_and_b32_e32 v0, 63, v0
	v_mov_b32_e32 v1, v9
	v_lshl_add_u64 v[6:7], v[8:9], 0, s[6:7]
	v_cmp_gt_u32_e64 s[4:5], 16, v0
	v_mbcnt_hi_u32_b32 v2, -1, v21
	s_lshl_b32 s20, s20, 8
	v_lshl_add_u64 v[0:1], v[6:7], 0, v[0:1]
	v_mul_lo_u32 v8, s19, v6
	v_mul_lo_u32 v10, s18, v7
	v_mad_u64_u32 v[6:7], s[24:25], s18, v6, 0
	v_lshl_add_u32 v4, s2, 6, v20
	v_mov_b32_e32 v5, v9
	v_lshlrev_b32_e32 v2, 2, v2
	s_mul_i32 s3, s19, s20
	s_mul_hi_u32 s24, s18, s20
	s_mov_b32 s21, 0
	v_and_b32_e32 v23, 0x100, v2
	v_add3_u32 v7, v7, v10, v8
	v_lshlrev_b64 v[4:5], 2, v[4:5]
	s_add_i32 s25, s24, s3
	s_mul_i32 s24, s18, s20
	v_or_b32_e32 v24, 4, v23
	v_or_b32_e32 v25, 8, v23
	;; [unrolled: 1-line block ×15, first 2 shown]
	v_lshlrev_b64 v[2:3], 2, v[0:1]
	s_lshl_b64 s[22:23], s[20:21], 2
	v_lshl_add_u64 v[4:5], v[6:7], 2, v[4:5]
	s_lshl_b64 s[24:25], s[24:25], 2
	s_lshl_b64 s[18:19], s[18:19], 2
	v_mov_b64_e32 v[6:7], s[16:17]
	v_mov_b32_e32 v8, v9
	s_branch .LBB58_7
.LBB58_5:                               ;   in Loop: Header=BB58_7 Depth=1
	s_or_b64 exec, exec, s[28:29]
.LBB58_6:                               ;   in Loop: Header=BB58_7 Depth=1
	s_or_b64 exec, exec, s[26:27]
	v_lshl_add_u64 v[10:11], s[10:11], 0, v[4:5]
	global_load_dword v14, v[10:11], off
	v_lshl_add_u64 v[12:13], s[8:9], 0, v[4:5]
	global_load_dword v43, v[12:13], off
	;; [unrolled: 2-line block ×4, first 2 shown]
	v_lshl_add_u64 v[10:11], v[10:11], 0, s[18:19]
	v_lshl_add_u64 v[12:13], v[12:13], 0, s[18:19]
	global_load_dword v18, v[10:11], off
	global_load_dword v19, v[12:13], off
	v_lshl_add_u64 v[10:11], v[10:11], 0, s[18:19]
	global_load_dword v41, v[10:11], off
	v_lshl_add_u64 v[12:13], v[12:13], 0, s[18:19]
	;; [unrolled: 2-line block ×5, first 2 shown]
	v_lshl_add_u64 v[12:13], v[12:13], 0, s[18:19]
	global_load_dword v10, v[46:47], off
	global_load_dword v11, v[12:13], off
	v_lshl_add_u64 v[46:47], v[46:47], 0, s[18:19]
	global_load_dword v52, v[46:47], off
	v_lshl_add_u64 v[48:49], v[12:13], 0, s[18:19]
	global_load_dword v13, v[48:49], off
	s_waitcnt vmcnt(15)
	ds_bpermute_b32 v42, v23, v40
	s_waitcnt vmcnt(14)
	ds_bpermute_b32 v12, v23, v39
	v_lshl_add_u64 v[48:49], v[48:49], 0, s[18:19]
	v_lshl_add_u64 v[46:47], v[46:47], 0, s[18:19]
	ds_bpermute_b32 v51, v24, v40
	ds_bpermute_b32 v44, v24, v39
	;; [unrolled: 1-line block ×9, first 2 shown]
	s_add_u32 s6, s6, s20
	s_addc_u32 s7, s7, 0
	v_cmp_lt_i64_e32 vcc, s[6:7], v[6:7]
	v_lshl_add_u64 v[2:3], v[2:3], 0, s[22:23]
	v_lshl_add_u64 v[0:1], v[0:1], 0, s[20:21]
	;; [unrolled: 1-line block ×3, first 2 shown]
	s_and_b64 vcc, exec, vcc
	s_waitcnt vmcnt(13) lgkmcnt(10)
	v_sub_f32_e32 v14, v14, v42
	s_waitcnt vmcnt(12)
	v_mul_f32_e32 v14, v43, v14
	s_waitcnt lgkmcnt(9)
	v_mul_f32_e32 v42, v14, v12
	v_pk_add_f32 v[42:43], v[8:9], v[42:43]
	global_load_dword v9, v[48:49], off
	global_load_dword v8, v[46:47], off
	s_waitcnt vmcnt(13) lgkmcnt(8)
	v_sub_f32_e32 v14, v16, v51
	s_waitcnt vmcnt(12)
	v_mul_f32_e32 v14, v45, v14
	v_lshl_add_u64 v[48:49], v[48:49], 0, s[18:19]
	s_waitcnt lgkmcnt(7)
	v_mul_f32_e32 v44, v14, v44
	v_lshl_add_u64 v[46:47], v[46:47], 0, s[18:19]
	s_waitcnt vmcnt(11) lgkmcnt(6)
	v_sub_f32_e32 v14, v18, v54
	global_load_dword v51, v[48:49], off
	global_load_dword v54, v[46:47], off
	v_lshl_add_u64 v[46:47], v[46:47], 0, s[18:19]
	v_pk_add_f32 v[42:43], v[42:43], v[44:45]
	global_load_dword v44, v[46:47], off
	v_lshl_add_u64 v[48:49], v[48:49], 0, s[18:19]
	s_waitcnt vmcnt(13)
	v_mul_f32_e32 v14, v19, v14
	global_load_dword v45, v[48:49], off
	v_lshl_add_u64 v[46:47], v[46:47], 0, s[18:19]
	s_waitcnt lgkmcnt(5)
	v_mul_f32_e32 v18, v14, v53
	s_waitcnt vmcnt(13) lgkmcnt(4)
	v_sub_f32_e32 v14, v41, v56
	v_lshl_add_u64 v[48:49], v[48:49], 0, s[18:19]
	global_load_dword v56, v[46:47], off
	global_load_dword v53, v[48:49], off
	v_lshl_add_u64 v[46:47], v[46:47], 0, s[18:19]
	ds_bpermute_b32 v12, v27, v39
	v_lshl_add_u64 v[48:49], v[48:49], 0, s[18:19]
	v_pk_add_f32 v[18:19], v[42:43], v[18:19]
	global_load_dword v42, v[46:47], off
	s_waitcnt vmcnt(15)
	v_mul_f32_e32 v14, v15, v14
	global_load_dword v43, v[48:49], off
	s_waitcnt lgkmcnt(4)
	v_mul_f32_e32 v14, v14, v55
	v_lshl_add_u64 v[48:49], v[48:49], 0, s[18:19]
	s_waitcnt vmcnt(15) lgkmcnt(3)
	v_sub_f32_e32 v16, v50, v57
	v_lshl_add_u64 v[46:47], v[46:47], 0, s[18:19]
	v_pk_add_f32 v[14:15], v[18:19], v[14:15]
	global_load_dword v19, v[48:49], off
	global_load_dword v18, v[46:47], off
	s_waitcnt vmcnt(16)
	v_mul_f32_e32 v16, v17, v16
	s_waitcnt lgkmcnt(0)
	v_mul_f32_e32 v16, v16, v12
	ds_bpermute_b32 v12, v29, v40
	v_lshl_add_u64 v[46:47], v[46:47], 0, s[18:19]
	v_pk_add_f32 v[14:15], v[14:15], v[16:17]
	global_load_dword v16, v[46:47], off
	ds_bpermute_b32 v41, v29, v39
	v_lshl_add_u64 v[48:49], v[48:49], 0, s[18:19]
	global_load_dword v17, v[48:49], off
	v_lshl_add_u64 v[46:47], v[46:47], 0, s[18:19]
	s_waitcnt vmcnt(17)
	v_sub_f32_e32 v10, v10, v59
	v_lshl_add_u64 v[48:49], v[48:49], 0, s[18:19]
	s_waitcnt vmcnt(15) lgkmcnt(1)
	v_sub_f32_e32 v12, v52, v12
	global_load_dword v57, v[46:47], off
	v_mul_f32_e32 v10, v11, v10
	s_waitcnt vmcnt(15)
	v_mul_f32_e32 v12, v13, v12
	global_load_dword v55, v[48:49], off
	v_lshl_add_u64 v[46:47], v[46:47], 0, s[18:19]
	v_mul_f32_e32 v10, v10, v58
	s_waitcnt lgkmcnt(0)
	v_mul_f32_e32 v12, v12, v41
	v_lshl_add_u64 v[48:49], v[48:49], 0, s[18:19]
	global_load_dword v58, v[46:47], off
	global_load_dword v41, v[48:49], off
	ds_bpermute_b32 v46, v30, v40
	ds_bpermute_b32 v47, v31, v39
	;; [unrolled: 1-line block ×3, first 2 shown]
	v_pk_add_f32 v[10:11], v[14:15], v[10:11]
	s_waitcnt vmcnt(16) lgkmcnt(2)
	v_sub_f32_e32 v8, v8, v46
	ds_bpermute_b32 v46, v30, v39
	v_mul_f32_e32 v8, v9, v8
	v_pk_add_f32 v[10:11], v[10:11], v[12:13]
	s_waitcnt lgkmcnt(0)
	v_mul_f32_e32 v8, v8, v46
	ds_bpermute_b32 v46, v31, v40
	v_pk_add_f32 v[8:9], v[10:11], v[8:9]
	ds_bpermute_b32 v10, v38, v40
	s_waitcnt vmcnt(13)
	v_sub_f32_e32 v44, v44, v48
	ds_bpermute_b32 v48, v33, v39
	s_waitcnt lgkmcnt(2)
	v_sub_f32_e32 v46, v54, v46
	v_mul_f32_e32 v46, v51, v46
	v_mul_f32_e32 v50, v46, v47
	ds_bpermute_b32 v46, v32, v39
	ds_bpermute_b32 v47, v33, v40
	s_waitcnt vmcnt(12)
	v_mul_f32_e32 v44, v45, v44
	v_pk_add_f32 v[8:9], v[8:9], v[50:51]
	ds_bpermute_b32 v11, v38, v39
	s_waitcnt lgkmcnt(2)
	v_mul_f32_e32 v44, v44, v46
	s_waitcnt vmcnt(11) lgkmcnt(1)
	v_sub_f32_e32 v46, v56, v47
	ds_bpermute_b32 v47, v34, v40
	s_waitcnt vmcnt(10)
	v_mul_f32_e32 v46, v53, v46
	v_mul_f32_e32 v52, v46, v48
	ds_bpermute_b32 v46, v34, v39
	ds_bpermute_b32 v48, v35, v40
	s_waitcnt vmcnt(9) lgkmcnt(2)
	v_sub_f32_e32 v42, v42, v47
	ds_bpermute_b32 v47, v35, v39
	s_waitcnt vmcnt(8)
	v_mul_f32_e32 v42, v43, v42
	s_waitcnt lgkmcnt(2)
	v_mul_f32_e32 v42, v42, v46
	ds_bpermute_b32 v46, v36, v40
	s_waitcnt vmcnt(6) lgkmcnt(2)
	v_sub_f32_e32 v18, v18, v48
	v_mul_f32_e32 v18, v19, v18
	s_waitcnt lgkmcnt(1)
	v_mul_f32_e32 v18, v18, v47
	ds_bpermute_b32 v47, v36, v39
	ds_bpermute_b32 v48, v37, v40
	v_pk_add_f32 v[8:9], v[8:9], v[44:45]
	s_waitcnt vmcnt(5) lgkmcnt(2)
	v_sub_f32_e32 v16, v16, v46
	ds_bpermute_b32 v46, v37, v39
	v_pk_add_f32 v[8:9], v[8:9], v[52:53]
	s_waitcnt vmcnt(4)
	v_mul_f32_e32 v16, v17, v16
	s_waitcnt lgkmcnt(2)
	v_mul_f32_e32 v16, v16, v47
	v_pk_add_f32 v[8:9], v[8:9], v[42:43]
	s_waitcnt vmcnt(3) lgkmcnt(1)
	v_sub_f32_e32 v47, v57, v48
	v_pk_add_f32 v[8:9], v[8:9], v[18:19]
	s_waitcnt vmcnt(2)
	v_mul_f32_e32 v47, v55, v47
	s_waitcnt lgkmcnt(0)
	v_mul_f32_e32 v54, v47, v46
	v_pk_add_f32 v[8:9], v[8:9], v[16:17]
	s_waitcnt vmcnt(1)
	v_sub_f32_e32 v10, v58, v10
	s_waitcnt vmcnt(0)
	v_mul_f32_e32 v10, v41, v10
	v_pk_add_f32 v[8:9], v[8:9], v[54:55]
	v_mul_f32_e32 v40, v10, v11
	v_pk_add_f32 v[8:9], v[8:9], v[40:41]
	s_cbranch_vccz .LBB58_10
.LBB58_7:                               ; =>This Inner Loop Header: Depth=1
	v_mov_b32_e32 v39, 0
	v_mov_b32_e32 v40, 0
	s_and_saveexec_b64 s[26:27], s[4:5]
	s_cbranch_execz .LBB58_6
; %bb.8:                                ;   in Loop: Header=BB58_7 Depth=1
	v_cmp_gt_i64_e32 vcc, s[16:17], v[0:1]
	v_mov_b32_e32 v40, 0
	v_mov_b32_e32 v39, 0
	s_and_saveexec_b64 s[28:29], vcc
	s_cbranch_execz .LBB58_5
; %bb.9:                                ;   in Loop: Header=BB58_7 Depth=1
	v_lshl_add_u64 v[12:13], s[12:13], 0, v[2:3]
	v_lshl_add_u64 v[10:11], s[14:15], 0, v[2:3]
	global_load_dword v40, v[12:13], off
	global_load_dword v39, v[10:11], off
	s_branch .LBB58_5
.LBB58_10:
	v_mov_b32_e32 v4, v22
.LBB58_11:
	s_load_dwordx4 s[4:7], s[0:1], 0x30
	s_movk_i32 s0, 0x41
	v_mad_u32_u24 v0, v4, s0, v20
	v_lshl_add_u32 v0, v0, 2, 0
	v_lshrrev_b32_e32 v11, 6, v20
	ds_write_b32 v0, v8
	ds_write_b32 v0, v9 offset:4160
	v_add_u32_e32 v0, v11, v4
	s_mov_b32 s3, 0
	v_cmp_gt_u32_e32 vcc, 64, v0
	s_waitcnt lgkmcnt(0)
	s_barrier
	s_and_saveexec_b64 s[0:1], vcc
	s_cbranch_execz .LBB58_21
; %bb.12:
	v_and_b32_e32 v1, 63, v20
	v_cmp_gt_u32_e64 s[0:1], 16, v1
	v_mul_u32_u24_e32 v12, 0x41, v1
	v_mbcnt_hi_u32_b32 v1, -1, v21
	v_and_b32_e32 v2, 64, v1
	v_add_u32_e32 v2, 64, v2
	v_xor_b32_e32 v3, 8, v1
	v_cmp_lt_i32_e32 vcc, v3, v2
	s_lshl_b64 s[10:11], s[2:3], 6
	v_mov_b32_e32 v5, 0
	v_cndmask_b32_e32 v3, v1, v3, vcc
	v_lshlrev_b32_e32 v6, 2, v3
	v_xor_b32_e32 v3, 4, v1
	v_cmp_lt_i32_e32 vcc, v3, v2
	v_add_u32_e32 v10, -16, v0
	v_or_b32_e32 v0, s10, v11
	v_cndmask_b32_e32 v3, v1, v3, vcc
	v_lshlrev_b32_e32 v7, 2, v3
	v_xor_b32_e32 v3, 2, v1
	v_cmp_lt_i32_e32 vcc, v3, v2
	s_cmp_lg_u64 s[4:5], 0
	s_cselect_b64 s[12:13], -1, 0
	v_cndmask_b32_e32 v3, v1, v3, vcc
	v_lshlrev_b32_e32 v8, 2, v3
	v_xor_b32_e32 v3, 1, v1
	v_cmp_lt_i32_e32 vcc, v3, v2
	s_cmp_lg_u64 s[6:7], 0
	v_cmp_eq_u32_e64 s[2:3], 0, v20
	v_cndmask_b32_e32 v1, v1, v3, vcc
	v_lshlrev_b32_e32 v9, 2, v1
	v_mov_b32_e32 v1, s11
	v_lshl_add_u64 v[0:1], v[0:1], 0, v[4:5]
	v_lshlrev_b64 v[2:3], 2, v[0:1]
	v_add3_u32 v4, v12, v4, v11
	v_lshl_add_u64 v[0:1], s[6:7], 0, v[2:3]
	v_lshl_add_u32 v11, v4, 2, 0
	v_cndmask_b32_e64 v4, 0, 1, s[12:13]
	s_cselect_b64 s[6:7], -1, 0
	v_lshl_add_u64 v[2:3], s[4:5], 0, v[2:3]
	v_cmp_ne_u32_e64 s[4:5], 1, v4
	v_cndmask_b32_e64 v4, 0, 1, s[6:7]
	s_mov_b64 s[8:9], 0
	v_cmp_ne_u32_e64 s[6:7], 1, v4
                                        ; implicit-def: $vgpr4
	s_branch .LBB58_14
.LBB58_13:                              ;   in Loop: Header=BB58_14 Depth=1
	s_or_b64 exec, exec, s[10:11]
	v_add_u32_e32 v10, 16, v10
	v_cmp_lt_u32_e32 vcc, 47, v10
	v_lshl_add_u64 v[0:1], v[0:1], 0, 64
	v_lshl_add_u64 v[2:3], v[2:3], 0, 64
	s_or_b64 s[8:9], vcc, s[8:9]
	v_add_u32_e32 v11, 64, v11
	s_andn2_b64 exec, exec, s[8:9]
	s_cbranch_execz .LBB58_21
.LBB58_14:                              ; =>This Inner Loop Header: Depth=1
	s_and_saveexec_b64 s[10:11], s[0:1]
	s_cbranch_execz .LBB58_16
; %bb.15:                               ;   in Loop: Header=BB58_14 Depth=1
	ds_read_b32 v5, v11
	ds_read_b32 v4, v11 offset:4160
.LBB58_16:                              ;   in Loop: Header=BB58_14 Depth=1
	s_or_b64 exec, exec, s[10:11]
	s_waitcnt lgkmcnt(1)
	ds_bpermute_b32 v13, v6, v5
	s_waitcnt lgkmcnt(1)
	ds_bpermute_b32 v12, v6, v4
	s_waitcnt lgkmcnt(0)
	v_pk_add_f32 v[4:5], v[4:5], v[12:13]
	ds_bpermute_b32 v13, v7, v5
	ds_bpermute_b32 v12, v7, v4
	s_waitcnt lgkmcnt(0)
	v_pk_add_f32 v[4:5], v[4:5], v[12:13]
	ds_bpermute_b32 v13, v8, v5
	;; [unrolled: 4-line block ×3, first 2 shown]
	ds_bpermute_b32 v12, v9, v4
	s_waitcnt lgkmcnt(0)
	v_pk_add_f32 v[4:5], v[4:5], v[12:13]
	s_and_saveexec_b64 s[10:11], s[2:3]
	s_cbranch_execz .LBB58_13
; %bb.17:                               ;   in Loop: Header=BB58_14 Depth=1
	s_and_b64 vcc, exec, s[4:5]
	s_cbranch_vccnz .LBB58_19
; %bb.18:                               ;   in Loop: Header=BB58_14 Depth=1
	global_store_dword v[2:3], v5, off
.LBB58_19:                              ;   in Loop: Header=BB58_14 Depth=1
	s_and_b64 vcc, exec, s[6:7]
	s_cbranch_vccnz .LBB58_13
; %bb.20:                               ;   in Loop: Header=BB58_14 Depth=1
	global_store_dword v[0:1], v4, off
	s_branch .LBB58_13
.LBB58_21:
	s_endpgm
	.section	.rodata,"a",@progbits
	.p2align	6, 0x0
	.amdhsa_kernel _ZN2at6native12_GLOBAL__N_135GammaBetaBackwardCUDAKernelTemplateIffLj64ELj16ELj256ELb0ELb1ELb0EEEvllPKT_S5_PKT0_S8_PS3_S9_
		.amdhsa_group_segment_fixed_size 0
		.amdhsa_private_segment_fixed_size 0
		.amdhsa_kernarg_size 320
		.amdhsa_user_sgpr_count 2
		.amdhsa_user_sgpr_dispatch_ptr 0
		.amdhsa_user_sgpr_queue_ptr 0
		.amdhsa_user_sgpr_kernarg_segment_ptr 1
		.amdhsa_user_sgpr_dispatch_id 0
		.amdhsa_user_sgpr_kernarg_preload_length 0
		.amdhsa_user_sgpr_kernarg_preload_offset 0
		.amdhsa_user_sgpr_private_segment_size 0
		.amdhsa_uses_dynamic_stack 0
		.amdhsa_enable_private_segment 0
		.amdhsa_system_sgpr_workgroup_id_x 1
		.amdhsa_system_sgpr_workgroup_id_y 1
		.amdhsa_system_sgpr_workgroup_id_z 0
		.amdhsa_system_sgpr_workgroup_info 0
		.amdhsa_system_vgpr_workitem_id 1
		.amdhsa_next_free_vgpr 60
		.amdhsa_next_free_sgpr 30
		.amdhsa_accum_offset 60
		.amdhsa_reserve_vcc 1
		.amdhsa_float_round_mode_32 0
		.amdhsa_float_round_mode_16_64 0
		.amdhsa_float_denorm_mode_32 3
		.amdhsa_float_denorm_mode_16_64 3
		.amdhsa_dx10_clamp 1
		.amdhsa_ieee_mode 1
		.amdhsa_fp16_overflow 0
		.amdhsa_tg_split 0
		.amdhsa_exception_fp_ieee_invalid_op 0
		.amdhsa_exception_fp_denorm_src 0
		.amdhsa_exception_fp_ieee_div_zero 0
		.amdhsa_exception_fp_ieee_overflow 0
		.amdhsa_exception_fp_ieee_underflow 0
		.amdhsa_exception_fp_ieee_inexact 0
		.amdhsa_exception_int_div_zero 0
	.end_amdhsa_kernel
	.section	.text._ZN2at6native12_GLOBAL__N_135GammaBetaBackwardCUDAKernelTemplateIffLj64ELj16ELj256ELb0ELb1ELb0EEEvllPKT_S5_PKT0_S8_PS3_S9_,"axG",@progbits,_ZN2at6native12_GLOBAL__N_135GammaBetaBackwardCUDAKernelTemplateIffLj64ELj16ELj256ELb0ELb1ELb0EEEvllPKT_S5_PKT0_S8_PS3_S9_,comdat
.Lfunc_end58:
	.size	_ZN2at6native12_GLOBAL__N_135GammaBetaBackwardCUDAKernelTemplateIffLj64ELj16ELj256ELb0ELb1ELb0EEEvllPKT_S5_PKT0_S8_PS3_S9_, .Lfunc_end58-_ZN2at6native12_GLOBAL__N_135GammaBetaBackwardCUDAKernelTemplateIffLj64ELj16ELj256ELb0ELb1ELb0EEEvllPKT_S5_PKT0_S8_PS3_S9_
                                        ; -- End function
	.section	.AMDGPU.csdata,"",@progbits
; Kernel info:
; codeLenInByte = 2304
; NumSgprs: 36
; NumVgprs: 60
; NumAgprs: 0
; TotalNumVgprs: 60
; ScratchSize: 0
; MemoryBound: 0
; FloatMode: 240
; IeeeMode: 1
; LDSByteSize: 0 bytes/workgroup (compile time only)
; SGPRBlocks: 4
; VGPRBlocks: 7
; NumSGPRsForWavesPerEU: 36
; NumVGPRsForWavesPerEU: 60
; AccumOffset: 60
; Occupancy: 8
; WaveLimiterHint : 0
; COMPUTE_PGM_RSRC2:SCRATCH_EN: 0
; COMPUTE_PGM_RSRC2:USER_SGPR: 2
; COMPUTE_PGM_RSRC2:TRAP_HANDLER: 0
; COMPUTE_PGM_RSRC2:TGID_X_EN: 1
; COMPUTE_PGM_RSRC2:TGID_Y_EN: 1
; COMPUTE_PGM_RSRC2:TGID_Z_EN: 0
; COMPUTE_PGM_RSRC2:TIDIG_COMP_CNT: 1
; COMPUTE_PGM_RSRC3_GFX90A:ACCUM_OFFSET: 14
; COMPUTE_PGM_RSRC3_GFX90A:TG_SPLIT: 0
	.section	.text._ZN2at6native12_GLOBAL__N_135GammaBetaBackwardCUDAKernelTemplateIffLj64ELj16ELj256ELb0ELb0ELb0EEEvllPKT_S5_PKT0_S8_PS3_S9_,"axG",@progbits,_ZN2at6native12_GLOBAL__N_135GammaBetaBackwardCUDAKernelTemplateIffLj64ELj16ELj256ELb0ELb0ELb0EEEvllPKT_S5_PKT0_S8_PS3_S9_,comdat
	.globl	_ZN2at6native12_GLOBAL__N_135GammaBetaBackwardCUDAKernelTemplateIffLj64ELj16ELj256ELb0ELb0ELb0EEEvllPKT_S5_PKT0_S8_PS3_S9_ ; -- Begin function _ZN2at6native12_GLOBAL__N_135GammaBetaBackwardCUDAKernelTemplateIffLj64ELj16ELj256ELb0ELb0ELb0EEEvllPKT_S5_PKT0_S8_PS3_S9_
	.p2align	8
	.type	_ZN2at6native12_GLOBAL__N_135GammaBetaBackwardCUDAKernelTemplateIffLj64ELj16ELj256ELb0ELb0ELb0EEEvllPKT_S5_PKT0_S8_PS3_S9_,@function
_ZN2at6native12_GLOBAL__N_135GammaBetaBackwardCUDAKernelTemplateIffLj64ELj16ELj256ELb0ELb0ELb0EEEvllPKT_S5_PKT0_S8_PS3_S9_: ; @_ZN2at6native12_GLOBAL__N_135GammaBetaBackwardCUDAKernelTemplateIffLj64ELj16ELj256ELb0ELb0ELb0EEEvllPKT_S5_PKT0_S8_PS3_S9_
; %bb.0:
	s_load_dwordx8 s[24:31], s[0:1], 0x0
	s_load_dwordx4 s[36:39], s[0:1], 0x20
	s_lshl_b32 s33, s2, 6
	s_mov_b32 s8, 0
	s_or_b32 s4, s33, 63
	s_mov_b32 s5, s8
	s_waitcnt lgkmcnt(0)
	v_mov_b64_e32 v[2:3], s[26:27]
	v_cmp_ge_i64_e32 vcc, s[4:5], v[2:3]
	s_lshl_b32 s34, s3, 8
	s_mov_b32 s35, s8
	v_mov_b64_e32 v[2:3], s[24:25]
	v_cmp_lt_i64_e64 s[4:5], s[34:35], v[2:3]
	s_nop 1
	v_cndmask_b32_e64 v1, 0, 1, s[4:5]
	v_cmp_ne_u32_e64 s[4:5], 1, v1
	s_cbranch_vccz .LBB59_80
; %bb.1:
	v_mov_b32_e32 v51, 0
	s_and_b64 vcc, exec, s[4:5]
	v_mov_b32_e32 v50, v51
	s_cbranch_vccnz .LBB59_81
; %bb.2:
	v_mov_b32_e32 v3, 0
	v_bfe_u32 v121, v0, 10, 10
	s_load_dword s3, s[0:1], 0x44
	v_lshlrev_b32_e32 v126, 4, v121
	v_mov_b32_e32 v127, v3
	v_and_b32_e32 v120, 0x3ff, v0
	v_lshl_add_u64 v[4:5], v[126:127], 0, s[34:35]
	v_add_u32_e32 v2, s33, v120
	v_lshl_add_u64 v[6:7], v[4:5], 0, 15
	s_add_u32 s40, s0, 64
	v_cmp_gt_i64_e64 s[6:7], s[26:27], v[2:3]
	v_lshlrev_b64 v[52:53], 2, v[2:3]
	v_mul_lo_u32 v2, s27, v6
	v_mul_lo_u32 v8, s26, v7
	v_mad_u64_u32 v[6:7], s[10:11], s26, v6, 0
	s_addc_u32 s41, s1, 0
	s_waitcnt lgkmcnt(0)
	s_lshl_b32 s3, s3, 8
	v_add3_u32 v7, v7, v8, v2
	v_lshlrev_b64 v[6:7], 2, v[6:7]
	s_mul_i32 s9, s27, s3
	s_mul_hi_u32 s10, s26, s3
	v_lshl_add_u64 v[54:55], s[28:29], 0, v[6:7]
	s_add_i32 s11, s10, s9
	s_mul_i32 s10, s26, s3
	v_lshl_add_u64 v[56:57], s[30:31], 0, v[6:7]
	v_lshl_add_u64 v[6:7], v[4:5], 0, 14
	s_lshl_b64 s[42:43], s[10:11], 2
	v_mul_lo_u32 v2, s27, v6
	v_mul_lo_u32 v8, s26, v7
	v_mad_u64_u32 v[6:7], s[10:11], s26, v6, 0
	v_add3_u32 v7, v7, v8, v2
	v_lshlrev_b64 v[6:7], 2, v[6:7]
	v_lshl_add_u64 v[58:59], s[28:29], 0, v[6:7]
	v_lshl_add_u64 v[60:61], s[30:31], 0, v[6:7]
	v_lshl_add_u64 v[6:7], v[4:5], 0, 13
	v_mul_lo_u32 v2, s27, v6
	v_mul_lo_u32 v8, s26, v7
	v_mad_u64_u32 v[6:7], s[10:11], s26, v6, 0
	v_add3_u32 v7, v7, v8, v2
	v_lshlrev_b64 v[6:7], 2, v[6:7]
	v_lshl_add_u64 v[62:63], s[28:29], 0, v[6:7]
	v_lshl_add_u64 v[64:65], s[30:31], 0, v[6:7]
	v_lshl_add_u64 v[6:7], v[4:5], 0, 12
	;; [unrolled: 8-line block ×12, first 2 shown]
	v_mul_lo_u32 v2, s27, v6
	v_mul_lo_u32 v8, s26, v7
	v_mad_u64_u32 v[6:7], s[10:11], s26, v6, 0
	v_add3_u32 v7, v7, v8, v2
	v_lshlrev_b64 v[6:7], 2, v[6:7]
	v_lshl_add_u64 v[106:107], s[28:29], 0, v[6:7]
	v_lshl_add_u64 v[108:109], s[30:31], 0, v[6:7]
	v_mov_b64_e32 v[6:7], s[26:27]
	v_mad_u64_u32 v[6:7], s[10:11], s26, v4, v[6:7]
	v_mul_lo_u32 v2, s26, v5
	v_mul_lo_u32 v8, s27, v4
	v_mad_u64_u32 v[4:5], s[10:11], s26, v4, 0
	v_add3_u32 v7, v8, v7, v2
	v_add3_u32 v5, v5, v2, v8
	v_mbcnt_lo_u32_b32 v2, -1, 0
	v_mbcnt_hi_u32_b32 v2, -1, v2
	v_lshlrev_b64 v[6:7], 2, v[6:7]
	s_add_u32 s44, s34, 0xff
	v_lshlrev_b64 v[4:5], 2, v[4:5]
	s_movk_i32 s46, 0xff01
	s_movk_i32 s48, 0xff02
	;; [unrolled: 1-line block ×16, first 2 shown]
	v_lshlrev_b32_e32 v2, 2, v2
	v_lshl_add_u64 v[110:111], s[28:29], 0, v[6:7]
	v_lshl_add_u64 v[112:113], s[30:31], 0, v[6:7]
	s_addc_u32 s45, 0, 0
	v_lshl_add_u64 v[114:115], s[28:29], 0, v[4:5]
	v_lshl_add_u64 v[116:117], s[30:31], 0, v[4:5]
	s_mov_b32 s47, -1
	s_mov_b32 s49, -1
	;; [unrolled: 1-line block ×16, first 2 shown]
	v_and_b32_e32 v122, 0x100, v2
	s_mov_b64 s[78:79], s[34:35]
	v_mov_b32_e32 v50, v3
	v_mov_b32_e32 v51, v3
	s_branch .LBB59_5
.LBB59_3:                               ;   in Loop: Header=BB59_5 Depth=1
	s_or_b64 exec, exec, s[10:11]
	s_waitcnt vmcnt(1)
	ds_bpermute_b32 v2, v122, v124
	ds_bpermute_b32 v4, v122, v124 offset:4
	s_waitcnt vmcnt(0)
	ds_bpermute_b32 v5, v122, v123
	ds_bpermute_b32 v6, v122, v123 offset:4
	ds_bpermute_b32 v9, v122, v123 offset:12
	s_waitcnt lgkmcnt(4)
	v_sub_f32_e32 v2, v18, v2
	v_mul_f32_e32 v2, v34, v2
	s_waitcnt lgkmcnt(3)
	v_sub_f32_e32 v7, v19, v4
	s_waitcnt lgkmcnt(2)
	v_mul_f32_e32 v4, v2, v5
	ds_bpermute_b32 v2, v122, v124 offset:8
	v_mul_f32_e32 v5, v35, v7
	s_waitcnt lgkmcnt(2)
	v_mul_f32_e32 v6, v5, v6
	ds_bpermute_b32 v5, v122, v123 offset:8
	ds_bpermute_b32 v7, v122, v124 offset:12
	s_waitcnt lgkmcnt(2)
	v_sub_f32_e32 v2, v20, v2
	v_mul_f32_e32 v2, v36, v2
	v_mov_b32_e32 v11, v37
	s_waitcnt lgkmcnt(1)
	v_mul_f32_e32 v8, v2, v5
	s_waitcnt lgkmcnt(0)
	v_sub_f32_e32 v2, v21, v7
	ds_bpermute_b32 v5, v122, v124 offset:16
	v_mul_f32_e32 v2, v37, v2
	v_mul_f32_e32 v10, v2, v9
	ds_bpermute_b32 v2, v122, v123 offset:16
	ds_bpermute_b32 v7, v122, v124 offset:20
	;; [unrolled: 1-line block ×3, first 2 shown]
	s_waitcnt lgkmcnt(3)
	v_sub_f32_e32 v5, v22, v5
	v_mul_f32_e32 v5, v38, v5
	s_waitcnt lgkmcnt(2)
	v_mul_f32_e32 v12, v5, v2
	s_waitcnt lgkmcnt(1)
	v_sub_f32_e32 v2, v23, v7
	v_mul_f32_e32 v2, v39, v2
	s_waitcnt lgkmcnt(0)
	v_mul_f32_e32 v14, v2, v9
	v_mov_b32_e32 v5, v34
	ds_bpermute_b32 v2, v122, v124 offset:24
	v_pk_add_f32 v[4:5], v[50:51], v[4:5]
	v_mov_b32_e32 v7, v35
	v_pk_add_f32 v[4:5], v[6:7], v[4:5]
	ds_bpermute_b32 v6, v122, v123 offset:24
	ds_bpermute_b32 v7, v122, v124 offset:28
	v_mov_b32_e32 v9, v36
	v_pk_add_f32 v[4:5], v[8:9], v[4:5]
	ds_bpermute_b32 v8, v122, v123 offset:28
	s_waitcnt lgkmcnt(3)
	v_sub_f32_e32 v2, v24, v2
	v_mul_f32_e32 v2, v40, v2
	s_waitcnt lgkmcnt(2)
	v_mul_f32_e32 v6, v2, v6
	s_waitcnt lgkmcnt(1)
	v_sub_f32_e32 v2, v25, v7
	ds_bpermute_b32 v7, v122, v124 offset:32
	v_mul_f32_e32 v2, v41, v2
	s_waitcnt lgkmcnt(1)
	v_mul_f32_e32 v8, v2, v8
	ds_bpermute_b32 v2, v122, v123 offset:32
	ds_bpermute_b32 v9, v122, v124 offset:36
	v_pk_add_f32 v[4:5], v[10:11], v[4:5]
	ds_bpermute_b32 v11, v122, v123 offset:36
	s_waitcnt lgkmcnt(3)
	v_sub_f32_e32 v7, v26, v7
	v_mul_f32_e32 v7, v42, v7
	s_waitcnt lgkmcnt(2)
	v_mul_f32_e32 v10, v7, v2
	s_waitcnt lgkmcnt(1)
	v_sub_f32_e32 v2, v27, v9
	ds_bpermute_b32 v7, v122, v124 offset:40
	v_mov_b32_e32 v13, v38
	v_mul_f32_e32 v2, v43, v2
	v_pk_add_f32 v[4:5], v[12:13], v[4:5]
	s_waitcnt lgkmcnt(1)
	v_mul_f32_e32 v12, v2, v11
	ds_bpermute_b32 v2, v122, v123 offset:40
	ds_bpermute_b32 v9, v122, v124 offset:44
	;; [unrolled: 1-line block ×3, first 2 shown]
	s_waitcnt lgkmcnt(3)
	v_sub_f32_e32 v7, v28, v7
	v_mov_b32_e32 v15, v39
	v_mul_f32_e32 v7, v44, v7
	v_pk_add_f32 v[4:5], v[14:15], v[4:5]
	s_waitcnt lgkmcnt(2)
	v_mul_f32_e32 v14, v7, v2
	s_waitcnt lgkmcnt(1)
	v_sub_f32_e32 v2, v29, v9
	ds_bpermute_b32 v7, v122, v124 offset:48
	v_mul_f32_e32 v2, v45, v2
	s_waitcnt lgkmcnt(1)
	v_mul_f32_e32 v16, v2, v11
	ds_bpermute_b32 v2, v122, v123 offset:48
	ds_bpermute_b32 v9, v122, v124 offset:52
	;; [unrolled: 1-line block ×3, first 2 shown]
	s_waitcnt lgkmcnt(3)
	v_sub_f32_e32 v7, v30, v7
	v_mul_f32_e32 v7, v46, v7
	s_waitcnt lgkmcnt(2)
	v_mul_f32_e32 v18, v7, v2
	s_waitcnt lgkmcnt(1)
	v_sub_f32_e32 v2, v31, v9
	v_mul_f32_e32 v2, v47, v2
	v_mov_b32_e32 v7, v40
	s_waitcnt lgkmcnt(0)
	v_mul_f32_e32 v20, v2, v11
	v_pk_add_f32 v[4:5], v[6:7], v[4:5]
	v_mov_b32_e32 v9, v41
	ds_bpermute_b32 v2, v122, v124 offset:56
	v_pk_add_f32 v[4:5], v[8:9], v[4:5]
	v_mov_b32_e32 v11, v42
	v_pk_add_f32 v[4:5], v[10:11], v[4:5]
	v_mov_b32_e32 v13, v43
	ds_bpermute_b32 v7, v122, v123 offset:56
	v_pk_add_f32 v[4:5], v[12:13], v[4:5]
	v_mov_b32_e32 v15, v44
	v_pk_add_f32 v[4:5], v[14:15], v[4:5]
	v_mov_b32_e32 v17, v45
	;; [unrolled: 2-line block ×3, first 2 shown]
	s_waitcnt lgkmcnt(1)
	v_sub_f32_e32 v8, v32, v2
	v_pk_add_f32 v[4:5], v[18:19], v[4:5]
	v_mov_b32_e32 v21, v47
	v_mul_f32_e32 v8, v48, v8
	v_pk_add_f32 v[4:5], v[20:21], v[4:5]
	s_waitcnt lgkmcnt(0)
	v_mul_f32_e32 v8, v8, v7
	v_mov_b32_e32 v9, v48
	ds_bpermute_b32 v2, v122, v123 offset:60
	ds_bpermute_b32 v6, v122, v124 offset:60
	v_pk_add_f32 v[4:5], v[8:9], v[4:5]
.LBB59_4:                               ;   in Loop: Header=BB59_5 Depth=1
	s_waitcnt lgkmcnt(0)
	v_sub_f32_e32 v6, v33, v6
	v_mul_f32_e32 v6, v49, v6
	v_mul_f32_e32 v48, v6, v2
	s_add_u32 s78, s78, s3
	v_pk_add_f32 v[50:51], v[4:5], v[48:49]
	s_addc_u32 s79, s79, 0
	v_mov_b64_e32 v[4:5], s[24:25]
	s_add_u32 s44, s44, s3
	v_cmp_lt_i64_e32 vcc, s[78:79], v[4:5]
	v_lshl_add_u64 v[54:55], v[54:55], 0, s[42:43]
	v_lshl_add_u64 v[56:57], v[56:57], 0, s[42:43]
	;; [unrolled: 1-line block ×30, first 2 shown]
	s_addc_u32 s45, s45, 0
	v_lshl_add_u64 v[114:115], v[114:115], 0, s[42:43]
	v_lshl_add_u64 v[116:117], v[116:117], 0, s[42:43]
	s_cbranch_vccz .LBB59_81
.LBB59_5:                               ; =>This Inner Loop Header: Depth=1
	v_mov_b64_e32 v[4:5], s[24:25]
	v_cmp_ge_i64_e32 vcc, s[44:45], v[4:5]
	v_lshl_add_u64 v[118:119], v[126:127], 0, s[44:45]
	s_cbranch_vccz .LBB59_43
; %bb.6:                                ;   in Loop: Header=BB59_5 Depth=1
	s_load_dword s9, s[40:41], 0xc
	v_mov_b32_e32 v123, 0
	v_mov_b32_e32 v124, 0
	s_waitcnt lgkmcnt(0)
	s_and_b32 s9, s9, 0xffff
	v_mad_u32_u24 v2, v121, s9, v120
	v_and_b32_e32 v2, 63, v2
	v_cmp_gt_u32_e32 vcc, 16, v2
	s_and_saveexec_b64 s[10:11], vcc
	s_cbranch_execz .LBB59_10
; %bb.7:                                ;   in Loop: Header=BB59_5 Depth=1
	v_lshl_add_u64 v[4:5], v[118:119], 0, v[2:3]
	v_lshl_add_u64 v[4:5], v[4:5], 0, s[46:47]
	v_cmp_gt_i64_e32 vcc, s[24:25], v[4:5]
	v_mov_b32_e32 v124, 0
	v_mov_b32_e32 v123, 0
	s_and_saveexec_b64 s[12:13], vcc
	s_cbranch_execz .LBB59_9
; %bb.8:                                ;   in Loop: Header=BB59_5 Depth=1
	v_lshlrev_b64 v[4:5], 2, v[4:5]
	v_lshl_add_u64 v[6:7], s[38:39], 0, v[4:5]
	v_lshl_add_u64 v[4:5], s[36:37], 0, v[4:5]
	global_load_dword v124, v[4:5], off
	global_load_dword v123, v[6:7], off
.LBB59_9:                               ;   in Loop: Header=BB59_5 Depth=1
	s_or_b64 exec, exec, s[12:13]
.LBB59_10:                              ;   in Loop: Header=BB59_5 Depth=1
	s_or_b64 exec, exec, s[10:11]
	s_mov_b32 s22, s8
	s_mov_b32 s23, s8
	v_lshl_add_u64 v[4:5], v[118:119], 0, s[46:47]
	s_mov_b32 s9, s8
	s_mov_b32 s10, s8
	;; [unrolled: 1-line block ×13, first 2 shown]
	v_mov_b64_e32 v[32:33], s[22:23]
	v_cmp_gt_i64_e32 vcc, s[24:25], v[4:5]
	v_mov_b64_e32 v[30:31], s[20:21]
	v_mov_b64_e32 v[28:29], s[18:19]
	v_mov_b64_e32 v[26:27], s[16:17]
	v_mov_b64_e32 v[24:25], s[14:15]
	v_mov_b64_e32 v[22:23], s[12:13]
	v_mov_b64_e32 v[20:21], s[10:11]
	v_mov_b64_e32 v[18:19], s[8:9]
	v_mov_b64_e32 v[48:49], v[32:33]
	s_and_b64 s[80:81], s[6:7], vcc
	v_mov_b64_e32 v[46:47], v[30:31]
	v_mov_b64_e32 v[44:45], v[28:29]
	;; [unrolled: 1-line block ×7, first 2 shown]
	s_and_saveexec_b64 s[10:11], s[80:81]
	s_cbranch_execz .LBB59_12
; %bb.11:                               ;   in Loop: Header=BB59_5 Depth=1
	v_lshl_add_u64 v[4:5], v[114:115], 0, v[52:53]
	global_load_dword v2, v[4:5], off
	v_lshl_add_u64 v[4:5], v[116:117], 0, v[52:53]
	global_load_dword v18, v[4:5], off
	v_mov_b32_e32 v16, v3
	v_mov_b32_e32 v17, v3
	;; [unrolled: 1-line block ×14, first 2 shown]
	s_waitcnt vmcnt(1)
	v_mov_b64_e32 v[48:49], v[16:17]
	v_mov_b32_e32 v19, v3
	v_mov_b32_e32 v20, v3
	;; [unrolled: 1-line block ×15, first 2 shown]
	v_mov_b64_e32 v[46:47], v[14:15]
	v_mov_b64_e32 v[44:45], v[12:13]
	;; [unrolled: 1-line block ×7, first 2 shown]
.LBB59_12:                              ;   in Loop: Header=BB59_5 Depth=1
	s_or_b64 exec, exec, s[10:11]
	v_lshl_add_u64 v[4:5], v[118:119], 0, s[48:49]
	v_cmp_gt_i64_e32 vcc, s[24:25], v[4:5]
	s_and_b64 s[12:13], s[6:7], vcc
	s_and_saveexec_b64 s[10:11], s[12:13]
	s_cbranch_execz .LBB59_14
; %bb.13:                               ;   in Loop: Header=BB59_5 Depth=1
	v_lshl_add_u64 v[4:5], v[110:111], 0, v[52:53]
	global_load_dword v35, v[4:5], off
	v_lshl_add_u64 v[4:5], v[112:113], 0, v[52:53]
	global_load_dword v19, v[4:5], off
.LBB59_14:                              ;   in Loop: Header=BB59_5 Depth=1
	s_or_b64 exec, exec, s[10:11]
	v_lshl_add_u64 v[4:5], v[118:119], 0, s[50:51]
	v_cmp_gt_i64_e32 vcc, s[24:25], v[4:5]
	s_and_b64 s[12:13], s[6:7], vcc
	s_and_saveexec_b64 s[10:11], s[12:13]
	s_cbranch_execz .LBB59_16
; %bb.15:                               ;   in Loop: Header=BB59_5 Depth=1
	v_lshl_add_u64 v[4:5], v[106:107], 0, v[52:53]
	global_load_dword v36, v[4:5], off
	v_lshl_add_u64 v[4:5], v[108:109], 0, v[52:53]
	global_load_dword v20, v[4:5], off
.LBB59_16:                              ;   in Loop: Header=BB59_5 Depth=1
	;; [unrolled: 12-line block ×15, first 2 shown]
	s_or_b64 exec, exec, s[10:11]
	s_waitcnt vmcnt(1)
	ds_bpermute_b32 v2, v122, v124
	ds_bpermute_b32 v4, v122, v124 offset:4
	s_waitcnt vmcnt(0)
	ds_bpermute_b32 v5, v122, v123
	ds_bpermute_b32 v6, v122, v123 offset:4
	ds_bpermute_b32 v9, v122, v123 offset:12
	s_waitcnt lgkmcnt(4)
	v_sub_f32_e32 v2, v18, v2
	v_mul_f32_e32 v2, v34, v2
	s_waitcnt lgkmcnt(3)
	v_sub_f32_e32 v7, v19, v4
	s_waitcnt lgkmcnt(2)
	v_mul_f32_e32 v4, v2, v5
	ds_bpermute_b32 v2, v122, v124 offset:8
	v_mul_f32_e32 v5, v35, v7
	s_waitcnt lgkmcnt(2)
	v_mul_f32_e32 v6, v5, v6
	ds_bpermute_b32 v5, v122, v123 offset:8
	ds_bpermute_b32 v7, v122, v124 offset:12
	s_waitcnt lgkmcnt(2)
	v_sub_f32_e32 v2, v20, v2
	v_mul_f32_e32 v2, v36, v2
	v_mov_b32_e32 v11, v37
	s_waitcnt lgkmcnt(1)
	v_mul_f32_e32 v8, v2, v5
	s_waitcnt lgkmcnt(0)
	v_sub_f32_e32 v2, v21, v7
	ds_bpermute_b32 v5, v122, v124 offset:16
	v_mul_f32_e32 v2, v37, v2
	v_mul_f32_e32 v10, v2, v9
	ds_bpermute_b32 v2, v122, v123 offset:16
	ds_bpermute_b32 v7, v122, v124 offset:20
	;; [unrolled: 1-line block ×3, first 2 shown]
	s_waitcnt lgkmcnt(3)
	v_sub_f32_e32 v5, v22, v5
	v_mul_f32_e32 v5, v38, v5
	s_waitcnt lgkmcnt(2)
	v_mul_f32_e32 v12, v5, v2
	s_waitcnt lgkmcnt(1)
	v_sub_f32_e32 v2, v23, v7
	v_mul_f32_e32 v2, v39, v2
	s_waitcnt lgkmcnt(0)
	v_mul_f32_e32 v14, v2, v9
	v_mov_b32_e32 v5, v34
	ds_bpermute_b32 v2, v122, v124 offset:24
	v_pk_add_f32 v[4:5], v[50:51], v[4:5]
	v_mov_b32_e32 v7, v35
	v_pk_add_f32 v[4:5], v[6:7], v[4:5]
	ds_bpermute_b32 v6, v122, v123 offset:24
	ds_bpermute_b32 v7, v122, v124 offset:28
	v_mov_b32_e32 v9, v36
	v_pk_add_f32 v[4:5], v[8:9], v[4:5]
	ds_bpermute_b32 v8, v122, v123 offset:28
	s_waitcnt lgkmcnt(3)
	v_sub_f32_e32 v2, v24, v2
	v_mul_f32_e32 v2, v40, v2
	s_waitcnt lgkmcnt(2)
	v_mul_f32_e32 v6, v2, v6
	s_waitcnt lgkmcnt(1)
	v_sub_f32_e32 v2, v25, v7
	ds_bpermute_b32 v7, v122, v124 offset:32
	v_mul_f32_e32 v2, v41, v2
	s_waitcnt lgkmcnt(1)
	v_mul_f32_e32 v8, v2, v8
	ds_bpermute_b32 v2, v122, v123 offset:32
	ds_bpermute_b32 v9, v122, v124 offset:36
	v_pk_add_f32 v[4:5], v[10:11], v[4:5]
	ds_bpermute_b32 v11, v122, v123 offset:36
	s_waitcnt lgkmcnt(3)
	v_sub_f32_e32 v7, v26, v7
	v_mul_f32_e32 v7, v42, v7
	s_waitcnt lgkmcnt(2)
	v_mul_f32_e32 v10, v7, v2
	s_waitcnt lgkmcnt(1)
	v_sub_f32_e32 v2, v27, v9
	ds_bpermute_b32 v7, v122, v124 offset:40
	v_mov_b32_e32 v13, v38
	v_mul_f32_e32 v2, v43, v2
	v_pk_add_f32 v[4:5], v[12:13], v[4:5]
	s_waitcnt lgkmcnt(1)
	v_mul_f32_e32 v12, v2, v11
	ds_bpermute_b32 v2, v122, v123 offset:40
	ds_bpermute_b32 v9, v122, v124 offset:44
	;; [unrolled: 1-line block ×3, first 2 shown]
	s_waitcnt lgkmcnt(3)
	v_sub_f32_e32 v7, v28, v7
	v_mov_b32_e32 v15, v39
	v_mul_f32_e32 v7, v44, v7
	v_pk_add_f32 v[4:5], v[14:15], v[4:5]
	s_waitcnt lgkmcnt(2)
	v_mul_f32_e32 v14, v7, v2
	s_waitcnt lgkmcnt(1)
	v_sub_f32_e32 v2, v29, v9
	ds_bpermute_b32 v7, v122, v124 offset:48
	v_mul_f32_e32 v2, v45, v2
	s_waitcnt lgkmcnt(1)
	v_mul_f32_e32 v16, v2, v11
	ds_bpermute_b32 v2, v122, v123 offset:48
	ds_bpermute_b32 v9, v122, v124 offset:52
	ds_bpermute_b32 v11, v122, v123 offset:52
	s_waitcnt lgkmcnt(3)
	v_sub_f32_e32 v7, v30, v7
	v_mul_f32_e32 v7, v46, v7
	s_waitcnt lgkmcnt(2)
	v_mul_f32_e32 v18, v7, v2
	s_waitcnt lgkmcnt(1)
	v_sub_f32_e32 v2, v31, v9
	v_mul_f32_e32 v2, v47, v2
	s_waitcnt lgkmcnt(0)
	v_mul_f32_e32 v20, v2, v11
	ds_bpermute_b32 v2, v122, v124 offset:56
	v_mov_b32_e32 v7, v40
	v_pk_add_f32 v[4:5], v[6:7], v[4:5]
	v_mov_b32_e32 v9, v41
	v_pk_add_f32 v[4:5], v[8:9], v[4:5]
	;; [unrolled: 2-line block ×3, first 2 shown]
	v_mov_b32_e32 v13, v43
	ds_bpermute_b32 v7, v122, v123 offset:56
	v_pk_add_f32 v[4:5], v[12:13], v[4:5]
	v_mov_b32_e32 v15, v44
	s_waitcnt lgkmcnt(1)
	v_sub_f32_e32 v2, v32, v2
	v_pk_add_f32 v[4:5], v[14:15], v[4:5]
	v_mov_b32_e32 v17, v45
	v_mul_f32_e32 v8, v48, v2
	ds_bpermute_b32 v2, v122, v123 offset:60
	ds_bpermute_b32 v6, v122, v124 offset:60
	v_pk_add_f32 v[4:5], v[16:17], v[4:5]
	v_mov_b32_e32 v19, v46
	v_pk_add_f32 v[4:5], v[18:19], v[4:5]
	v_mov_b32_e32 v21, v47
	v_pk_add_f32 v[4:5], v[20:21], v[4:5]
	s_waitcnt lgkmcnt(2)
	v_mul_f32_e32 v8, v8, v7
	v_mov_b32_e32 v9, v48
	v_pk_add_f32 v[4:5], v[8:9], v[4:5]
	s_branch .LBB59_4
.LBB59_43:                              ;   in Loop: Header=BB59_5 Depth=1
                                        ; implicit-def: $vgpr4_vgpr5
                                        ; implicit-def: $vgpr2
                                        ; implicit-def: $vgpr18_vgpr19_vgpr20_vgpr21_vgpr22_vgpr23_vgpr24_vgpr25_vgpr26_vgpr27_vgpr28_vgpr29_vgpr30_vgpr31_vgpr32_vgpr33
                                        ; implicit-def: $vgpr34_vgpr35_vgpr36_vgpr37_vgpr38_vgpr39_vgpr40_vgpr41_vgpr42_vgpr43_vgpr44_vgpr45_vgpr46_vgpr47_vgpr48_vgpr49
                                        ; implicit-def: $vgpr6
	s_cbranch_execz .LBB59_4
; %bb.44:                               ;   in Loop: Header=BB59_5 Depth=1
	s_load_dword s9, s[40:41], 0x0
	v_mov_b32_e32 v123, 0
	v_mov_b32_e32 v124, 0
	s_waitcnt lgkmcnt(0)
	s_cmp_lt_u32 s2, s9
	s_cselect_b32 s9, 12, 18
	s_add_u32 s10, s40, s9
	s_addc_u32 s11, s41, 0
	global_load_ushort v2, v3, s[10:11]
	s_waitcnt vmcnt(0)
	v_mad_u32_u24 v2, v121, v2, v120
	v_and_b32_e32 v2, 63, v2
	v_cmp_gt_u32_e32 vcc, 16, v2
	s_and_saveexec_b64 s[10:11], vcc
	s_cbranch_execz .LBB59_48
; %bb.45:                               ;   in Loop: Header=BB59_5 Depth=1
	v_lshl_add_u64 v[4:5], v[118:119], 0, v[2:3]
	v_lshl_add_u64 v[4:5], v[4:5], 0, s[46:47]
	v_cmp_gt_i64_e32 vcc, s[24:25], v[4:5]
	v_mov_b32_e32 v124, 0
	v_mov_b32_e32 v123, 0
	s_and_saveexec_b64 s[12:13], vcc
	s_cbranch_execz .LBB59_47
; %bb.46:                               ;   in Loop: Header=BB59_5 Depth=1
	v_lshlrev_b64 v[4:5], 2, v[4:5]
	v_lshl_add_u64 v[6:7], s[38:39], 0, v[4:5]
	v_lshl_add_u64 v[4:5], s[36:37], 0, v[4:5]
	global_load_dword v124, v[4:5], off
	global_load_dword v123, v[6:7], off
.LBB59_47:                              ;   in Loop: Header=BB59_5 Depth=1
	s_or_b64 exec, exec, s[12:13]
.LBB59_48:                              ;   in Loop: Header=BB59_5 Depth=1
	s_or_b64 exec, exec, s[10:11]
	s_mov_b32 s22, s8
	s_mov_b32 s23, s8
	;; [unrolled: 1-line block ×15, first 2 shown]
	v_mov_b64_e32 v[32:33], s[22:23]
	v_mov_b64_e32 v[30:31], s[20:21]
	;; [unrolled: 1-line block ×16, first 2 shown]
	s_and_saveexec_b64 s[10:11], s[6:7]
	s_cbranch_execnz .LBB59_64
; %bb.49:                               ;   in Loop: Header=BB59_5 Depth=1
	s_or_b64 exec, exec, s[10:11]
	s_and_saveexec_b64 s[10:11], s[6:7]
	s_cbranch_execnz .LBB59_65
.LBB59_50:                              ;   in Loop: Header=BB59_5 Depth=1
	s_or_b64 exec, exec, s[10:11]
	s_and_saveexec_b64 s[10:11], s[6:7]
	s_cbranch_execnz .LBB59_66
.LBB59_51:                              ;   in Loop: Header=BB59_5 Depth=1
	s_or_b64 exec, exec, s[10:11]
	s_and_saveexec_b64 s[10:11], s[6:7]
	s_cbranch_execnz .LBB59_67
.LBB59_52:                              ;   in Loop: Header=BB59_5 Depth=1
	s_or_b64 exec, exec, s[10:11]
	s_and_saveexec_b64 s[10:11], s[6:7]
	s_cbranch_execnz .LBB59_68
.LBB59_53:                              ;   in Loop: Header=BB59_5 Depth=1
	s_or_b64 exec, exec, s[10:11]
	s_and_saveexec_b64 s[10:11], s[6:7]
	s_cbranch_execnz .LBB59_69
.LBB59_54:                              ;   in Loop: Header=BB59_5 Depth=1
	s_or_b64 exec, exec, s[10:11]
	s_and_saveexec_b64 s[10:11], s[6:7]
	s_cbranch_execnz .LBB59_70
.LBB59_55:                              ;   in Loop: Header=BB59_5 Depth=1
	s_or_b64 exec, exec, s[10:11]
	s_and_saveexec_b64 s[10:11], s[6:7]
	s_cbranch_execnz .LBB59_71
.LBB59_56:                              ;   in Loop: Header=BB59_5 Depth=1
	s_or_b64 exec, exec, s[10:11]
	s_and_saveexec_b64 s[10:11], s[6:7]
	s_cbranch_execnz .LBB59_72
.LBB59_57:                              ;   in Loop: Header=BB59_5 Depth=1
	s_or_b64 exec, exec, s[10:11]
	s_and_saveexec_b64 s[10:11], s[6:7]
	s_cbranch_execnz .LBB59_73
.LBB59_58:                              ;   in Loop: Header=BB59_5 Depth=1
	s_or_b64 exec, exec, s[10:11]
	s_and_saveexec_b64 s[10:11], s[6:7]
	s_cbranch_execnz .LBB59_74
.LBB59_59:                              ;   in Loop: Header=BB59_5 Depth=1
	s_or_b64 exec, exec, s[10:11]
	s_and_saveexec_b64 s[10:11], s[6:7]
	s_cbranch_execnz .LBB59_75
.LBB59_60:                              ;   in Loop: Header=BB59_5 Depth=1
	s_or_b64 exec, exec, s[10:11]
	s_and_saveexec_b64 s[10:11], s[6:7]
	s_cbranch_execnz .LBB59_76
.LBB59_61:                              ;   in Loop: Header=BB59_5 Depth=1
	s_or_b64 exec, exec, s[10:11]
	s_and_saveexec_b64 s[10:11], s[6:7]
	s_cbranch_execnz .LBB59_77
.LBB59_62:                              ;   in Loop: Header=BB59_5 Depth=1
	s_or_b64 exec, exec, s[10:11]
	s_and_saveexec_b64 s[10:11], s[6:7]
	s_cbranch_execnz .LBB59_78
.LBB59_63:                              ;   in Loop: Header=BB59_5 Depth=1
	s_or_b64 exec, exec, s[10:11]
	s_and_saveexec_b64 s[10:11], s[6:7]
	s_cbranch_execz .LBB59_3
	s_branch .LBB59_79
.LBB59_64:                              ;   in Loop: Header=BB59_5 Depth=1
	v_lshl_add_u64 v[4:5], v[114:115], 0, v[52:53]
	global_load_dword v2, v[4:5], off
	v_lshl_add_u64 v[4:5], v[116:117], 0, v[52:53]
	global_load_dword v18, v[4:5], off
	v_mov_b32_e32 v16, v3
	v_mov_b32_e32 v17, v3
	;; [unrolled: 1-line block ×14, first 2 shown]
	s_waitcnt vmcnt(1)
	v_mov_b64_e32 v[48:49], v[16:17]
	v_mov_b32_e32 v19, v3
	v_mov_b32_e32 v20, v3
	;; [unrolled: 1-line block ×15, first 2 shown]
	v_mov_b64_e32 v[46:47], v[14:15]
	v_mov_b64_e32 v[44:45], v[12:13]
	;; [unrolled: 1-line block ×7, first 2 shown]
	s_or_b64 exec, exec, s[10:11]
	s_and_saveexec_b64 s[10:11], s[6:7]
	s_cbranch_execz .LBB59_50
.LBB59_65:                              ;   in Loop: Header=BB59_5 Depth=1
	v_lshl_add_u64 v[4:5], v[110:111], 0, v[52:53]
	global_load_dword v35, v[4:5], off
	v_lshl_add_u64 v[4:5], v[112:113], 0, v[52:53]
	global_load_dword v19, v[4:5], off
	s_or_b64 exec, exec, s[10:11]
	s_and_saveexec_b64 s[10:11], s[6:7]
	s_cbranch_execz .LBB59_51
.LBB59_66:                              ;   in Loop: Header=BB59_5 Depth=1
	v_lshl_add_u64 v[4:5], v[106:107], 0, v[52:53]
	global_load_dword v36, v[4:5], off
	v_lshl_add_u64 v[4:5], v[108:109], 0, v[52:53]
	global_load_dword v20, v[4:5], off
	s_or_b64 exec, exec, s[10:11]
	s_and_saveexec_b64 s[10:11], s[6:7]
	s_cbranch_execz .LBB59_52
.LBB59_67:                              ;   in Loop: Header=BB59_5 Depth=1
	v_lshl_add_u64 v[4:5], v[102:103], 0, v[52:53]
	global_load_dword v37, v[4:5], off
	v_lshl_add_u64 v[4:5], v[104:105], 0, v[52:53]
	global_load_dword v21, v[4:5], off
	s_or_b64 exec, exec, s[10:11]
	s_and_saveexec_b64 s[10:11], s[6:7]
	s_cbranch_execz .LBB59_53
.LBB59_68:                              ;   in Loop: Header=BB59_5 Depth=1
	v_lshl_add_u64 v[4:5], v[98:99], 0, v[52:53]
	global_load_dword v38, v[4:5], off
	v_lshl_add_u64 v[4:5], v[100:101], 0, v[52:53]
	global_load_dword v22, v[4:5], off
	s_or_b64 exec, exec, s[10:11]
	s_and_saveexec_b64 s[10:11], s[6:7]
	s_cbranch_execz .LBB59_54
.LBB59_69:                              ;   in Loop: Header=BB59_5 Depth=1
	v_lshl_add_u64 v[4:5], v[94:95], 0, v[52:53]
	global_load_dword v39, v[4:5], off
	v_lshl_add_u64 v[4:5], v[96:97], 0, v[52:53]
	global_load_dword v23, v[4:5], off
	s_or_b64 exec, exec, s[10:11]
	s_and_saveexec_b64 s[10:11], s[6:7]
	s_cbranch_execz .LBB59_55
.LBB59_70:                              ;   in Loop: Header=BB59_5 Depth=1
	v_lshl_add_u64 v[4:5], v[90:91], 0, v[52:53]
	global_load_dword v40, v[4:5], off
	v_lshl_add_u64 v[4:5], v[92:93], 0, v[52:53]
	global_load_dword v24, v[4:5], off
	s_or_b64 exec, exec, s[10:11]
	s_and_saveexec_b64 s[10:11], s[6:7]
	s_cbranch_execz .LBB59_56
.LBB59_71:                              ;   in Loop: Header=BB59_5 Depth=1
	v_lshl_add_u64 v[4:5], v[86:87], 0, v[52:53]
	global_load_dword v41, v[4:5], off
	v_lshl_add_u64 v[4:5], v[88:89], 0, v[52:53]
	global_load_dword v25, v[4:5], off
	s_or_b64 exec, exec, s[10:11]
	s_and_saveexec_b64 s[10:11], s[6:7]
	s_cbranch_execz .LBB59_57
.LBB59_72:                              ;   in Loop: Header=BB59_5 Depth=1
	v_lshl_add_u64 v[4:5], v[82:83], 0, v[52:53]
	global_load_dword v42, v[4:5], off
	v_lshl_add_u64 v[4:5], v[84:85], 0, v[52:53]
	global_load_dword v26, v[4:5], off
	s_or_b64 exec, exec, s[10:11]
	s_and_saveexec_b64 s[10:11], s[6:7]
	s_cbranch_execz .LBB59_58
.LBB59_73:                              ;   in Loop: Header=BB59_5 Depth=1
	v_lshl_add_u64 v[4:5], v[78:79], 0, v[52:53]
	global_load_dword v43, v[4:5], off
	v_lshl_add_u64 v[4:5], v[80:81], 0, v[52:53]
	global_load_dword v27, v[4:5], off
	s_or_b64 exec, exec, s[10:11]
	s_and_saveexec_b64 s[10:11], s[6:7]
	s_cbranch_execz .LBB59_59
.LBB59_74:                              ;   in Loop: Header=BB59_5 Depth=1
	v_lshl_add_u64 v[4:5], v[74:75], 0, v[52:53]
	global_load_dword v44, v[4:5], off
	v_lshl_add_u64 v[4:5], v[76:77], 0, v[52:53]
	global_load_dword v28, v[4:5], off
	s_or_b64 exec, exec, s[10:11]
	s_and_saveexec_b64 s[10:11], s[6:7]
	s_cbranch_execz .LBB59_60
.LBB59_75:                              ;   in Loop: Header=BB59_5 Depth=1
	v_lshl_add_u64 v[4:5], v[70:71], 0, v[52:53]
	global_load_dword v45, v[4:5], off
	v_lshl_add_u64 v[4:5], v[72:73], 0, v[52:53]
	global_load_dword v29, v[4:5], off
	s_or_b64 exec, exec, s[10:11]
	s_and_saveexec_b64 s[10:11], s[6:7]
	s_cbranch_execz .LBB59_61
.LBB59_76:                              ;   in Loop: Header=BB59_5 Depth=1
	v_lshl_add_u64 v[4:5], v[66:67], 0, v[52:53]
	global_load_dword v46, v[4:5], off
	v_lshl_add_u64 v[4:5], v[68:69], 0, v[52:53]
	global_load_dword v30, v[4:5], off
	s_or_b64 exec, exec, s[10:11]
	s_and_saveexec_b64 s[10:11], s[6:7]
	s_cbranch_execz .LBB59_62
.LBB59_77:                              ;   in Loop: Header=BB59_5 Depth=1
	v_lshl_add_u64 v[4:5], v[62:63], 0, v[52:53]
	global_load_dword v47, v[4:5], off
	v_lshl_add_u64 v[4:5], v[64:65], 0, v[52:53]
	global_load_dword v31, v[4:5], off
	s_or_b64 exec, exec, s[10:11]
	s_and_saveexec_b64 s[10:11], s[6:7]
	s_cbranch_execz .LBB59_63
.LBB59_78:                              ;   in Loop: Header=BB59_5 Depth=1
	v_lshl_add_u64 v[4:5], v[58:59], 0, v[52:53]
	global_load_dword v48, v[4:5], off
	v_lshl_add_u64 v[4:5], v[60:61], 0, v[52:53]
	global_load_dword v32, v[4:5], off
	s_or_b64 exec, exec, s[10:11]
	s_and_saveexec_b64 s[10:11], s[6:7]
	s_cbranch_execz .LBB59_3
.LBB59_79:                              ;   in Loop: Header=BB59_5 Depth=1
	v_lshl_add_u64 v[4:5], v[54:55], 0, v[52:53]
	global_load_dword v49, v[4:5], off
	v_lshl_add_u64 v[4:5], v[56:57], 0, v[52:53]
	global_load_dword v33, v[4:5], off
	s_branch .LBB59_3
.LBB59_80:
                                        ; implicit-def: $vgpr51
	s_branch .LBB59_82
.LBB59_81:
	s_cbranch_execnz .LBB59_130
.LBB59_82:
	v_mov_b32_e32 v51, 0
	s_mov_b32 s8, 0
	s_and_b64 vcc, exec, s[4:5]
	v_mov_b32_e32 v50, v51
	s_cbranch_vccnz .LBB59_130
; %bb.83:
	v_and_b32_e32 v1, 0x3ff, v0
	v_add_u32_e32 v2, s33, v1
	v_mov_b32_e32 v3, 0
	v_bfe_u32 v24, v0, 10, 10
	v_lshlrev_b64 v[36:37], 2, v[2:3]
	v_lshlrev_b32_e32 v2, 6, v24
	scratch_store_dword off, v1, off offset:184 ; 4-byte Folded Spill
	scratch_store_dword off, v0, off offset:200 ; 4-byte Folded Spill
	v_lshl_add_u64 v[0:1], s[34:35], 2, v[2:3]
	v_lshl_add_u64 v[6:7], v[0:1], 0, 4
	v_mov_b64_e32 v[4:5], s[28:29]
	v_mad_u64_u32 v[8:9], s[4:5], s26, v6, v[4:5]
	v_mul_lo_u32 v2, s26, v7
	v_mul_lo_u32 v7, s27, v6
	v_add3_u32 v9, v7, v9, v2
	scratch_store_dwordx2 off, v[8:9], off  ; 8-byte Folded Spill
	v_lshl_add_u64 v[8:9], v[0:1], 0, 8
	v_mad_u64_u32 v[10:11], s[4:5], s26, v8, v[4:5]
	v_mul_lo_u32 v9, s26, v9
	v_mul_lo_u32 v20, s27, v8
	v_add3_u32 v11, v20, v11, v9
	scratch_store_dwordx2 off, v[10:11], off offset:8 ; 8-byte Folded Spill
	v_lshl_add_u64 v[10:11], v[0:1], 0, 12
	v_mad_u64_u32 v[12:13], s[4:5], s26, v10, v[4:5]
	v_mul_lo_u32 v11, s26, v11
	v_mul_lo_u32 v21, s27, v10
	v_add3_u32 v13, v21, v13, v11
	scratch_store_dwordx2 off, v[12:13], off offset:16 ; 8-byte Folded Spill
	;; [unrolled: 6-line block ×3, first 2 shown]
	v_lshl_add_u64 v[14:15], v[0:1], 0, 20
	v_mad_u64_u32 v[16:17], s[4:5], s26, v14, v[4:5]
	v_mul_lo_u32 v15, s26, v15
	v_mul_lo_u32 v23, s27, v14
	v_mov_b64_e32 v[18:19], s[30:31]
	v_add3_u32 v17, v23, v17, v15
	v_mad_u64_u32 v[26:27], s[4:5], s26, v6, v[18:19]
	scratch_store_dwordx2 off, v[16:17], off offset:32 ; 8-byte Folded Spill
	v_lshl_add_u64 v[16:17], v[0:1], 0, 24
	v_add3_u32 v27, v7, v27, v2
	scratch_store_dwordx2 off, v[26:27], off offset:40 ; 8-byte Folded Spill
	v_mad_u64_u32 v[6:7], s[4:5], s26, v16, v[4:5]
	v_mul_lo_u32 v2, s26, v17
	v_mad_u64_u32 v[26:27], s[4:5], s26, v8, v[18:19]
	v_mul_lo_u32 v8, s27, v16
	v_add3_u32 v7, v8, v7, v2
	scratch_store_dwordx2 off, v[6:7], off offset:48 ; 8-byte Folded Spill
	v_mad_u64_u32 v[6:7], s[4:5], s26, v10, v[18:19]
	v_add3_u32 v7, v21, v7, v11
	v_mad_u64_u32 v[10:11], s[4:5], s26, v12, v[18:19]
	v_add3_u32 v11, v22, v11, v13
	scratch_store_dwordx2 off, v[10:11], off offset:72 ; 8-byte Folded Spill
	v_mad_u64_u32 v[10:11], s[4:5], s26, v14, v[18:19]
	scratch_store_dwordx2 off, v[6:7], off offset:64 ; 8-byte Folded Spill
	v_lshl_add_u64 v[6:7], v[0:1], 0, 28
	v_add3_u32 v11, v23, v11, v15
	v_mad_u64_u32 v[12:13], s[4:5], s26, v6, v[4:5]
	v_mul_lo_u32 v7, s26, v7
	scratch_store_dwordx2 off, v[10:11], off offset:88 ; 8-byte Folded Spill
	v_mul_lo_u32 v10, s27, v6
	v_add3_u32 v13, v10, v13, v7
	scratch_store_dwordx2 off, v[12:13], off offset:80 ; 8-byte Folded Spill
	v_mad_u64_u32 v[12:13], s[4:5], s26, v16, v[18:19]
	v_add3_u32 v13, v8, v13, v2
	v_add3_u32 v27, v20, v27, v9
	scratch_store_dwordx2 off, v[12:13], off offset:96 ; 8-byte Folded Spill
	v_lshl_add_u64 v[8:9], v[0:1], 0, 32
	v_mad_u64_u32 v[12:13], s[4:5], s26, v6, v[18:19]
	v_add3_u32 v13, v10, v13, v7
	v_mad_u64_u32 v[10:11], s[4:5], s26, v8, v[4:5]
	v_mul_lo_u32 v2, s26, v9
	v_mul_lo_u32 v6, s27, v8
	v_mad_u64_u32 v[8:9], s[4:5], s26, v8, v[18:19]
	v_add3_u32 v11, v6, v11, v2
	v_add3_u32 v9, v6, v9, v2
	v_lshl_add_u64 v[6:7], v[0:1], 0, 36
	scratch_store_dwordx2 off, v[8:9], off offset:120 ; 8-byte Folded Spill
	v_mul_lo_u32 v2, s26, v7
	v_mul_lo_u32 v7, s27, v6
	v_mad_u64_u32 v[8:9], s[4:5], s26, v6, v[4:5]
	v_add3_u32 v9, v7, v9, v2
	scratch_store_dwordx2 off, v[8:9], off offset:128 ; 8-byte Folded Spill
	v_mad_u64_u32 v[8:9], s[4:5], s26, v6, v[18:19]
	v_add3_u32 v9, v7, v9, v2
	v_lshl_add_u64 v[6:7], v[0:1], 0, 40
	scratch_store_dwordx2 off, v[8:9], off offset:136 ; 8-byte Folded Spill
	v_mul_lo_u32 v2, s26, v7
	v_mul_lo_u32 v7, s27, v6
	v_mad_u64_u32 v[8:9], s[4:5], s26, v6, v[4:5]
	v_add3_u32 v9, v7, v9, v2
	scratch_store_dwordx2 off, v[8:9], off offset:144 ; 8-byte Folded Spill
	v_mad_u64_u32 v[8:9], s[4:5], s26, v6, v[18:19]
	;; [unrolled: 9-line block ×3, first 2 shown]
	v_add3_u32 v9, v7, v9, v2
	v_lshl_add_u64 v[6:7], v[0:1], 0, 48
	scratch_store_dwordx2 off, v[8:9], off offset:168 ; 8-byte Folded Spill
	v_mul_lo_u32 v2, s26, v7
	v_mul_lo_u32 v7, s27, v6
	v_mad_u64_u32 v[8:9], s[4:5], s26, v6, v[4:5]
	v_mad_u64_u32 v[86:87], s[4:5], s26, v6, v[18:19]
	v_add3_u32 v9, v7, v9, v2
	v_add3_u32 v87, v7, v87, v2
	v_lshl_add_u64 v[6:7], v[0:1], 0, 52
	v_mul_lo_u32 v2, s26, v7
	v_mul_lo_u32 v7, s27, v6
	v_mad_u64_u32 v[88:89], s[4:5], s26, v6, v[4:5]
	v_mad_u64_u32 v[90:91], s[4:5], s26, v6, v[18:19]
	v_add3_u32 v89, v7, v89, v2
	v_add3_u32 v91, v7, v91, v2
	v_lshl_add_u64 v[6:7], v[0:1], 0, 56
	v_lshl_add_u64 v[0:1], v[0:1], 0, 60
	v_mad_u64_u32 v[96:97], s[4:5], s26, v0, v[4:5]
	v_mad_u64_u32 v[98:99], s[4:5], s26, v0, v[18:19]
	v_mul_lo_u32 v1, s26, v1
	v_mul_lo_u32 v0, s27, v0
	v_add3_u32 v97, v0, v97, v1
	v_add3_u32 v99, v0, v99, v1
	v_lshlrev_b32_e32 v0, 4, v24
	v_mov_b32_e32 v1, v3
	scratch_store_dwordx2 off, v[8:9], off offset:176 ; 8-byte Folded Spill
	v_lshl_add_u64 v[8:9], v[0:1], 0, s[34:35]
	v_mul_lo_u32 v2, s26, v7
	v_mul_lo_u32 v7, s27, v6
	v_mad_u64_u32 v[92:93], s[4:5], s26, v6, v[4:5]
	v_mad_u64_u32 v[94:95], s[4:5], s26, v6, v[18:19]
	scratch_store_dwordx2 off, v[0:1], off offset:192 ; 8-byte Folded Spill
	v_lshl_add_u64 v[0:1], v[8:9], 0, 15
	v_add3_u32 v93, v7, v93, v2
	v_add3_u32 v95, v7, v95, v2
	v_mul_lo_u32 v2, s27, v0
	v_mul_lo_u32 v4, s26, v1
	v_mad_u64_u32 v[0:1], s[4:5], s26, v0, 0
	v_add3_u32 v1, v1, v4, v2
	v_lshl_add_u64 v[4:5], v[8:9], 0, 14
	v_mul_lo_u32 v2, s27, v4
	v_mul_lo_u32 v6, s26, v5
	v_mad_u64_u32 v[4:5], s[4:5], s26, v4, 0
	v_add3_u32 v5, v5, v6, v2
	v_lshl_add_u64 v[6:7], v[8:9], 0, 13
	scratch_store_dwordx2 off, v[10:11], off offset:112 ; 8-byte Folded Spill
	v_mul_lo_u32 v2, s27, v6
	v_mul_lo_u32 v10, s26, v7
	v_mad_u64_u32 v[6:7], s[4:5], s26, v6, 0
	v_add3_u32 v7, v7, v10, v2
	v_lshl_add_u64 v[10:11], v[8:9], 0, 12
	scratch_store_dwordx2 off, v[12:13], off offset:104 ; 8-byte Folded Spill
	v_mul_lo_u32 v2, s27, v10
	v_mul_lo_u32 v12, s26, v11
	v_mad_u64_u32 v[10:11], s[4:5], s26, v10, 0
	v_add3_u32 v11, v11, v12, v2
	v_lshl_add_u64 v[12:13], v[8:9], 0, 11
	v_mul_lo_u32 v2, s27, v12
	v_mul_lo_u32 v14, s26, v13
	v_mad_u64_u32 v[12:13], s[4:5], s26, v12, 0
	v_add3_u32 v13, v13, v14, v2
	v_lshl_add_u64 v[14:15], v[8:9], 0, 10
	;; [unrolled: 5-line block ×6, first 2 shown]
	scratch_store_dword off, v24, off offset:188 ; 4-byte Folded Spill
	v_mul_lo_u32 v2, s27, v22
	v_mul_lo_u32 v24, s26, v23
	v_mad_u64_u32 v[22:23], s[4:5], s26, v22, 0
	v_lshlrev_b64 v[0:1], 2, v[0:1]
	v_add3_u32 v23, v23, v24, v2
	v_lshl_add_u64 v[24:25], v[8:9], 0, 5
	v_lshl_add_u64 v[106:107], s[28:29], 0, v[0:1]
	;; [unrolled: 1-line block ×3, first 2 shown]
	v_lshlrev_b64 v[0:1], 2, v[4:5]
	scratch_store_dwordx2 off, v[26:27], off offset:56 ; 8-byte Folded Spill
	v_mul_lo_u32 v2, s27, v24
	v_mul_lo_u32 v26, s26, v25
	v_mad_u64_u32 v[24:25], s[4:5], s26, v24, 0
	v_lshl_add_u64 v[110:111], s[28:29], 0, v[0:1]
	v_lshl_add_u64 v[112:113], s[30:31], 0, v[0:1]
	v_lshlrev_b64 v[0:1], 2, v[6:7]
	v_add3_u32 v25, v25, v26, v2
	v_lshl_add_u64 v[26:27], v[8:9], 0, 4
	v_lshl_add_u64 v[114:115], s[28:29], 0, v[0:1]
	;; [unrolled: 1-line block ×3, first 2 shown]
	v_lshlrev_b64 v[0:1], 2, v[10:11]
	v_mul_lo_u32 v2, s27, v26
	v_mul_lo_u32 v28, s26, v27
	v_mad_u64_u32 v[26:27], s[4:5], s26, v26, 0
	v_lshl_add_u64 v[118:119], s[28:29], 0, v[0:1]
	v_lshl_add_u64 v[120:121], s[30:31], 0, v[0:1]
	v_lshlrev_b64 v[0:1], 2, v[12:13]
	v_add3_u32 v27, v27, v28, v2
	v_lshl_add_u64 v[28:29], v[8:9], 0, 3
	v_lshl_add_u64 v[122:123], s[28:29], 0, v[0:1]
	;; [unrolled: 1-line block ×3, first 2 shown]
	v_lshlrev_b64 v[0:1], 2, v[14:15]
	v_lshlrev_b64 v[4:5], 2, v[16:17]
	v_mul_lo_u32 v2, s27, v28
	v_mul_lo_u32 v30, s26, v29
	v_mad_u64_u32 v[28:29], s[4:5], s26, v28, 0
	v_lshl_add_u64 v[126:127], s[28:29], 0, v[0:1]
	v_lshl_add_u64 v[100:101], s[30:31], 0, v[0:1]
	v_lshl_add_u64 v[0:1], s[28:29], 0, v[4:5]
	v_lshl_add_u64 v[38:39], s[30:31], 0, v[4:5]
	v_lshlrev_b64 v[4:5], 2, v[18:19]
	v_add3_u32 v29, v29, v30, v2
	v_lshl_add_u64 v[30:31], v[8:9], 0, 2
	s_load_dword s3, s[0:1], 0x44
	v_lshl_add_u64 v[40:41], s[28:29], 0, v[4:5]
	v_lshl_add_u64 v[42:43], s[30:31], 0, v[4:5]
	v_lshlrev_b64 v[4:5], 2, v[20:21]
	v_mul_lo_u32 v2, s27, v30
	v_mul_lo_u32 v32, s26, v31
	v_mad_u64_u32 v[30:31], s[4:5], s26, v30, 0
	v_lshl_add_u64 v[44:45], s[28:29], 0, v[4:5]
	v_lshl_add_u64 v[46:47], s[30:31], 0, v[4:5]
	v_lshlrev_b64 v[4:5], 2, v[22:23]
	v_add3_u32 v31, v31, v32, v2
	v_mov_b64_e32 v[32:33], s[26:27]
	v_lshl_add_u64 v[48:49], s[28:29], 0, v[4:5]
	v_lshl_add_u64 v[52:53], s[30:31], 0, v[4:5]
	v_lshlrev_b64 v[4:5], 2, v[24:25]
	v_mad_u64_u32 v[32:33], s[4:5], s26, v8, v[32:33]
	v_mul_lo_u32 v2, s27, v8
	v_mul_lo_u32 v34, s26, v9
	v_mad_u64_u32 v[8:9], s[4:5], s26, v8, 0
	v_lshl_add_u64 v[54:55], s[28:29], 0, v[4:5]
	v_lshl_add_u64 v[56:57], s[30:31], 0, v[4:5]
	v_lshlrev_b64 v[4:5], 2, v[26:27]
	s_add_u32 s4, s0, 64
	v_lshl_add_u64 v[58:59], s[28:29], 0, v[4:5]
	v_lshl_add_u64 v[60:61], s[30:31], 0, v[4:5]
	v_lshlrev_b64 v[4:5], 2, v[28:29]
	v_add3_u32 v9, v9, v34, v2
	v_add3_u32 v33, v2, v33, v34
	s_addc_u32 s5, s1, 0
	s_waitcnt lgkmcnt(0)
	s_lshl_b32 s3, s3, 8
	v_lshl_add_u64 v[62:63], s[28:29], 0, v[4:5]
	v_lshl_add_u64 v[64:65], s[30:31], 0, v[4:5]
	v_lshlrev_b64 v[4:5], 2, v[30:31]
	v_mbcnt_lo_u32_b32 v2, -1, 0
	s_add_u32 s6, s34, 0xff
	s_mul_i32 s9, s27, s3
	s_mul_hi_u32 s10, s26, s3
	v_lshlrev_b64 v[8:9], 2, v[8:9]
	v_lshl_add_u64 v[66:67], s[28:29], 0, v[4:5]
	v_lshl_add_u64 v[68:69], s[30:31], 0, v[4:5]
	v_lshlrev_b64 v[4:5], 2, v[32:33]
	v_mbcnt_hi_u32_b32 v2, -1, v2
	s_addc_u32 s7, 0, 0
	s_add_i32 s11, s10, s9
	s_mul_i32 s10, s26, s3
	v_lshl_add_u64 v[102:103], s[28:29], 0, v[8:9]
	v_lshl_add_u64 v[104:105], s[30:31], 0, v[8:9]
	v_lshl_add_u64 v[70:71], s[28:29], 0, v[4:5]
	v_lshl_add_u64 v[72:73], s[30:31], 0, v[4:5]
	s_movk_i32 s28, 0xff01
	s_movk_i32 s30, 0xff02
	;; [unrolled: 1-line block ×16, first 2 shown]
	v_lshlrev_b32_e32 v2, 2, v2
	s_lshl_b64 s[40:41], s[10:11], 2
	s_mov_b32 s29, -1
	s_mov_b32 s31, -1
	;; [unrolled: 1-line block ×16, first 2 shown]
	v_and_b32_e32 v76, 0x100, v2
	v_mov_b32_e32 v50, v3
	v_mov_b32_e32 v51, v3
	s_branch .LBB59_87
.LBB59_84:                              ;   in Loop: Header=BB59_87 Depth=1
	s_or_b64 exec, exec, s[12:13]
.LBB59_85:                              ;   in Loop: Header=BB59_87 Depth=1
	s_or_b64 exec, exec, s[10:11]
	v_lshl_add_u64 v[4:5], v[102:103], 0, v[36:37]
	global_load_dword v25, v[4:5], off
	v_lshl_add_u64 v[4:5], v[104:105], 0, v[36:37]
	global_load_dword v24, v[4:5], off
	s_nop 0
	scratch_load_dwordx2 v[4:5], off, off   ; 8-byte Folded Reload
	v_lshl_add_u64 v[74:75], v[94:95], 0, v[36:37]
	s_waitcnt vmcnt(0)
	v_lshl_add_u64 v[4:5], v[4:5], 0, v[36:37]
	global_load_dword v27, v[4:5], off
	s_nop 0
	scratch_load_dwordx2 v[4:5], off, off offset:40 ; 8-byte Folded Reload
	s_waitcnt vmcnt(0)
	v_lshl_add_u64 v[4:5], v[4:5], 0, v[36:37]
	global_load_dword v26, v[4:5], off
	s_nop 0
	scratch_load_dwordx2 v[4:5], off, off offset:8 ; 8-byte Folded Reload
	;; [unrolled: 5-line block ×22, first 2 shown]
	s_waitcnt vmcnt(0)
	v_lshl_add_u64 v[12:13], v[12:13], 0, v[36:37]
	global_load_dword v21, v[12:13], off
	v_lshl_add_u64 v[12:13], v[86:87], 0, v[36:37]
	global_load_dword v20, v[12:13], off
	;; [unrolled: 2-line block ×5, first 2 shown]
	s_nop 0
	global_load_dword v12, v[74:75], off
	v_lshl_add_u64 v[74:75], v[96:97], 0, v[36:37]
	global_load_dword v19, v[74:75], off
	v_lshl_add_u64 v[74:75], v[98:99], 0, v[36:37]
	global_load_dword v2, v[74:75], off
	ds_bpermute_b32 v75, v76, v18
	ds_bpermute_b32 v74, v76, v77
	s_waitcnt lgkmcnt(1)
	v_sub_f32_e32 v24, v24, v75
	ds_bpermute_b32 v75, v76, v18 offset:4
	v_mul_f32_e32 v24, v25, v24
	s_waitcnt lgkmcnt(1)
	v_mul_f32_e32 v24, v24, v74
	ds_bpermute_b32 v74, v76, v77 offset:4
	v_pk_add_f32 v[24:25], v[50:51], v[24:25]
	s_waitcnt lgkmcnt(1)
	v_sub_f32_e32 v26, v26, v75
	v_mul_f32_e32 v26, v27, v26
	ds_bpermute_b32 v75, v76, v18 offset:8
	s_waitcnt lgkmcnt(1)
	v_mul_f32_e32 v26, v26, v74
	v_pk_add_f32 v[24:25], v[24:25], v[26:27]
	ds_bpermute_b32 v27, v76, v18 offset:24
	ds_bpermute_b32 v26, v76, v77 offset:24
	;; [unrolled: 1-line block ×3, first 2 shown]
	s_waitcnt lgkmcnt(3)
	v_sub_f32_e32 v28, v28, v75
	ds_bpermute_b32 v75, v76, v18 offset:12
	s_waitcnt lgkmcnt(3)
	v_sub_f32_e32 v4, v4, v27
	ds_bpermute_b32 v27, v76, v18 offset:28
	v_mul_f32_e32 v4, v5, v4
	s_waitcnt lgkmcnt(3)
	v_mul_f32_e32 v4, v4, v26
	ds_bpermute_b32 v26, v76, v77 offset:28
	v_mul_f32_e32 v28, v29, v28
	s_waitcnt lgkmcnt(1)
	v_sub_f32_e32 v6, v6, v27
	ds_bpermute_b32 v27, v76, v18 offset:32
	v_mul_f32_e32 v6, v7, v6
	v_mul_f32_e32 v28, v28, v74
	ds_bpermute_b32 v74, v76, v77 offset:12
	s_waitcnt lgkmcnt(2)
	v_mul_f32_e32 v6, v6, v26
	ds_bpermute_b32 v26, v76, v77 offset:32
	v_sub_f32_e32 v30, v30, v75
	ds_bpermute_b32 v75, v76, v18 offset:16
	s_waitcnt lgkmcnt(3)
	v_sub_f32_e32 v8, v8, v27
	ds_bpermute_b32 v27, v76, v18 offset:36
	v_mul_f32_e32 v30, v31, v30
	v_mul_f32_e32 v8, v9, v8
	s_waitcnt lgkmcnt(3)
	v_mul_f32_e32 v30, v30, v74
	ds_bpermute_b32 v74, v76, v77 offset:16
	s_waitcnt lgkmcnt(3)
	v_mul_f32_e32 v8, v8, v26
	ds_bpermute_b32 v26, v76, v77 offset:36
	s_waitcnt lgkmcnt(3)
	v_sub_f32_e32 v32, v32, v75
	ds_bpermute_b32 v75, v76, v18 offset:20
	s_waitcnt lgkmcnt(3)
	v_sub_f32_e32 v10, v10, v27
	ds_bpermute_b32 v27, v76, v18 offset:40
	v_mul_f32_e32 v32, v33, v32
	v_mul_f32_e32 v10, v11, v10
	s_waitcnt lgkmcnt(3)
	v_mul_f32_e32 v32, v32, v74
	ds_bpermute_b32 v74, v76, v77 offset:20
	s_waitcnt lgkmcnt(3)
	v_mul_f32_e32 v10, v10, v26
	ds_bpermute_b32 v26, v76, v77 offset:40
	s_waitcnt lgkmcnt(3)
	v_sub_f32_e32 v34, v34, v75
	v_pk_add_f32 v[24:25], v[24:25], v[28:29]
	s_waitcnt lgkmcnt(2)
	v_sub_f32_e32 v14, v14, v27
	ds_bpermute_b32 v27, v76, v18 offset:44
	v_mul_f32_e32 v34, v35, v34
	v_pk_add_f32 v[24:25], v[24:25], v[30:31]
	v_mul_f32_e32 v14, v15, v14
	s_waitcnt lgkmcnt(2)
	v_mul_f32_e32 v34, v34, v74
	v_pk_add_f32 v[24:25], v[24:25], v[32:33]
	s_waitcnt lgkmcnt(1)
	v_mul_f32_e32 v14, v14, v26
	ds_bpermute_b32 v26, v76, v77 offset:44
	v_pk_add_f32 v[24:25], v[24:25], v[34:35]
	s_waitcnt lgkmcnt(1)
	v_sub_f32_e32 v16, v16, v27
	v_pk_add_f32 v[4:5], v[24:25], v[4:5]
	ds_bpermute_b32 v27, v76, v18 offset:48
	v_pk_add_f32 v[4:5], v[4:5], v[6:7]
	ds_bpermute_b32 v7, v76, v18 offset:56
	v_mul_f32_e32 v16, v17, v16
	s_waitcnt lgkmcnt(2)
	v_mul_f32_e32 v16, v16, v26
	ds_bpermute_b32 v26, v76, v77 offset:48
	ds_bpermute_b32 v6, v76, v77 offset:56
	s_waitcnt vmcnt(6) lgkmcnt(3)
	v_sub_f32_e32 v20, v20, v27
	ds_bpermute_b32 v27, v76, v18 offset:52
	s_waitcnt vmcnt(2) lgkmcnt(3)
	v_sub_f32_e32 v7, v12, v7
	v_mul_f32_e32 v20, v21, v20
	v_mul_f32_e32 v7, v13, v7
	s_waitcnt lgkmcnt(2)
	v_mul_f32_e32 v20, v20, v26
	ds_bpermute_b32 v26, v76, v77 offset:52
	s_waitcnt lgkmcnt(2)
	v_mul_f32_e32 v12, v7, v6
	ds_bpermute_b32 v7, v76, v18 offset:60
	v_pk_add_f32 v[4:5], v[4:5], v[8:9]
	ds_bpermute_b32 v6, v76, v77 offset:60
	v_pk_add_f32 v[4:5], v[4:5], v[10:11]
	s_waitcnt lgkmcnt(3)
	v_sub_f32_e32 v22, v22, v27
	v_pk_add_f32 v[4:5], v[4:5], v[14:15]
	v_mul_f32_e32 v22, v23, v22
	v_pk_add_f32 v[4:5], v[4:5], v[16:17]
	s_waitcnt lgkmcnt(2)
	v_mul_f32_e32 v22, v22, v26
	v_pk_add_f32 v[4:5], v[4:5], v[20:21]
	s_waitcnt vmcnt(0) lgkmcnt(1)
	v_sub_f32_e32 v2, v2, v7
	v_pk_add_f32 v[4:5], v[4:5], v[22:23]
	v_mul_f32_e32 v2, v19, v2
	v_pk_add_f32 v[4:5], v[4:5], v[12:13]
	s_waitcnt lgkmcnt(0)
	v_mul_f32_e32 v18, v2, v6
.LBB59_86:                              ;   in Loop: Header=BB59_87 Depth=1
	s_add_u32 s34, s34, s3
	v_pk_add_f32 v[50:51], v[4:5], v[18:19]
	s_addc_u32 s35, s35, 0
	v_mov_b64_e32 v[4:5], s[24:25]
	v_cmp_ge_i64_e32 vcc, s[34:35], v[4:5]
	scratch_load_dwordx2 v[4:5], off, off   ; 8-byte Folded Reload
	s_add_u32 s6, s6, s3
	s_addc_u32 s7, s7, 0
	v_lshl_add_u64 v[88:89], v[88:89], 0, s[40:41]
	v_lshl_add_u64 v[92:93], v[92:93], 0, s[40:41]
	;; [unrolled: 1-line block ×39, first 2 shown]
	s_and_b64 vcc, exec, vcc
	s_waitcnt vmcnt(0)
	v_lshl_add_u64 v[4:5], v[4:5], 0, s[40:41]
	scratch_store_dwordx2 off, v[4:5], off  ; 8-byte Folded Spill
	scratch_load_dwordx2 v[4:5], off, off offset:8 ; 8-byte Folded Reload
	s_waitcnt vmcnt(0)
	v_lshl_add_u64 v[4:5], v[4:5], 0, s[40:41]
	scratch_store_dwordx2 off, v[4:5], off offset:8 ; 8-byte Folded Spill
	scratch_load_dwordx2 v[4:5], off, off offset:16 ; 8-byte Folded Reload
	s_waitcnt vmcnt(0)
	v_lshl_add_u64 v[4:5], v[4:5], 0, s[40:41]
	scratch_store_dwordx2 off, v[4:5], off offset:16 ; 8-byte Folded Spill
	;; [unrolled: 4-line block ×22, first 2 shown]
	s_cbranch_vccnz .LBB59_129
.LBB59_87:                              ; =>This Inner Loop Header: Depth=1
	v_mov_b64_e32 v[4:5], s[24:25]
	v_cmp_ge_i64_e32 vcc, s[6:7], v[4:5]
	scratch_load_dwordx2 v[4:5], off, off offset:192 ; 8-byte Folded Reload
	s_waitcnt vmcnt(0)
	v_lshl_add_u64 v[74:75], v[4:5], 0, s[6:7]
	s_cbranch_vccz .LBB59_125
; %bb.88:                               ;   in Loop: Header=BB59_87 Depth=1
	s_load_dword s9, s[4:5], 0xc
	scratch_load_dword v2, off, off offset:184 ; 4-byte Folded Reload
	scratch_load_dword v4, off, off offset:188 ; 4-byte Folded Reload
	v_mov_b32_e32 v78, 0
	v_mov_b32_e32 v77, 0
	s_waitcnt lgkmcnt(0)
	s_and_b32 s9, s9, 0xffff
	s_waitcnt vmcnt(0)
	v_mad_u32_u24 v2, v4, s9, v2
	v_and_b32_e32 v2, 63, v2
	v_cmp_gt_u32_e32 vcc, 16, v2
	s_and_saveexec_b64 s[10:11], vcc
	s_cbranch_execz .LBB59_92
; %bb.89:                               ;   in Loop: Header=BB59_87 Depth=1
	v_lshl_add_u64 v[4:5], v[74:75], 0, v[2:3]
	v_lshl_add_u64 v[4:5], v[4:5], 0, s[28:29]
	v_cmp_gt_i64_e32 vcc, s[24:25], v[4:5]
	v_mov_b32_e32 v77, 0
	v_mov_b32_e32 v78, 0
	s_and_saveexec_b64 s[12:13], vcc
	s_cbranch_execz .LBB59_91
; %bb.90:                               ;   in Loop: Header=BB59_87 Depth=1
	v_lshlrev_b64 v[4:5], 2, v[4:5]
	v_lshl_add_u64 v[6:7], s[38:39], 0, v[4:5]
	v_lshl_add_u64 v[4:5], s[36:37], 0, v[4:5]
	global_load_dword v77, v[4:5], off
	global_load_dword v78, v[6:7], off
.LBB59_91:                              ;   in Loop: Header=BB59_87 Depth=1
	s_or_b64 exec, exec, s[12:13]
.LBB59_92:                              ;   in Loop: Header=BB59_87 Depth=1
	s_or_b64 exec, exec, s[10:11]
	s_mov_b32 s22, s8
	s_mov_b32 s23, s8
	;; [unrolled: 1-line block ×15, first 2 shown]
	v_mov_b64_e32 v[34:35], s[22:23]
	v_lshl_add_u64 v[4:5], v[74:75], 0, s[28:29]
	v_mov_b64_e32 v[20:21], s[8:9]
	v_cmp_gt_i64_e32 vcc, s[24:25], v[4:5]
	v_mov_b64_e32 v[32:33], s[20:21]
	v_mov_b64_e32 v[30:31], s[18:19]
	;; [unrolled: 1-line block ×14, first 2 shown]
	s_and_saveexec_b64 s[10:11], vcc
	s_cbranch_execz .LBB59_94
; %bb.93:                               ;   in Loop: Header=BB59_87 Depth=1
	v_lshl_add_u64 v[4:5], v[102:103], 0, v[36:37]
	global_load_dword v2, v[4:5], off
	v_lshl_add_u64 v[4:5], v[104:105], 0, v[36:37]
	global_load_dword v20, v[4:5], off
	v_mov_b32_e32 v4, v3
	v_mov_b32_e32 v5, v3
	;; [unrolled: 1-line block ×14, first 2 shown]
	s_waitcnt vmcnt(1)
	v_mov_b64_e32 v[18:19], v[16:17]
	v_mov_b32_e32 v21, v3
	v_mov_b32_e32 v22, v3
	;; [unrolled: 1-line block ×15, first 2 shown]
	v_mov_b64_e32 v[16:17], v[14:15]
	v_mov_b64_e32 v[14:15], v[12:13]
	;; [unrolled: 1-line block ×7, first 2 shown]
.LBB59_94:                              ;   in Loop: Header=BB59_87 Depth=1
	s_or_b64 exec, exec, s[10:11]
	v_lshl_add_u64 v[80:81], v[74:75], 0, s[30:31]
	v_cmp_gt_i64_e32 vcc, s[24:25], v[80:81]
	s_and_saveexec_b64 s[10:11], vcc
	s_cbranch_execz .LBB59_96
; %bb.95:                               ;   in Loop: Header=BB59_87 Depth=1
	v_lshl_add_u64 v[80:81], v[70:71], 0, v[36:37]
	global_load_dword v5, v[80:81], off
	v_lshl_add_u64 v[80:81], v[72:73], 0, v[36:37]
	global_load_dword v21, v[80:81], off
.LBB59_96:                              ;   in Loop: Header=BB59_87 Depth=1
	s_or_b64 exec, exec, s[10:11]
	v_lshl_add_u64 v[80:81], v[74:75], 0, s[42:43]
	v_cmp_gt_i64_e32 vcc, s[24:25], v[80:81]
	s_and_saveexec_b64 s[10:11], vcc
	s_cbranch_execz .LBB59_98
; %bb.97:                               ;   in Loop: Header=BB59_87 Depth=1
	v_lshl_add_u64 v[80:81], v[66:67], 0, v[36:37]
	global_load_dword v6, v[80:81], off
	v_lshl_add_u64 v[80:81], v[68:69], 0, v[36:37]
	global_load_dword v22, v[80:81], off
.LBB59_98:                              ;   in Loop: Header=BB59_87 Depth=1
	s_or_b64 exec, exec, s[10:11]
	v_lshl_add_u64 v[80:81], v[74:75], 0, s[44:45]
	v_cmp_gt_i64_e32 vcc, s[24:25], v[80:81]
	s_and_saveexec_b64 s[10:11], vcc
	s_cbranch_execz .LBB59_100
; %bb.99:                               ;   in Loop: Header=BB59_87 Depth=1
	v_lshl_add_u64 v[80:81], v[62:63], 0, v[36:37]
	global_load_dword v7, v[80:81], off
	v_lshl_add_u64 v[80:81], v[64:65], 0, v[36:37]
	global_load_dword v23, v[80:81], off
.LBB59_100:                             ;   in Loop: Header=BB59_87 Depth=1
	s_or_b64 exec, exec, s[10:11]
	v_lshl_add_u64 v[80:81], v[74:75], 0, s[46:47]
	v_cmp_gt_i64_e32 vcc, s[24:25], v[80:81]
	s_and_saveexec_b64 s[10:11], vcc
	s_cbranch_execz .LBB59_102
; %bb.101:                              ;   in Loop: Header=BB59_87 Depth=1
	v_lshl_add_u64 v[80:81], v[58:59], 0, v[36:37]
	global_load_dword v8, v[80:81], off
	v_lshl_add_u64 v[80:81], v[60:61], 0, v[36:37]
	global_load_dword v24, v[80:81], off
.LBB59_102:                             ;   in Loop: Header=BB59_87 Depth=1
	s_or_b64 exec, exec, s[10:11]
	v_lshl_add_u64 v[80:81], v[74:75], 0, s[48:49]
	v_cmp_gt_i64_e32 vcc, s[24:25], v[80:81]
	s_and_saveexec_b64 s[10:11], vcc
	s_cbranch_execz .LBB59_104
; %bb.103:                              ;   in Loop: Header=BB59_87 Depth=1
	v_lshl_add_u64 v[80:81], v[54:55], 0, v[36:37]
	global_load_dword v9, v[80:81], off
	v_lshl_add_u64 v[80:81], v[56:57], 0, v[36:37]
	global_load_dword v25, v[80:81], off
.LBB59_104:                             ;   in Loop: Header=BB59_87 Depth=1
	;; [unrolled: 11-line block ×12, first 2 shown]
	s_or_b64 exec, exec, s[10:11]
	s_waitcnt vmcnt(1)
	ds_bpermute_b32 v79, v76, v77
	s_waitcnt vmcnt(0)
	ds_bpermute_b32 v2, v76, v78
	v_mov_b32_e32 v83, v7
	v_mov_b32_e32 v81, v5
	;; [unrolled: 1-line block ×3, first 2 shown]
	s_waitcnt lgkmcnt(1)
	v_sub_f32_e32 v20, v20, v79
	ds_bpermute_b32 v79, v76, v77 offset:4
	v_mul_f32_e32 v20, v4, v20
	s_waitcnt lgkmcnt(1)
	v_mul_f32_e32 v20, v20, v2
	ds_bpermute_b32 v2, v76, v78 offset:4
	s_waitcnt lgkmcnt(1)
	v_sub_f32_e32 v21, v21, v79
	v_mul_f32_e32 v21, v5, v21
	s_waitcnt lgkmcnt(0)
	v_mul_f32_e32 v80, v21, v2
	ds_bpermute_b32 v21, v76, v77 offset:8
	ds_bpermute_b32 v2, v76, v78 offset:8
	s_waitcnt lgkmcnt(1)
	v_sub_f32_e32 v21, v22, v21
	v_mul_f32_e32 v21, v6, v21
	s_waitcnt lgkmcnt(0)
	v_mul_f32_e32 v22, v21, v2
	ds_bpermute_b32 v21, v76, v77 offset:12
	;; [unrolled: 7-line block ×3, first 2 shown]
	ds_bpermute_b32 v2, v76, v78 offset:16
	v_mov_b32_e32 v23, v6
	ds_bpermute_b32 v6, v76, v77 offset:24
	ds_bpermute_b32 v7, v76, v77 offset:28
	s_waitcnt lgkmcnt(3)
	v_sub_f32_e32 v21, v24, v21
	v_mul_f32_e32 v21, v8, v21
	s_waitcnt lgkmcnt(2)
	v_mul_f32_e32 v24, v21, v2
	ds_bpermute_b32 v21, v76, v77 offset:20
	ds_bpermute_b32 v2, v76, v78 offset:20
	s_waitcnt lgkmcnt(3)
	v_sub_f32_e32 v6, v26, v6
	v_mul_f32_e32 v6, v10, v6
	s_waitcnt lgkmcnt(2)
	v_sub_f32_e32 v7, v27, v7
	s_waitcnt lgkmcnt(1)
	v_sub_f32_e32 v21, v25, v21
	v_mul_f32_e32 v21, v9, v21
	s_waitcnt lgkmcnt(0)
	v_mul_f32_e32 v84, v21, v2
	ds_bpermute_b32 v2, v76, v78 offset:24
	v_mul_f32_e32 v7, v11, v7
	v_mov_b32_e32 v25, v8
	v_mov_b32_e32 v21, v4
	v_pk_add_f32 v[20:21], v[50:51], v[20:21]
	s_waitcnt lgkmcnt(0)
	v_mul_f32_e32 v6, v6, v2
	ds_bpermute_b32 v2, v76, v78 offset:28
	v_pk_add_f32 v[4:5], v[80:81], v[20:21]
	v_mov_b32_e32 v9, v11
	v_pk_add_f32 v[4:5], v[22:23], v[4:5]
	v_mov_b32_e32 v21, v12
	s_waitcnt lgkmcnt(0)
	v_mul_f32_e32 v8, v7, v2
	ds_bpermute_b32 v7, v76, v77 offset:32
	ds_bpermute_b32 v2, v76, v78 offset:32
	v_pk_add_f32 v[4:5], v[82:83], v[4:5]
	v_mov_b32_e32 v23, v13
	v_pk_add_f32 v[4:5], v[24:25], v[4:5]
	s_waitcnt lgkmcnt(1)
	v_sub_f32_e32 v7, v28, v7
	v_mul_f32_e32 v7, v12, v7
	s_waitcnt lgkmcnt(0)
	v_mul_f32_e32 v20, v7, v2
	ds_bpermute_b32 v7, v76, v77 offset:36
	ds_bpermute_b32 v2, v76, v78 offset:36
	v_pk_add_f32 v[4:5], v[84:85], v[4:5]
	v_mov_b32_e32 v25, v14
	v_mov_b32_e32 v27, v15
	s_waitcnt lgkmcnt(1)
	v_sub_f32_e32 v7, v29, v7
	v_mul_f32_e32 v7, v13, v7
	s_waitcnt lgkmcnt(0)
	v_mul_f32_e32 v22, v7, v2
	ds_bpermute_b32 v7, v76, v77 offset:40
	ds_bpermute_b32 v2, v76, v78 offset:40
	v_mov_b32_e32 v29, v16
	s_waitcnt lgkmcnt(1)
	v_sub_f32_e32 v7, v30, v7
	v_mul_f32_e32 v7, v14, v7
	s_waitcnt lgkmcnt(0)
	v_mul_f32_e32 v24, v7, v2
	ds_bpermute_b32 v7, v76, v77 offset:44
	ds_bpermute_b32 v2, v76, v78 offset:44
	s_waitcnt lgkmcnt(1)
	v_sub_f32_e32 v7, v31, v7
	v_mul_f32_e32 v7, v15, v7
	s_waitcnt lgkmcnt(0)
	v_mul_f32_e32 v26, v7, v2
	ds_bpermute_b32 v7, v76, v77 offset:48
	ds_bpermute_b32 v2, v76, v78 offset:48
	v_mov_b32_e32 v31, v17
	s_waitcnt lgkmcnt(1)
	v_sub_f32_e32 v7, v32, v7
	v_mul_f32_e32 v7, v16, v7
	s_waitcnt lgkmcnt(0)
	v_mul_f32_e32 v28, v7, v2
	ds_bpermute_b32 v7, v76, v77 offset:52
	ds_bpermute_b32 v2, v76, v78 offset:52
	s_waitcnt lgkmcnt(1)
	v_sub_f32_e32 v7, v33, v7
	v_mul_f32_e32 v7, v17, v7
	s_waitcnt lgkmcnt(0)
	v_mul_f32_e32 v30, v7, v2
	v_mov_b32_e32 v7, v10
	v_pk_add_f32 v[4:5], v[6:7], v[4:5]
	ds_bpermute_b32 v6, v76, v77 offset:56
	v_pk_add_f32 v[4:5], v[8:9], v[4:5]
	ds_bpermute_b32 v2, v76, v78 offset:56
	v_pk_add_f32 v[4:5], v[20:21], v[4:5]
	v_mov_b32_e32 v7, v18
	v_pk_add_f32 v[4:5], v[22:23], v[4:5]
	s_waitcnt lgkmcnt(1)
	v_sub_f32_e32 v6, v34, v6
	v_pk_add_f32 v[4:5], v[24:25], v[4:5]
	v_mul_f32_e32 v6, v18, v6
	v_pk_add_f32 v[4:5], v[26:27], v[4:5]
	s_waitcnt lgkmcnt(0)
	v_mul_f32_e32 v6, v6, v2
	v_pk_add_f32 v[4:5], v[28:29], v[4:5]
	ds_bpermute_b32 v2, v76, v78 offset:60
	v_pk_add_f32 v[4:5], v[30:31], v[4:5]
	s_nop 0
	v_pk_add_f32 v[4:5], v[6:7], v[4:5]
	ds_bpermute_b32 v6, v76, v77 offset:60
	s_waitcnt lgkmcnt(0)
	v_sub_f32_e32 v6, v35, v6
	v_mul_f32_e32 v6, v19, v6
	v_mul_f32_e32 v18, v6, v2
	s_branch .LBB59_86
.LBB59_125:                             ;   in Loop: Header=BB59_87 Depth=1
                                        ; implicit-def: $vgpr4_vgpr5
                                        ; implicit-def: $vgpr18_vgpr19
	s_cbranch_execz .LBB59_86
; %bb.126:                              ;   in Loop: Header=BB59_87 Depth=1
	s_load_dword s9, s[4:5], 0x0
	v_mov_b32_e32 v77, 0
	v_mov_b32_e32 v18, 0
	s_waitcnt lgkmcnt(0)
	s_cmp_lt_u32 s2, s9
	s_cselect_b32 s9, 12, 18
	s_add_u32 s10, s4, s9
	s_addc_u32 s11, s5, 0
	global_load_ushort v2, v3, s[10:11]
	scratch_load_dword v4, off, off offset:184 ; 4-byte Folded Reload
	scratch_load_dword v5, off, off offset:188 ; 4-byte Folded Reload
	s_waitcnt vmcnt(0)
	v_mad_u32_u24 v2, v5, v2, v4
	v_and_b32_e32 v2, 63, v2
	v_cmp_gt_u32_e32 vcc, 16, v2
	s_and_saveexec_b64 s[10:11], vcc
	s_cbranch_execz .LBB59_85
; %bb.127:                              ;   in Loop: Header=BB59_87 Depth=1
	v_lshl_add_u64 v[4:5], v[74:75], 0, v[2:3]
	v_lshl_add_u64 v[4:5], v[4:5], 0, s[28:29]
	v_cmp_gt_i64_e32 vcc, s[24:25], v[4:5]
	v_mov_b32_e32 v18, 0
	v_mov_b32_e32 v77, 0
	s_and_saveexec_b64 s[12:13], vcc
	s_cbranch_execz .LBB59_84
; %bb.128:                              ;   in Loop: Header=BB59_87 Depth=1
	v_lshlrev_b64 v[4:5], 2, v[4:5]
	v_lshl_add_u64 v[6:7], s[38:39], 0, v[4:5]
	v_lshl_add_u64 v[4:5], s[36:37], 0, v[4:5]
	global_load_dword v18, v[4:5], off
	global_load_dword v77, v[6:7], off
	s_branch .LBB59_84
.LBB59_129:
	scratch_load_dword v0, off, off offset:200 ; 4-byte Folded Reload
.LBB59_130:
	s_waitcnt vmcnt(0)
	v_bfe_u32 v6, v0, 10, 10
	v_and_b32_e32 v0, 0x3ff, v0
	s_movk_i32 s3, 0x41
	v_mad_u32_u24 v1, v6, s3, v0
	v_lshl_add_u32 v1, v1, 2, 0
	v_lshrrev_b32_e32 v8, 6, v0
	ds_write_b32 v1, v50
	ds_write_b32 v1, v51 offset:4160
	v_add_u32_e32 v1, v8, v6
	s_mov_b32 s3, 0
	v_cmp_gt_u32_e32 vcc, 64, v1
	s_waitcnt lgkmcnt(0)
	s_barrier
	s_and_saveexec_b64 s[4:5], vcc
	s_cbranch_execz .LBB59_140
; %bb.131:
	v_and_b32_e32 v1, 63, v0
	s_load_dwordx4 s[4:7], s[0:1], 0x30
	v_cmp_gt_u32_e64 s[0:1], 16, v1
	v_mul_u32_u24_e32 v14, 0x41, v1
	v_mbcnt_lo_u32_b32 v1, -1, 0
	v_mbcnt_hi_u32_b32 v1, -1, v1
	v_and_b32_e32 v2, 64, v1
	v_add_u32_e32 v2, 64, v2
	s_lshl_b64 s[8:9], s[2:3], 6
	v_cmp_eq_u32_e64 s[2:3], 0, v0
	v_xor_b32_e32 v0, 8, v1
	v_cmp_lt_i32_e32 vcc, v0, v2
	v_mov_b32_e32 v9, 0
	v_mov_b32_e32 v7, v9
	v_cndmask_b32_e32 v0, v1, v0, vcc
	v_lshlrev_b32_e32 v10, 2, v0
	v_xor_b32_e32 v0, 4, v1
	v_cmp_lt_i32_e32 vcc, v0, v2
	s_waitcnt lgkmcnt(0)
	s_cmp_lg_u64 s[4:5], 0
	s_cselect_b64 s[12:13], -1, 0
	v_cndmask_b32_e32 v0, v1, v0, vcc
	v_lshlrev_b32_e32 v11, 2, v0
	v_xor_b32_e32 v0, 2, v1
	v_cmp_lt_i32_e32 vcc, v0, v2
	s_cmp_lg_u64 s[6:7], 0
	s_mov_b64 s[10:11], 0
	v_cndmask_b32_e32 v0, v1, v0, vcc
	v_lshlrev_b32_e32 v12, 2, v0
	v_xor_b32_e32 v0, 1, v1
	v_cmp_lt_i32_e32 vcc, v0, v2
	s_nop 1
	v_cndmask_b32_e32 v0, v1, v0, vcc
	v_lshlrev_b32_e32 v13, 2, v0
	v_lshl_add_u64 v[0:1], v[8:9], 0, v[6:7]
	v_lshl_add_u64 v[2:3], v[0:1], 0, s[8:9]
	v_lshlrev_b64 v[4:5], 2, v[2:3]
	v_add3_u32 v6, v14, v6, v8
	v_lshl_add_u64 v[2:3], s[6:7], 0, v[4:5]
	v_lshl_add_u32 v8, v6, 2, 0
	v_cndmask_b32_e64 v6, 0, 1, s[12:13]
	s_cselect_b64 s[6:7], -1, 0
	v_lshl_add_u64 v[4:5], s[4:5], 0, v[4:5]
	v_cmp_ne_u32_e64 s[4:5], 1, v6
	v_cndmask_b32_e64 v6, 0, 1, s[6:7]
	v_cmp_ne_u32_e64 s[6:7], 1, v6
                                        ; implicit-def: $vgpr6
	s_branch .LBB59_133
.LBB59_132:                             ;   in Loop: Header=BB59_133 Depth=1
	s_or_b64 exec, exec, s[12:13]
	v_lshl_add_u64 v[0:1], v[0:1], 0, 16
	v_add_u32_e32 v9, -16, v0
	v_cmp_lt_u32_e32 vcc, 47, v9
	v_lshl_add_u64 v[2:3], v[2:3], 0, 64
	v_lshl_add_u64 v[4:5], v[4:5], 0, 64
	s_or_b64 s[10:11], vcc, s[10:11]
	v_add_u32_e32 v8, 64, v8
	s_andn2_b64 exec, exec, s[10:11]
	s_cbranch_execz .LBB59_140
.LBB59_133:                             ; =>This Inner Loop Header: Depth=1
	s_and_saveexec_b64 s[12:13], s[0:1]
	s_cbranch_execz .LBB59_135
; %bb.134:                              ;   in Loop: Header=BB59_133 Depth=1
	ds_read_b32 v7, v8
	ds_read_b32 v6, v8 offset:4160
.LBB59_135:                             ;   in Loop: Header=BB59_133 Depth=1
	s_or_b64 exec, exec, s[12:13]
	s_waitcnt lgkmcnt(1)
	ds_bpermute_b32 v15, v10, v7
	s_waitcnt lgkmcnt(1)
	ds_bpermute_b32 v14, v10, v6
	v_lshl_add_u64 v[16:17], s[8:9], 0, v[0:1]
	v_cmp_gt_i64_e32 vcc, s[26:27], v[16:17]
	s_and_b64 s[14:15], s[2:3], vcc
	s_waitcnt lgkmcnt(0)
	v_pk_add_f32 v[6:7], v[6:7], v[14:15]
	ds_bpermute_b32 v15, v11, v7
	ds_bpermute_b32 v14, v11, v6
	s_waitcnt lgkmcnt(0)
	v_pk_add_f32 v[6:7], v[6:7], v[14:15]
	ds_bpermute_b32 v15, v12, v7
	ds_bpermute_b32 v14, v12, v6
	;; [unrolled: 4-line block ×3, first 2 shown]
	s_waitcnt lgkmcnt(0)
	v_pk_add_f32 v[6:7], v[6:7], v[14:15]
	s_and_saveexec_b64 s[12:13], s[14:15]
	s_cbranch_execz .LBB59_132
; %bb.136:                              ;   in Loop: Header=BB59_133 Depth=1
	s_and_b64 vcc, exec, s[4:5]
	s_cbranch_vccnz .LBB59_138
; %bb.137:                              ;   in Loop: Header=BB59_133 Depth=1
	global_store_dword v[4:5], v7, off
.LBB59_138:                             ;   in Loop: Header=BB59_133 Depth=1
	s_and_b64 vcc, exec, s[6:7]
	s_cbranch_vccnz .LBB59_132
; %bb.139:                              ;   in Loop: Header=BB59_133 Depth=1
	global_store_dword v[2:3], v6, off
	s_branch .LBB59_132
.LBB59_140:
	s_endpgm
	.section	.rodata,"a",@progbits
	.p2align	6, 0x0
	.amdhsa_kernel _ZN2at6native12_GLOBAL__N_135GammaBetaBackwardCUDAKernelTemplateIffLj64ELj16ELj256ELb0ELb0ELb0EEEvllPKT_S5_PKT0_S8_PS3_S9_
		.amdhsa_group_segment_fixed_size 0
		.amdhsa_private_segment_fixed_size 208
		.amdhsa_kernarg_size 320
		.amdhsa_user_sgpr_count 2
		.amdhsa_user_sgpr_dispatch_ptr 0
		.amdhsa_user_sgpr_queue_ptr 0
		.amdhsa_user_sgpr_kernarg_segment_ptr 1
		.amdhsa_user_sgpr_dispatch_id 0
		.amdhsa_user_sgpr_kernarg_preload_length 0
		.amdhsa_user_sgpr_kernarg_preload_offset 0
		.amdhsa_user_sgpr_private_segment_size 0
		.amdhsa_uses_dynamic_stack 0
		.amdhsa_enable_private_segment 1
		.amdhsa_system_sgpr_workgroup_id_x 1
		.amdhsa_system_sgpr_workgroup_id_y 1
		.amdhsa_system_sgpr_workgroup_id_z 0
		.amdhsa_system_sgpr_workgroup_info 0
		.amdhsa_system_vgpr_workitem_id 1
		.amdhsa_next_free_vgpr 128
		.amdhsa_next_free_sgpr 82
		.amdhsa_accum_offset 128
		.amdhsa_reserve_vcc 1
		.amdhsa_float_round_mode_32 0
		.amdhsa_float_round_mode_16_64 0
		.amdhsa_float_denorm_mode_32 3
		.amdhsa_float_denorm_mode_16_64 3
		.amdhsa_dx10_clamp 1
		.amdhsa_ieee_mode 1
		.amdhsa_fp16_overflow 0
		.amdhsa_tg_split 0
		.amdhsa_exception_fp_ieee_invalid_op 0
		.amdhsa_exception_fp_denorm_src 0
		.amdhsa_exception_fp_ieee_div_zero 0
		.amdhsa_exception_fp_ieee_overflow 0
		.amdhsa_exception_fp_ieee_underflow 0
		.amdhsa_exception_fp_ieee_inexact 0
		.amdhsa_exception_int_div_zero 0
	.end_amdhsa_kernel
	.section	.text._ZN2at6native12_GLOBAL__N_135GammaBetaBackwardCUDAKernelTemplateIffLj64ELj16ELj256ELb0ELb0ELb0EEEvllPKT_S5_PKT0_S8_PS3_S9_,"axG",@progbits,_ZN2at6native12_GLOBAL__N_135GammaBetaBackwardCUDAKernelTemplateIffLj64ELj16ELj256ELb0ELb0ELb0EEEvllPKT_S5_PKT0_S8_PS3_S9_,comdat
.Lfunc_end59:
	.size	_ZN2at6native12_GLOBAL__N_135GammaBetaBackwardCUDAKernelTemplateIffLj64ELj16ELj256ELb0ELb0ELb0EEEvllPKT_S5_PKT0_S8_PS3_S9_, .Lfunc_end59-_ZN2at6native12_GLOBAL__N_135GammaBetaBackwardCUDAKernelTemplateIffLj64ELj16ELj256ELb0ELb0ELb0EEEvllPKT_S5_PKT0_S8_PS3_S9_
                                        ; -- End function
	.section	.AMDGPU.csdata,"",@progbits
; Kernel info:
; codeLenInByte = 13760
; NumSgprs: 88
; NumVgprs: 128
; NumAgprs: 0
; TotalNumVgprs: 128
; ScratchSize: 208
; MemoryBound: 0
; FloatMode: 240
; IeeeMode: 1
; LDSByteSize: 0 bytes/workgroup (compile time only)
; SGPRBlocks: 10
; VGPRBlocks: 15
; NumSGPRsForWavesPerEU: 88
; NumVGPRsForWavesPerEU: 128
; AccumOffset: 128
; Occupancy: 4
; WaveLimiterHint : 0
; COMPUTE_PGM_RSRC2:SCRATCH_EN: 1
; COMPUTE_PGM_RSRC2:USER_SGPR: 2
; COMPUTE_PGM_RSRC2:TRAP_HANDLER: 0
; COMPUTE_PGM_RSRC2:TGID_X_EN: 1
; COMPUTE_PGM_RSRC2:TGID_Y_EN: 1
; COMPUTE_PGM_RSRC2:TGID_Z_EN: 0
; COMPUTE_PGM_RSRC2:TIDIG_COMP_CNT: 1
; COMPUTE_PGM_RSRC3_GFX90A:ACCUM_OFFSET: 31
; COMPUTE_PGM_RSRC3_GFX90A:TG_SPLIT: 0
	.section	.text._ZN2at6native12_GLOBAL__N_135GammaBetaBackwardCUDAKernelTemplateIffLj32ELj1ELj32ELb1ELb1ELb0EEEvllPKT_S5_PKT0_S8_PS3_S9_,"axG",@progbits,_ZN2at6native12_GLOBAL__N_135GammaBetaBackwardCUDAKernelTemplateIffLj32ELj1ELj32ELb1ELb1ELb0EEEvllPKT_S5_PKT0_S8_PS3_S9_,comdat
	.globl	_ZN2at6native12_GLOBAL__N_135GammaBetaBackwardCUDAKernelTemplateIffLj32ELj1ELj32ELb1ELb1ELb0EEEvllPKT_S5_PKT0_S8_PS3_S9_ ; -- Begin function _ZN2at6native12_GLOBAL__N_135GammaBetaBackwardCUDAKernelTemplateIffLj32ELj1ELj32ELb1ELb1ELb0EEEvllPKT_S5_PKT0_S8_PS3_S9_
	.p2align	8
	.type	_ZN2at6native12_GLOBAL__N_135GammaBetaBackwardCUDAKernelTemplateIffLj32ELj1ELj32ELb1ELb1ELb0EEEvllPKT_S5_PKT0_S8_PS3_S9_,@function
_ZN2at6native12_GLOBAL__N_135GammaBetaBackwardCUDAKernelTemplateIffLj32ELj1ELj32ELb1ELb1ELb0EEEvllPKT_S5_PKT0_S8_PS3_S9_: ; @_ZN2at6native12_GLOBAL__N_135GammaBetaBackwardCUDAKernelTemplateIffLj32ELj1ELj32ELb1ELb1ELb0EEEvllPKT_S5_PKT0_S8_PS3_S9_
; %bb.0:
	s_load_dwordx4 s[16:19], s[0:1], 0x0
	s_lshl_b32 s6, s3, 5
	s_mov_b32 s7, 0
	s_mov_b32 s4, s3
	v_bfe_u32 v1, v0, 10, 10
	s_waitcnt lgkmcnt(0)
	v_mov_b64_e32 v[2:3], s[16:17]
	v_cmp_lt_i64_e32 vcc, s[6:7], v[2:3]
	s_cbranch_vccnz .LBB60_2
; %bb.1:
	s_add_u32 s24, s0, 64
	s_addc_u32 s25, s1, 0
	s_mov_b64 s[8:9], 0
	v_bfe_u32 v2, v0, 10, 10
	s_branch .LBB60_3
.LBB60_2:
	s_mov_b64 s[8:9], -1
                                        ; implicit-def: $sgpr24_sgpr25
                                        ; implicit-def: $vgpr2
.LBB60_3:
	s_load_dwordx4 s[20:23], s[0:1], 0x30
	v_and_b32_e32 v0, 0x3ff, v0
	s_andn2_b64 vcc, exec, s[8:9]
	v_mov_b32_e32 v9, s7
	v_mov_b32_e32 v8, s7
	s_cbranch_vccnz .LBB60_11
; %bb.4:
	s_load_dword s3, s[0:1], 0x4c
	s_load_dword s5, s[0:1], 0x44
	s_load_dwordx8 s[8:15], s[0:1], 0x10
	s_add_u32 s24, s0, 64
	s_addc_u32 s25, s1, 0
	s_waitcnt lgkmcnt(0)
	s_and_b32 s0, s3, 0xffff
	v_mad_u32_u24 v2, v1, s0, v0
	v_lshlrev_b32_e32 v8, 5, v1
	v_mov_b32_e32 v9, 0
	v_mbcnt_lo_u32_b32 v4, -1, 0
	v_and_b32_e32 v2, 63, v2
	v_mov_b32_e32 v3, v9
	v_mbcnt_hi_u32_b32 v4, -1, v4
	s_lshl_b32 s26, s5, 5
	v_lshl_add_u64 v[10:11], v[8:9], 0, s[6:7]
	v_cmp_gt_u32_e64 s[0:1], 32, v2
	v_lshl_add_u32 v6, s2, 5, v0
	v_mov_b32_e32 v7, v9
	v_lshlrev_b32_e32 v4, 2, v4
	v_lshl_add_u64 v[2:3], v[10:11], 0, v[2:3]
	v_mul_lo_u32 v8, s19, v10
	v_mul_lo_u32 v12, s18, v11
	v_mad_u64_u32 v[10:11], s[30:31], s18, v10, 0
	s_mul_i32 s3, s19, s26
	s_mul_hi_u32 s5, s18, s26
	s_mov_b32 s27, 0
	v_and_b32_e32 v14, 0x100, v4
	v_add3_u32 v11, v11, v12, v8
	v_lshlrev_b64 v[6:7], 2, v[6:7]
	s_add_i32 s31, s5, s3
	s_mul_i32 s30, s18, s26
	v_or_b32_e32 v15, 4, v14
	v_or_b32_e32 v16, 8, v14
	;; [unrolled: 1-line block ×31, first 2 shown]
	v_lshlrev_b64 v[4:5], 2, v[2:3]
	s_lshl_b64 s[28:29], s[26:27], 2
	v_lshl_add_u64 v[6:7], v[10:11], 2, v[6:7]
	s_lshl_b64 s[30:31], s[30:31], 2
	s_lshl_b64 s[34:35], s[18:19], 2
	v_mov_b32_e32 v8, v9
	s_branch .LBB60_7
.LBB60_5:                               ;   in Loop: Header=BB60_7 Depth=1
	s_or_b64 exec, exec, s[38:39]
.LBB60_6:                               ;   in Loop: Header=BB60_7 Depth=1
	s_or_b64 exec, exec, s[36:37]
	v_lshl_add_u64 v[10:11], s[10:11], 0, v[6:7]
	v_lshl_add_u64 v[48:49], v[10:11], 0, s[34:35]
	global_load_dword v12, v[10:11], off
	global_load_dword v52, v[48:49], off
	v_lshl_add_u64 v[10:11], s[8:9], 0, v[6:7]
	global_load_dword v13, v[10:11], off
	v_lshl_add_u64 v[50:51], v[10:11], 0, s[34:35]
	;; [unrolled: 2-line block ×3, first 2 shown]
	v_lshl_add_u64 v[50:51], v[50:51], 0, s[34:35]
	global_load_dword v54, v[48:49], off
	global_load_dword v53, v[50:51], off
	v_lshl_add_u64 v[48:49], v[48:49], 0, s[34:35]
	global_load_dword v56, v[48:49], off
	v_lshl_add_u64 v[50:51], v[50:51], 0, s[34:35]
	;; [unrolled: 2-line block ×3, first 2 shown]
	v_lshl_add_u64 v[50:51], v[50:51], 0, s[34:35]
	global_load_dword v65, v[48:49], off
	s_waitcnt vmcnt(10)
	ds_bpermute_b32 v10, v14, v47
	ds_bpermute_b32 v59, v15, v47
	global_load_dword v57, v[50:51], off
	s_waitcnt vmcnt(10)
	ds_bpermute_b32 v58, v14, v46
	ds_bpermute_b32 v60, v15, v46
	v_lshl_add_u64 v[48:49], v[48:49], 0, s[34:35]
	v_lshl_add_u64 v[50:51], v[50:51], 0, s[34:35]
	global_load_dword v66, v[48:49], off
	ds_bpermute_b32 v61, v16, v47
	ds_bpermute_b32 v62, v16, v46
	v_lshl_add_u64 v[48:49], v[48:49], 0, s[34:35]
	ds_bpermute_b32 v63, v17, v47
	ds_bpermute_b32 v64, v17, v46
	;; [unrolled: 1-line block ×4, first 2 shown]
	s_add_u32 s6, s6, s26
	s_addc_u32 s7, s7, 0
	v_lshl_add_u64 v[4:5], v[4:5], 0, s[28:29]
	v_lshl_add_u64 v[2:3], v[2:3], 0, s[26:27]
	v_lshl_add_u64 v[6:7], v[6:7], 0, s[30:31]
	s_waitcnt vmcnt(10) lgkmcnt(9)
	v_sub_f32_e32 v10, v12, v10
	s_waitcnt vmcnt(9) lgkmcnt(8)
	v_sub_f32_e32 v52, v52, v59
	global_load_dword v59, v[50:51], off
	s_waitcnt vmcnt(9)
	v_mul_f32_e32 v10, v13, v10
	s_waitcnt lgkmcnt(7)
	v_mul_f32_e32 v12, v10, v58
	s_waitcnt vmcnt(8)
	v_mul_f32_e32 v10, v11, v52
	s_waitcnt lgkmcnt(6)
	v_mul_f32_e32 v10, v10, v60
	global_load_dword v60, v[48:49], off
	v_lshl_add_u64 v[50:51], v[50:51], 0, s[34:35]
	v_pk_add_f32 v[8:9], v[8:9], v[12:13]
	global_load_dword v13, v[50:51], off
	v_lshl_add_u64 v[48:49], v[48:49], 0, s[34:35]
	s_waitcnt vmcnt(9) lgkmcnt(5)
	v_sub_f32_e32 v12, v54, v61
	v_lshl_add_u64 v[50:51], v[50:51], 0, s[34:35]
	global_load_dword v67, v[48:49], off
	s_waitcnt vmcnt(9)
	v_mul_f32_e32 v12, v53, v12
	v_lshl_add_u64 v[48:49], v[48:49], 0, s[34:35]
	s_waitcnt lgkmcnt(4)
	v_mul_f32_e32 v52, v12, v62
	global_load_dword v61, v[50:51], off
	v_lshl_add_u64 v[50:51], v[50:51], 0, s[34:35]
	global_load_dword v62, v[48:49], off
	v_lshl_add_u64 v[48:49], v[48:49], 0, s[34:35]
	v_pk_add_f32 v[8:9], v[8:9], v[10:11]
	global_load_dword v11, v[50:51], off
	v_lshl_add_u64 v[50:51], v[50:51], 0, s[34:35]
	global_load_dword v68, v[48:49], off
	s_waitcnt vmcnt(12) lgkmcnt(3)
	v_sub_f32_e32 v10, v56, v63
	global_load_dword v63, v[50:51], off
	s_waitcnt vmcnt(12)
	v_mul_f32_e32 v10, v55, v10
	s_waitcnt lgkmcnt(2)
	v_mul_f32_e32 v54, v10, v64
	ds_bpermute_b32 v10, v18, v47
	ds_bpermute_b32 v12, v18, v46
	v_pk_add_f32 v[8:9], v[8:9], v[52:53]
	ds_bpermute_b32 v52, v19, v47
	ds_bpermute_b32 v53, v20, v46
	s_waitcnt vmcnt(11) lgkmcnt(3)
	v_sub_f32_e32 v10, v65, v10
	s_waitcnt vmcnt(10)
	v_mul_f32_e32 v10, v57, v10
	s_waitcnt lgkmcnt(2)
	v_mul_f32_e32 v56, v10, v12
	ds_bpermute_b32 v10, v19, v46
	ds_bpermute_b32 v12, v20, v47
	s_waitcnt vmcnt(9) lgkmcnt(3)
	v_sub_f32_e32 v52, v66, v52
	ds_bpermute_b32 v64, v23, v47
	ds_bpermute_b32 v65, v23, v46
	v_lshl_add_u64 v[48:49], v[48:49], 0, s[34:35]
	v_lshl_add_u64 v[50:51], v[50:51], 0, s[34:35]
	v_pk_add_f32 v[8:9], v[8:9], v[54:55]
	s_waitcnt vmcnt(8)
	v_mul_f32_e32 v52, v59, v52
	s_waitcnt lgkmcnt(3)
	v_mul_f32_e32 v58, v52, v10
	ds_bpermute_b32 v10, v21, v47
	ds_bpermute_b32 v52, v21, v46
	v_pk_add_f32 v[8:9], v[8:9], v[56:57]
	s_waitcnt vmcnt(7) lgkmcnt(4)
	v_sub_f32_e32 v12, v60, v12
	ds_bpermute_b32 v60, v22, v47
	v_pk_add_f32 v[8:9], v[8:9], v[58:59]
	s_waitcnt vmcnt(6)
	v_mul_f32_e32 v12, v13, v12
	v_mul_f32_e32 v12, v12, v53
	ds_bpermute_b32 v53, v22, v46
	v_pk_add_f32 v[8:9], v[8:9], v[12:13]
	s_waitcnt vmcnt(5) lgkmcnt(3)
	v_sub_f32_e32 v10, v67, v10
	ds_bpermute_b32 v67, v31, v46
	s_waitcnt vmcnt(4)
	v_mul_f32_e32 v10, v61, v10
	s_waitcnt vmcnt(3) lgkmcnt(2)
	v_sub_f32_e32 v62, v62, v60
	v_mul_f32_e32 v60, v10, v52
	v_pk_add_f32 v[8:9], v[8:9], v[60:61]
	s_waitcnt vmcnt(2)
	v_mul_f32_e32 v10, v11, v62
	s_waitcnt lgkmcnt(1)
	v_mul_f32_e32 v10, v10, v53
	s_waitcnt vmcnt(1)
	v_sub_f32_e32 v52, v68, v64
	global_load_dword v53, v[50:51], off
	s_waitcnt vmcnt(1)
	v_mul_f32_e32 v52, v63, v52
	v_mul_f32_e32 v62, v52, v65
	global_load_dword v52, v[48:49], off
	v_lshl_add_u64 v[48:49], v[48:49], 0, s[34:35]
	global_load_dword v64, v[48:49], off
	v_lshl_add_u64 v[50:51], v[50:51], 0, s[34:35]
	;; [unrolled: 2-line block ×10, first 2 shown]
	global_load_dword v59, v[12:13], off
	v_pk_add_f32 v[8:9], v[8:9], v[10:11]
	ds_bpermute_b32 v10, v24, v47
	ds_bpermute_b32 v11, v24, v46
	ds_bpermute_b32 v50, v25, v47
	v_pk_add_f32 v[8:9], v[8:9], v[62:63]
	ds_bpermute_b32 v61, v26, v46
	ds_bpermute_b32 v62, v27, v47
	v_lshl_add_u64 v[12:13], v[12:13], 0, s[34:35]
	s_waitcnt vmcnt(10) lgkmcnt(4)
	v_sub_f32_e32 v10, v52, v10
	v_mul_f32_e32 v10, v53, v10
	s_waitcnt lgkmcnt(3)
	v_mul_f32_e32 v52, v10, v11
	s_waitcnt vmcnt(9) lgkmcnt(2)
	v_sub_f32_e32 v10, v64, v50
	ds_bpermute_b32 v11, v25, v46
	ds_bpermute_b32 v50, v26, v47
	s_waitcnt vmcnt(8)
	v_mul_f32_e32 v10, v55, v10
	v_pk_add_f32 v[8:9], v[8:9], v[52:53]
	s_waitcnt lgkmcnt(1)
	v_mul_f32_e32 v54, v10, v11
	s_waitcnt vmcnt(7) lgkmcnt(0)
	v_sub_f32_e32 v10, v56, v50
	s_waitcnt vmcnt(6)
	v_mul_f32_e32 v10, v57, v10
	v_mul_f32_e32 v56, v10, v61
	s_waitcnt vmcnt(5)
	v_sub_f32_e32 v10, v66, v62
	ds_bpermute_b32 v50, v27, v46
	s_waitcnt vmcnt(4)
	v_mul_f32_e32 v61, v65, v10
	v_lshl_add_u64 v[10:11], v[48:49], 0, s[34:35]
	global_load_dword v48, v[10:11], off
	ds_bpermute_b32 v62, v28, v47
	s_waitcnt lgkmcnt(1)
	v_mul_f32_e32 v64, v61, v50
	ds_bpermute_b32 v50, v28, v46
	global_load_dword v49, v[12:13], off
	v_lshl_add_u64 v[10:11], v[10:11], 0, s[34:35]
	s_waitcnt vmcnt(5) lgkmcnt(1)
	v_sub_f32_e32 v58, v58, v62
	s_waitcnt vmcnt(4)
	v_mul_f32_e32 v58, v51, v58
	s_waitcnt lgkmcnt(0)
	v_mul_f32_e32 v50, v58, v50
	ds_bpermute_b32 v58, v29, v47
	ds_bpermute_b32 v62, v29, v46
	global_load_dword v66, v[10:11], off
	v_lshl_add_u64 v[12:13], v[12:13], 0, s[34:35]
	global_load_dword v61, v[12:13], off
	s_waitcnt vmcnt(5) lgkmcnt(1)
	v_sub_f32_e32 v58, v60, v58
	s_waitcnt vmcnt(4)
	v_mul_f32_e32 v58, v59, v58
	v_lshl_add_u64 v[10:11], v[10:11], 0, s[34:35]
	s_waitcnt lgkmcnt(0)
	v_mul_f32_e32 v58, v58, v62
	global_load_dword v62, v[10:11], off
	v_lshl_add_u64 v[12:13], v[12:13], 0, s[34:35]
	global_load_dword v63, v[12:13], off
	ds_bpermute_b32 v60, v30, v47
	v_lshl_add_u64 v[10:11], v[10:11], 0, s[34:35]
	global_load_dword v68, v[10:11], off
	v_lshl_add_u64 v[12:13], v[12:13], 0, s[34:35]
	v_lshl_add_u64 v[10:11], v[10:11], 0, s[34:35]
	v_pk_add_f32 v[8:9], v[8:9], v[54:55]
	s_waitcnt vmcnt(6) lgkmcnt(0)
	v_sub_f32_e32 v48, v48, v60
	ds_bpermute_b32 v60, v30, v46
	v_pk_add_f32 v[8:9], v[8:9], v[56:57]
	ds_bpermute_b32 v57, v36, v47
	s_waitcnt vmcnt(5)
	v_mul_f32_e32 v48, v49, v48
	v_pk_add_f32 v[8:9], v[8:9], v[64:65]
	s_waitcnt lgkmcnt(1)
	v_mul_f32_e32 v48, v48, v60
	ds_bpermute_b32 v60, v31, v47
	v_pk_add_f32 v[8:9], v[8:9], v[50:51]
	ds_bpermute_b32 v65, v39, v46
	v_pk_add_f32 v[8:9], v[8:9], v[58:59]
	s_waitcnt vmcnt(4) lgkmcnt(1)
	v_sub_f32_e32 v60, v66, v60
	ds_bpermute_b32 v66, v32, v47
	s_waitcnt vmcnt(3)
	v_mul_f32_e32 v60, v61, v60
	v_mul_f32_e32 v60, v60, v67
	ds_bpermute_b32 v67, v32, v46
	v_pk_add_f32 v[8:9], v[8:9], v[48:49]
	s_waitcnt vmcnt(2) lgkmcnt(1)
	v_sub_f32_e32 v62, v62, v66
	ds_bpermute_b32 v66, v33, v47
	s_waitcnt vmcnt(1)
	v_mul_f32_e32 v62, v63, v62
	s_waitcnt lgkmcnt(1)
	v_mul_f32_e32 v62, v62, v67
	global_load_dword v67, v[12:13], off
	v_lshl_add_u64 v[12:13], v[12:13], 0, s[34:35]
	s_waitcnt vmcnt(1) lgkmcnt(0)
	v_sub_f32_e32 v66, v68, v66
	ds_bpermute_b32 v68, v33, v46
	ds_bpermute_b32 v48, v35, v47
	v_pk_add_f32 v[8:9], v[8:9], v[60:61]
	s_waitcnt vmcnt(0)
	v_mul_f32_e32 v66, v67, v66
	s_waitcnt lgkmcnt(1)
	v_mul_f32_e32 v66, v66, v68
	global_load_dword v68, v[10:11], off
	v_lshl_add_u64 v[10:11], v[10:11], 0, s[34:35]
	global_load_dword v52, v[10:11], off
	v_lshl_add_u64 v[10:11], v[10:11], 0, s[34:35]
	;; [unrolled: 2-line block ×7, first 2 shown]
	v_pk_add_f32 v[8:9], v[8:9], v[62:63]
	global_load_dword v62, v[10:11], off
	ds_bpermute_b32 v63, v37, v46
	v_lshl_add_u64 v[10:11], v[10:11], 0, s[34:35]
	global_load_dword v64, v[10:11], off
	v_pk_add_f32 v[8:9], v[8:9], v[66:67]
	ds_bpermute_b32 v66, v41, v47
	v_lshl_add_u64 v[10:11], v[10:11], 0, s[34:35]
	ds_bpermute_b32 v67, v42, v46
	s_waitcnt vmcnt(8)
	v_sub_f32_e32 v68, v68, v69
	global_load_dword v69, v[12:13], off
	v_lshl_add_u64 v[12:13], v[12:13], 0, s[34:35]
	global_load_dword v53, v[12:13], off
	v_lshl_add_u64 v[12:13], v[12:13], 0, s[34:35]
	;; [unrolled: 2-line block ×4, first 2 shown]
	global_load_dword v49, v[12:13], off
	s_waitcnt vmcnt(12) lgkmcnt(3)
	v_sub_f32_e32 v48, v52, v48
	ds_bpermute_b32 v52, v35, v46
	v_lshl_add_u64 v[12:13], v[12:13], 0, s[34:35]
	s_waitcnt vmcnt(6) lgkmcnt(2)
	v_sub_f32_e32 v62, v62, v66
	global_load_dword v66, v[10:11], off
	v_lshl_add_u64 v[10:11], v[10:11], 0, s[34:35]
	s_waitcnt vmcnt(5)
	v_mul_f32_e32 v68, v69, v68
	v_mul_f32_e32 v68, v68, v70
	s_waitcnt vmcnt(4)
	v_mul_f32_e32 v48, v53, v48
	s_waitcnt lgkmcnt(0)
	v_mul_f32_e32 v52, v48, v52
	v_sub_f32_e32 v48, v54, v57
	ds_bpermute_b32 v54, v36, v46
	global_load_dword v57, v[12:13], off
	v_lshl_add_u64 v[12:13], v[12:13], 0, s[34:35]
	s_waitcnt vmcnt(4)
	v_mul_f32_e32 v48, v55, v48
	global_load_dword v59, v[12:13], off
	v_lshl_add_u64 v[12:13], v[12:13], 0, s[34:35]
	s_waitcnt lgkmcnt(0)
	v_mul_f32_e32 v54, v48, v54
	ds_bpermute_b32 v48, v37, v47
	global_load_dword v61, v[12:13], off
	v_lshl_add_u64 v[12:13], v[12:13], 0, s[34:35]
	v_pk_add_f32 v[8:9], v[8:9], v[68:69]
	global_load_dword v68, v[10:11], off
	s_waitcnt lgkmcnt(0)
	v_sub_f32_e32 v48, v50, v48
	s_waitcnt vmcnt(6)
	v_mul_f32_e32 v48, v51, v48
	v_mul_f32_e32 v50, v48, v63
	global_load_dword v63, v[12:13], off
	ds_bpermute_b32 v48, v38, v47
	v_lshl_add_u64 v[12:13], v[12:13], 0, s[34:35]
	v_lshl_add_u64 v[10:11], v[10:11], 0, s[34:35]
	global_load_dword v69, v[10:11], off
	v_pk_add_f32 v[8:9], v[8:9], v[52:53]
	s_waitcnt lgkmcnt(0)
	v_sub_f32_e32 v48, v56, v48
	ds_bpermute_b32 v56, v38, v46
	s_waitcnt vmcnt(7)
	v_mul_f32_e32 v48, v49, v48
	v_pk_add_f32 v[8:9], v[8:9], v[54:55]
	s_waitcnt lgkmcnt(0)
	v_mul_f32_e32 v48, v48, v56
	ds_bpermute_b32 v56, v39, v47
	v_pk_add_f32 v[8:9], v[8:9], v[50:51]
	s_waitcnt lgkmcnt(0)
	v_sub_f32_e32 v56, v58, v56
	ds_bpermute_b32 v58, v40, v47
	v_pk_add_f32 v[8:9], v[8:9], v[48:49]
	s_waitcnt lgkmcnt(0)
	v_sub_f32_e32 v58, v60, v58
	ds_bpermute_b32 v60, v41, v46
	s_waitcnt vmcnt(5)
	v_mul_f32_e32 v56, v57, v56
	v_mul_f32_e32 v56, v56, v65
	ds_bpermute_b32 v65, v40, v46
	s_waitcnt vmcnt(4)
	v_mul_f32_e32 v58, v59, v58
	v_pk_add_f32 v[8:9], v[8:9], v[56:57]
	s_waitcnt vmcnt(3)
	v_mul_f32_e32 v62, v61, v62
	s_waitcnt lgkmcnt(0)
	v_mul_f32_e32 v58, v58, v65
	v_mul_f32_e32 v60, v62, v60
	ds_bpermute_b32 v62, v42, v47
	global_load_dword v65, v[12:13], off
	v_lshl_add_u64 v[12:13], v[12:13], 0, s[34:35]
	v_lshl_add_u64 v[10:11], v[12:13], 0, s[34:35]
	global_load_dword v11, v[10:11], off
	s_waitcnt lgkmcnt(0)
	v_sub_f32_e32 v62, v64, v62
	s_waitcnt vmcnt(3)
	v_mul_f32_e32 v62, v63, v62
	v_mul_f32_e32 v62, v62, v67
	global_load_dword v67, v[12:13], off
	ds_bpermute_b32 v10, v43, v47
	ds_bpermute_b32 v12, v43, v46
	v_pk_add_f32 v[8:9], v[8:9], v[58:59]
	s_waitcnt lgkmcnt(1)
	v_sub_f32_e32 v10, v66, v10
	v_pk_add_f32 v[8:9], v[8:9], v[60:61]
	s_waitcnt vmcnt(2)
	v_mul_f32_e32 v10, v65, v10
	s_waitcnt lgkmcnt(0)
	v_mul_f32_e32 v64, v10, v12
	ds_bpermute_b32 v10, v44, v47
	ds_bpermute_b32 v12, v44, v46
	v_pk_add_f32 v[8:9], v[8:9], v[62:63]
	s_waitcnt lgkmcnt(1)
	v_sub_f32_e32 v10, v68, v10
	s_waitcnt vmcnt(0)
	v_mul_f32_e32 v10, v67, v10
	s_waitcnt lgkmcnt(0)
	v_mul_f32_e32 v66, v10, v12
	ds_bpermute_b32 v10, v45, v47
	ds_bpermute_b32 v12, v45, v46
	v_pk_add_f32 v[8:9], v[8:9], v[64:65]
	s_waitcnt lgkmcnt(1)
	v_sub_f32_e32 v10, v69, v10
	v_mul_f32_e32 v10, v11, v10
	v_pk_add_f32 v[8:9], v[8:9], v[66:67]
	s_waitcnt lgkmcnt(0)
	v_mul_f32_e32 v10, v10, v12
	v_pk_add_f32 v[8:9], v[8:9], v[10:11]
	v_mov_b64_e32 v[10:11], s[16:17]
	v_cmp_lt_i64_e32 vcc, s[6:7], v[10:11]
	s_cbranch_vccz .LBB60_10
.LBB60_7:                               ; =>This Inner Loop Header: Depth=1
	v_mov_b32_e32 v46, 0
	v_mov_b32_e32 v47, 0
	s_and_saveexec_b64 s[36:37], s[0:1]
	s_cbranch_execz .LBB60_6
; %bb.8:                                ;   in Loop: Header=BB60_7 Depth=1
	v_cmp_gt_i64_e32 vcc, s[16:17], v[2:3]
	v_mov_b32_e32 v47, 0
	v_mov_b32_e32 v46, 0
	s_and_saveexec_b64 s[38:39], vcc
	s_cbranch_execz .LBB60_5
; %bb.9:                                ;   in Loop: Header=BB60_7 Depth=1
	v_lshl_add_u64 v[12:13], s[12:13], 0, v[4:5]
	v_lshl_add_u64 v[10:11], s[14:15], 0, v[4:5]
	global_load_dword v47, v[12:13], off
	global_load_dword v46, v[10:11], off
	s_branch .LBB60_5
.LBB60_10:
	v_mov_b32_e32 v2, v1
.LBB60_11:
	s_load_dword s5, s[24:25], 0xc
	s_mov_b32 s3, 0
	v_mov_b32_e32 v1, 0
	s_lshl_b64 s[0:1], s[2:3], 5
	v_lshl_add_u64 v[4:5], s[0:1], 0, v[0:1]
	s_waitcnt lgkmcnt(0)
	s_lshr_b32 s0, s5, 16
	v_mov_b32_e32 v3, v1
	v_mov_b32_e32 v0, s4
	v_mad_u64_u32 v[0:1], s[0:1], s0, v0, v[2:3]
	s_cmp_eq_u64 s[20:21], 0
	v_mul_lo_u32 v1, v1, s18
	v_mul_lo_u32 v2, v0, s19
	s_cbranch_scc1 .LBB60_13
; %bb.12:
	v_mad_u64_u32 v[6:7], s[0:1], v0, s18, 0
	v_add3_u32 v7, v7, v2, v1
	v_lshl_add_u64 v[6:7], v[6:7], 2, s[20:21]
	v_lshl_add_u64 v[6:7], v[4:5], 2, v[6:7]
	global_store_dword v[6:7], v8, off
.LBB60_13:
	s_cmp_eq_u64 s[22:23], 0
	s_cbranch_scc1 .LBB60_15
; %bb.14:
	v_mad_u64_u32 v[6:7], s[0:1], v0, s18, 0
	v_add3_u32 v7, v7, v2, v1
	v_lshl_add_u64 v[0:1], v[6:7], 2, s[22:23]
	v_lshl_add_u64 v[0:1], v[4:5], 2, v[0:1]
	global_store_dword v[0:1], v9, off
.LBB60_15:
	s_endpgm
	.section	.rodata,"a",@progbits
	.p2align	6, 0x0
	.amdhsa_kernel _ZN2at6native12_GLOBAL__N_135GammaBetaBackwardCUDAKernelTemplateIffLj32ELj1ELj32ELb1ELb1ELb0EEEvllPKT_S5_PKT0_S8_PS3_S9_
		.amdhsa_group_segment_fixed_size 0
		.amdhsa_private_segment_fixed_size 0
		.amdhsa_kernarg_size 320
		.amdhsa_user_sgpr_count 2
		.amdhsa_user_sgpr_dispatch_ptr 0
		.amdhsa_user_sgpr_queue_ptr 0
		.amdhsa_user_sgpr_kernarg_segment_ptr 1
		.amdhsa_user_sgpr_dispatch_id 0
		.amdhsa_user_sgpr_kernarg_preload_length 0
		.amdhsa_user_sgpr_kernarg_preload_offset 0
		.amdhsa_user_sgpr_private_segment_size 0
		.amdhsa_uses_dynamic_stack 0
		.amdhsa_enable_private_segment 0
		.amdhsa_system_sgpr_workgroup_id_x 1
		.amdhsa_system_sgpr_workgroup_id_y 1
		.amdhsa_system_sgpr_workgroup_id_z 0
		.amdhsa_system_sgpr_workgroup_info 0
		.amdhsa_system_vgpr_workitem_id 1
		.amdhsa_next_free_vgpr 71
		.amdhsa_next_free_sgpr 40
		.amdhsa_accum_offset 72
		.amdhsa_reserve_vcc 1
		.amdhsa_float_round_mode_32 0
		.amdhsa_float_round_mode_16_64 0
		.amdhsa_float_denorm_mode_32 3
		.amdhsa_float_denorm_mode_16_64 3
		.amdhsa_dx10_clamp 1
		.amdhsa_ieee_mode 1
		.amdhsa_fp16_overflow 0
		.amdhsa_tg_split 0
		.amdhsa_exception_fp_ieee_invalid_op 0
		.amdhsa_exception_fp_denorm_src 0
		.amdhsa_exception_fp_ieee_div_zero 0
		.amdhsa_exception_fp_ieee_overflow 0
		.amdhsa_exception_fp_ieee_underflow 0
		.amdhsa_exception_fp_ieee_inexact 0
		.amdhsa_exception_int_div_zero 0
	.end_amdhsa_kernel
	.section	.text._ZN2at6native12_GLOBAL__N_135GammaBetaBackwardCUDAKernelTemplateIffLj32ELj1ELj32ELb1ELb1ELb0EEEvllPKT_S5_PKT0_S8_PS3_S9_,"axG",@progbits,_ZN2at6native12_GLOBAL__N_135GammaBetaBackwardCUDAKernelTemplateIffLj32ELj1ELj32ELb1ELb1ELb0EEEvllPKT_S5_PKT0_S8_PS3_S9_,comdat
.Lfunc_end60:
	.size	_ZN2at6native12_GLOBAL__N_135GammaBetaBackwardCUDAKernelTemplateIffLj32ELj1ELj32ELb1ELb1ELb0EEEvllPKT_S5_PKT0_S8_PS3_S9_, .Lfunc_end60-_ZN2at6native12_GLOBAL__N_135GammaBetaBackwardCUDAKernelTemplateIffLj32ELj1ELj32ELb1ELb1ELb0EEEvllPKT_S5_PKT0_S8_PS3_S9_
                                        ; -- End function
	.section	.AMDGPU.csdata,"",@progbits
; Kernel info:
; codeLenInByte = 3332
; NumSgprs: 46
; NumVgprs: 71
; NumAgprs: 0
; TotalNumVgprs: 71
; ScratchSize: 0
; MemoryBound: 0
; FloatMode: 240
; IeeeMode: 1
; LDSByteSize: 0 bytes/workgroup (compile time only)
; SGPRBlocks: 5
; VGPRBlocks: 8
; NumSGPRsForWavesPerEU: 46
; NumVGPRsForWavesPerEU: 71
; AccumOffset: 72
; Occupancy: 7
; WaveLimiterHint : 0
; COMPUTE_PGM_RSRC2:SCRATCH_EN: 0
; COMPUTE_PGM_RSRC2:USER_SGPR: 2
; COMPUTE_PGM_RSRC2:TRAP_HANDLER: 0
; COMPUTE_PGM_RSRC2:TGID_X_EN: 1
; COMPUTE_PGM_RSRC2:TGID_Y_EN: 1
; COMPUTE_PGM_RSRC2:TGID_Z_EN: 0
; COMPUTE_PGM_RSRC2:TIDIG_COMP_CNT: 1
; COMPUTE_PGM_RSRC3_GFX90A:ACCUM_OFFSET: 17
; COMPUTE_PGM_RSRC3_GFX90A:TG_SPLIT: 0
	.section	.text._ZN2at6native12_GLOBAL__N_135GammaBetaBackwardCUDAKernelTemplateIffLj32ELj1ELj32ELb1ELb0ELb0EEEvllPKT_S5_PKT0_S8_PS3_S9_,"axG",@progbits,_ZN2at6native12_GLOBAL__N_135GammaBetaBackwardCUDAKernelTemplateIffLj32ELj1ELj32ELb1ELb0ELb0EEEvllPKT_S5_PKT0_S8_PS3_S9_,comdat
	.globl	_ZN2at6native12_GLOBAL__N_135GammaBetaBackwardCUDAKernelTemplateIffLj32ELj1ELj32ELb1ELb0ELb0EEEvllPKT_S5_PKT0_S8_PS3_S9_ ; -- Begin function _ZN2at6native12_GLOBAL__N_135GammaBetaBackwardCUDAKernelTemplateIffLj32ELj1ELj32ELb1ELb0ELb0EEEvllPKT_S5_PKT0_S8_PS3_S9_
	.p2align	8
	.type	_ZN2at6native12_GLOBAL__N_135GammaBetaBackwardCUDAKernelTemplateIffLj32ELj1ELj32ELb1ELb0ELb0EEEvllPKT_S5_PKT0_S8_PS3_S9_,@function
_ZN2at6native12_GLOBAL__N_135GammaBetaBackwardCUDAKernelTemplateIffLj32ELj1ELj32ELb1ELb0ELb0EEEvllPKT_S5_PKT0_S8_PS3_S9_: ; @_ZN2at6native12_GLOBAL__N_135GammaBetaBackwardCUDAKernelTemplateIffLj32ELj1ELj32ELb1ELb0ELb0EEEvllPKT_S5_PKT0_S8_PS3_S9_
; %bb.0:
	s_load_dwordx8 s[12:19], s[0:1], 0x0
	s_load_dwordx4 s[20:23], s[0:1], 0x20
	s_mov_b32 s8, s3
	s_lshl_b32 s3, s2, 5
	s_or_b32 s10, s3, 31
	s_mov_b32 s11, 0
	s_waitcnt lgkmcnt(0)
	v_mov_b64_e32 v[2:3], s[14:15]
	v_cmp_ge_i64_e32 vcc, s[10:11], v[2:3]
	s_lshl_b32 s10, s8, 5
	v_mov_b64_e32 v[2:3], s[12:13]
	v_cmp_lt_i64_e64 s[4:5], s[10:11], v[2:3]
	s_nop 1
	v_cndmask_b32_e64 v1, 0, 1, s[4:5]
	v_cmp_ne_u32_e64 s[4:5], 1, v1
	s_cbranch_vccz .LBB61_144
; %bb.1:
	v_mov_b32_e32 v3, 0
	s_and_b64 vcc, exec, s[4:5]
	v_mov_b32_e32 v2, v3
	s_cbranch_vccnz .LBB61_146
; %bb.2:
	v_mov_b32_e32 v215, 0
	v_bfe_u32 v203, v0, 10, 10
	v_lshlrev_b32_e32 v4, 5, v203
	v_mov_b32_e32 v5, v215
	v_lshl_add_u64 v[2:3], v[4:5], 0, s[10:11]
	v_lshl_add_u64 v[8:9], v[2:3], 0, 31
	v_and_b32_e32 v202, 0x3ff, v0
	v_mov_b32_e32 v212, v0
	v_mul_lo_u32 v0, s15, v8
	v_mul_lo_u32 v10, s14, v9
	v_mad_u64_u32 v[8:9], s[30:31], s14, v8, 0
	v_lshl_add_u64 v[12:13], v[2:3], 0, 30
	v_add3_u32 v9, v9, v10, v0
	v_mul_lo_u32 v0, s15, v12
	v_mul_lo_u32 v14, s14, v13
	v_mad_u64_u32 v[12:13], s[34:35], s14, v12, 0
	v_lshl_add_u64 v[16:17], v[2:3], 0, 29
	v_add3_u32 v13, v13, v14, v0
	;; [unrolled: 5-line block ×25, first 2 shown]
	v_mul_lo_u32 v0, s15, v108
	v_mul_lo_u32 v110, s14, v109
	v_mad_u64_u32 v[108:109], s[34:35], s14, v108, 0
	v_lshl_add_u64 v[112:113], v[2:3], 0, 5
	s_load_dword s9, s[0:1], 0x44
	v_add3_u32 v109, v109, v110, v0
	v_mul_lo_u32 v0, s15, v112
	v_mul_lo_u32 v114, s14, v113
	v_mad_u64_u32 v[112:113], s[34:35], s14, v112, 0
	v_lshl_add_u64 v[116:117], v[2:3], 0, 4
	v_add3_u32 v113, v113, v114, v0
	v_mul_lo_u32 v0, s15, v116
	v_mul_lo_u32 v118, s14, v117
	v_mad_u64_u32 v[116:117], s[34:35], s14, v116, 0
	v_lshl_add_u64 v[120:121], v[2:3], 0, 3
	;; [unrolled: 5-line block ×3, first 2 shown]
	v_add3_u32 v121, v121, v122, v0
	v_mul_lo_u32 v0, s15, v124
	v_mul_lo_u32 v126, s14, v125
	v_mad_u64_u32 v[124:125], s[34:35], s14, v124, 0
	v_mov_b64_e32 v[128:129], s[14:15]
	s_add_u32 s24, s0, 64
	v_add3_u32 v125, v125, v126, v0
	v_mad_u64_u32 v[128:129], s[34:35], s14, v2, v[128:129]
	v_mul_lo_u32 v0, s14, v3
	v_mul_lo_u32 v132, s15, v2
	v_mad_u64_u32 v[2:3], s[34:35], s14, v2, 0
	s_addc_u32 s25, s1, 0
	s_waitcnt lgkmcnt(0)
	s_lshl_b32 s26, s9, 5
	v_add3_u32 v129, v132, v129, v0
	v_add3_u32 v3, v3, v0, v132
	v_mbcnt_lo_u32_b32 v0, -1, 0
	s_mul_i32 s9, s15, s26
	s_mul_hi_u32 s30, s14, s26
	v_mbcnt_hi_u32_b32 v0, -1, v0
	v_add_u32_e32 v214, s3, v202
	v_lshlrev_b64 v[10:11], 2, v[8:9]
	s_add_i32 s31, s30, s9
	s_mul_i32 s30, s14, s26
	v_lshlrev_b64 v[14:15], 2, v[12:13]
	v_lshlrev_b64 v[18:19], 2, v[16:17]
	;; [unrolled: 1-line block ×31, first 2 shown]
	v_lshlrev_b32_e32 v0, 2, v0
	v_cmp_gt_i64_e64 s[6:7], s[14:15], v[214:215]
	s_mov_b32 s27, s11
	v_lshlrev_b64 v[6:7], 2, v[214:215]
	s_mov_b64 s[28:29], 31
	v_lshl_add_u64 v[8:9], s[16:17], 0, v[10:11]
	s_lshl_b64 s[30:31], s[30:31], 2
	v_lshl_add_u64 v[10:11], s[18:19], 0, v[10:11]
	v_lshl_add_u64 v[12:13], s[16:17], 0, v[14:15]
	v_lshl_add_u64 v[14:15], s[18:19], 0, v[14:15]
	v_lshl_add_u64 v[16:17], s[16:17], 0, v[18:19]
	v_lshl_add_u64 v[18:19], s[18:19], 0, v[18:19]
	v_lshl_add_u64 v[20:21], s[16:17], 0, v[22:23]
	v_lshl_add_u64 v[22:23], s[18:19], 0, v[22:23]
	v_lshl_add_u64 v[24:25], s[16:17], 0, v[26:27]
	v_lshl_add_u64 v[26:27], s[18:19], 0, v[26:27]
	v_lshl_add_u64 v[28:29], s[16:17], 0, v[30:31]
	v_lshl_add_u64 v[30:31], s[18:19], 0, v[30:31]
	v_lshl_add_u64 v[32:33], s[16:17], 0, v[34:35]
	v_lshl_add_u64 v[34:35], s[18:19], 0, v[34:35]
	v_lshl_add_u64 v[36:37], s[16:17], 0, v[38:39]
	v_lshl_add_u64 v[38:39], s[18:19], 0, v[38:39]
	v_lshl_add_u64 v[40:41], s[16:17], 0, v[42:43]
	v_lshl_add_u64 v[42:43], s[18:19], 0, v[42:43]
	v_lshl_add_u64 v[44:45], s[16:17], 0, v[46:47]
	v_lshl_add_u64 v[46:47], s[18:19], 0, v[46:47]
	v_lshl_add_u64 v[48:49], s[16:17], 0, v[50:51]
	v_lshl_add_u64 v[50:51], s[18:19], 0, v[50:51]
	v_lshl_add_u64 v[52:53], s[16:17], 0, v[54:55]
	v_lshl_add_u64 v[54:55], s[18:19], 0, v[54:55]
	v_lshl_add_u64 v[56:57], s[16:17], 0, v[58:59]
	v_lshl_add_u64 v[58:59], s[18:19], 0, v[58:59]
	v_lshl_add_u64 v[60:61], s[16:17], 0, v[62:63]
	v_lshl_add_u64 v[62:63], s[18:19], 0, v[62:63]
	v_lshl_add_u64 v[64:65], s[16:17], 0, v[66:67]
	v_lshl_add_u64 v[66:67], s[18:19], 0, v[66:67]
	v_lshl_add_u64 v[68:69], s[16:17], 0, v[70:71]
	v_lshl_add_u64 v[70:71], s[18:19], 0, v[70:71]
	v_lshl_add_u64 v[72:73], s[16:17], 0, v[74:75]
	v_lshl_add_u64 v[74:75], s[18:19], 0, v[74:75]
	v_lshl_add_u64 v[76:77], s[16:17], 0, v[78:79]
	v_lshl_add_u64 v[78:79], s[18:19], 0, v[78:79]
	v_lshl_add_u64 v[80:81], s[16:17], 0, v[82:83]
	v_lshl_add_u64 v[82:83], s[18:19], 0, v[82:83]
	v_lshl_add_u64 v[84:85], s[16:17], 0, v[86:87]
	v_lshl_add_u64 v[86:87], s[18:19], 0, v[86:87]
	v_lshl_add_u64 v[88:89], s[16:17], 0, v[90:91]
	v_lshl_add_u64 v[90:91], s[18:19], 0, v[90:91]
	v_lshl_add_u64 v[92:93], s[16:17], 0, v[94:95]
	v_lshl_add_u64 v[94:95], s[18:19], 0, v[94:95]
	v_lshl_add_u64 v[96:97], s[16:17], 0, v[98:99]
	v_lshl_add_u64 v[98:99], s[18:19], 0, v[98:99]
	v_lshl_add_u64 v[100:101], s[16:17], 0, v[102:103]
	v_lshl_add_u64 v[102:103], s[18:19], 0, v[102:103]
	v_lshl_add_u64 v[104:105], s[16:17], 0, v[106:107]
	v_lshl_add_u64 v[106:107], s[18:19], 0, v[106:107]
	v_lshl_add_u64 v[108:109], s[16:17], 0, v[110:111]
	v_lshl_add_u64 v[110:111], s[18:19], 0, v[110:111]
	v_lshl_add_u64 v[112:113], s[16:17], 0, v[114:115]
	v_lshl_add_u64 v[114:115], s[18:19], 0, v[114:115]
	v_lshl_add_u64 v[116:117], s[16:17], 0, v[118:119]
	v_lshl_add_u64 v[118:119], s[18:19], 0, v[118:119]
	v_lshl_add_u64 v[120:121], s[16:17], 0, v[122:123]
	v_lshl_add_u64 v[122:123], s[18:19], 0, v[122:123]
	v_lshl_add_u64 v[124:125], s[16:17], 0, v[126:127]
	v_lshl_add_u64 v[126:127], s[18:19], 0, v[126:127]
	v_lshl_add_u64 v[128:129], s[16:17], 0, v[130:131]
	v_lshl_add_u64 v[130:131], s[18:19], 0, v[130:131]
	v_lshl_add_u64 v[132:133], s[16:17], 0, v[2:3]
	v_lshl_add_u64 v[134:135], s[18:19], 0, v[2:3]
	v_and_b32_e32 v204, 0x100, v0
	v_mov_b32_e32 v2, v215
	v_mov_b32_e32 v3, v215
	s_mov_b64 s[34:35], s[10:11]
	s_branch .LBB61_5
.LBB61_3:                               ;   in Loop: Header=BB61_5 Depth=1
	s_or_b64 exec, exec, s[36:37]
	s_waitcnt vmcnt(1)
	ds_bpermute_b32 v138, v204, v196
	s_waitcnt vmcnt(0)
	ds_bpermute_b32 v154, v204, v140
	ds_bpermute_b32 v166, v204, v196 offset:4
	ds_bpermute_b32 v162, v204, v140 offset:4
	;; [unrolled: 1-line block ×3, first 2 shown]
	s_waitcnt lgkmcnt(4)
	v_sub_f32_e32 v136, v136, v138
	v_mul_f32_e32 v136, v139, v136
	s_waitcnt lgkmcnt(3)
	v_mul_f32_e32 v138, v136, v154
	ds_bpermute_b32 v154, v204, v140 offset:8
	s_waitcnt lgkmcnt(3)
	v_sub_f32_e32 v136, v142, v166
	v_mul_f32_e32 v136, v143, v136
	s_waitcnt lgkmcnt(2)
	v_mul_f32_e32 v142, v136, v162
	s_waitcnt lgkmcnt(1)
	v_sub_f32_e32 v136, v144, v208
	ds_bpermute_b32 v144, v204, v196 offset:12
	v_mul_f32_e32 v136, v137, v136
	s_waitcnt lgkmcnt(1)
	v_mul_f32_e32 v136, v136, v154
	ds_bpermute_b32 v154, v204, v140 offset:12
	ds_bpermute_b32 v162, v204, v196 offset:16
	s_waitcnt lgkmcnt(2)
	v_sub_f32_e32 v144, v146, v144
	v_mul_f32_e32 v144, v147, v144
	ds_bpermute_b32 v166, v204, v140 offset:16
	s_waitcnt lgkmcnt(2)
	v_mul_f32_e32 v146, v144, v154
	s_waitcnt lgkmcnt(1)
	v_sub_f32_e32 v144, v148, v162
	ds_bpermute_b32 v148, v204, v196 offset:20
	ds_bpermute_b32 v154, v204, v140 offset:20
	;; [unrolled: 1-line block ×3, first 2 shown]
	v_mul_f32_e32 v144, v145, v144
	s_waitcnt lgkmcnt(3)
	v_mul_f32_e32 v144, v144, v166
	s_waitcnt lgkmcnt(2)
	v_sub_f32_e32 v148, v150, v148
	ds_bpermute_b32 v150, v204, v140 offset:24
	v_mul_f32_e32 v148, v155, v148
	s_waitcnt lgkmcnt(2)
	v_mul_f32_e32 v154, v148, v154
	s_waitcnt lgkmcnt(1)
	v_sub_f32_e32 v148, v152, v162
	ds_bpermute_b32 v152, v204, v196 offset:28
	v_mul_f32_e32 v148, v151, v148
	s_waitcnt lgkmcnt(1)
	v_mul_f32_e32 v150, v148, v150
	ds_bpermute_b32 v148, v204, v140 offset:28
	ds_bpermute_b32 v166, v204, v196 offset:32
	s_waitcnt lgkmcnt(2)
	v_sub_f32_e32 v152, v156, v152
	ds_bpermute_b32 v156, v204, v140 offset:32
	v_pk_add_f32 v[2:3], v[2:3], v[138:139]
	v_mul_f32_e32 v152, v163, v152
	v_pk_add_f32 v[2:3], v[2:3], v[142:143]
	s_waitcnt lgkmcnt(2)
	v_mul_f32_e32 v162, v152, v148
	s_waitcnt lgkmcnt(1)
	v_sub_f32_e32 v148, v160, v166
	ds_bpermute_b32 v152, v204, v196 offset:36
	v_pk_add_f32 v[2:3], v[2:3], v[136:137]
	ds_bpermute_b32 v136, v204, v196 offset:44
	v_mul_f32_e32 v148, v157, v148
	s_waitcnt lgkmcnt(2)
	v_mul_f32_e32 v156, v148, v156
	ds_bpermute_b32 v148, v204, v140 offset:36
	ds_bpermute_b32 v137, v204, v140 offset:44
	;; [unrolled: 1-line block ×3, first 2 shown]
	s_waitcnt lgkmcnt(4)
	v_sub_f32_e32 v152, v164, v152
	s_waitcnt lgkmcnt(3)
	v_sub_f32_e32 v136, v158, v136
	ds_bpermute_b32 v138, v204, v196 offset:48
	v_mul_f32_e32 v152, v167, v152
	v_mul_f32_e32 v136, v153, v136
	ds_bpermute_b32 v164, v204, v140 offset:40
	s_waitcnt lgkmcnt(4)
	v_mul_f32_e32 v166, v152, v148
	s_waitcnt lgkmcnt(3)
	v_mul_f32_e32 v152, v136, v137
	ds_bpermute_b32 v136, v204, v140 offset:48
	ds_bpermute_b32 v137, v204, v196 offset:52
	ds_bpermute_b32 v139, v204, v140 offset:52
	s_waitcnt lgkmcnt(5)
	v_sub_f32_e32 v148, v172, v160
	s_waitcnt lgkmcnt(4)
	v_sub_f32_e32 v138, v168, v138
	v_mul_f32_e32 v148, v165, v148
	v_mul_f32_e32 v138, v149, v138
	s_waitcnt lgkmcnt(3)
	v_mul_f32_e32 v164, v148, v164
	s_waitcnt lgkmcnt(2)
	;; [unrolled: 2-line block ×3, first 2 shown]
	v_sub_f32_e32 v136, v170, v137
	ds_bpermute_b32 v137, v204, v196 offset:56
	v_mul_f32_e32 v136, v161, v136
	s_waitcnt lgkmcnt(1)
	v_mul_f32_e32 v160, v136, v139
	ds_bpermute_b32 v136, v204, v140 offset:56
	ds_bpermute_b32 v138, v204, v196 offset:60
	ds_bpermute_b32 v139, v204, v140 offset:60
	s_waitcnt lgkmcnt(3)
	v_sub_f32_e32 v137, v174, v137
	v_mul_f32_e32 v137, v159, v137
	s_waitcnt lgkmcnt(2)
	v_mul_f32_e32 v158, v137, v136
	s_waitcnt lgkmcnt(1)
	v_sub_f32_e32 v136, v176, v138
	ds_bpermute_b32 v137, v204, v196 offset:64
	v_mul_f32_e32 v136, v171, v136
	s_waitcnt lgkmcnt(1)
	v_mul_f32_e32 v170, v136, v139
	ds_bpermute_b32 v136, v204, v140 offset:64
	ds_bpermute_b32 v138, v204, v196 offset:68
	ds_bpermute_b32 v139, v204, v140 offset:68
	s_waitcnt lgkmcnt(3)
	v_sub_f32_e32 v137, v178, v137
	v_mul_f32_e32 v137, v169, v137
	s_waitcnt lgkmcnt(2)
	v_mul_f32_e32 v168, v137, v136
	s_waitcnt lgkmcnt(1)
	;; [unrolled: 14-line block ×4, first 2 shown]
	v_sub_f32_e32 v136, v190, v138
	v_mul_f32_e32 v136, v191, v136
	s_waitcnt lgkmcnt(0)
	v_mul_f32_e32 v190, v136, v139
	ds_bpermute_b32 v136, v204, v196 offset:88
	ds_bpermute_b32 v137, v204, v140 offset:88
	;; [unrolled: 1-line block ×4, first 2 shown]
	v_pk_add_f32 v[2:3], v[2:3], v[146:147]
	s_waitcnt lgkmcnt(3)
	v_sub_f32_e32 v136, v186, v136
	v_mul_f32_e32 v136, v173, v136
	s_waitcnt lgkmcnt(2)
	v_mul_f32_e32 v172, v136, v137
	s_waitcnt lgkmcnt(1)
	v_sub_f32_e32 v136, v192, v138
	ds_bpermute_b32 v137, v204, v196 offset:96
	v_mul_f32_e32 v136, v183, v136
	s_waitcnt lgkmcnt(1)
	v_mul_f32_e32 v182, v136, v139
	ds_bpermute_b32 v136, v204, v140 offset:96
	ds_bpermute_b32 v138, v204, v196 offset:100
	;; [unrolled: 1-line block ×3, first 2 shown]
	v_pk_add_f32 v[2:3], v[2:3], v[144:145]
	s_waitcnt lgkmcnt(3)
	v_sub_f32_e32 v137, v194, v137
	v_pk_add_f32 v[2:3], v[2:3], v[154:155]
	v_mul_f32_e32 v137, v179, v137
	v_pk_add_f32 v[2:3], v[2:3], v[150:151]
	s_waitcnt lgkmcnt(2)
	v_mul_f32_e32 v178, v137, v136
	s_waitcnt lgkmcnt(1)
	v_sub_f32_e32 v136, v198, v138
	ds_bpermute_b32 v137, v204, v196 offset:104
	v_pk_add_f32 v[2:3], v[2:3], v[162:163]
	v_mul_f32_e32 v136, v189, v136
	v_pk_add_f32 v[2:3], v[2:3], v[156:157]
	s_waitcnt lgkmcnt(1)
	v_mul_f32_e32 v188, v136, v139
	ds_bpermute_b32 v136, v204, v140 offset:104
	ds_bpermute_b32 v138, v204, v196 offset:108
	v_pk_add_f32 v[2:3], v[2:3], v[166:167]
	ds_bpermute_b32 v139, v204, v140 offset:108
	v_pk_add_f32 v[2:3], v[2:3], v[164:165]
	s_waitcnt lgkmcnt(3)
	v_sub_f32_e32 v137, v200, v137
	v_pk_add_f32 v[2:3], v[2:3], v[152:153]
	v_mul_f32_e32 v137, v187, v137
	v_pk_add_f32 v[2:3], v[2:3], v[148:149]
	s_waitcnt lgkmcnt(2)
	v_mul_f32_e32 v186, v137, v136
	v_pk_add_f32 v[2:3], v[2:3], v[160:161]
	s_waitcnt lgkmcnt(1)
	v_sub_f32_e32 v136, v205, v138
	ds_bpermute_b32 v137, v204, v196 offset:112
	v_pk_add_f32 v[2:3], v[2:3], v[158:159]
	v_mul_f32_e32 v136, v195, v136
	v_pk_add_f32 v[2:3], v[2:3], v[170:171]
	s_waitcnt lgkmcnt(1)
	v_mul_f32_e32 v194, v136, v139
	ds_bpermute_b32 v136, v204, v140 offset:112
	ds_bpermute_b32 v138, v204, v196 offset:116
	v_pk_add_f32 v[2:3], v[2:3], v[168:169]
	ds_bpermute_b32 v139, v204, v140 offset:116
	v_pk_add_f32 v[2:3], v[2:3], v[176:177]
	s_waitcnt lgkmcnt(3)
	v_sub_f32_e32 v137, v206, v137
	v_pk_add_f32 v[2:3], v[2:3], v[174:175]
	v_mul_f32_e32 v137, v193, v137
	v_pk_add_f32 v[2:3], v[2:3], v[184:185]
	s_waitcnt lgkmcnt(2)
	v_mul_f32_e32 v192, v137, v136
	v_pk_add_f32 v[2:3], v[2:3], v[180:181]
	s_waitcnt lgkmcnt(1)
	v_sub_f32_e32 v136, v207, v138
	v_pk_add_f32 v[2:3], v[2:3], v[190:191]
	v_mul_f32_e32 v136, v199, v136
	s_waitcnt lgkmcnt(0)
	v_mul_f32_e32 v198, v136, v139
	v_pk_add_f32 v[2:3], v[2:3], v[172:173]
	ds_bpermute_b32 v136, v204, v196 offset:120
	v_pk_add_f32 v[2:3], v[2:3], v[182:183]
	ds_bpermute_b32 v137, v204, v140 offset:120
	;; [unrolled: 2-line block ×3, first 2 shown]
	v_pk_add_f32 v[2:3], v[2:3], v[188:189]
	s_waitcnt lgkmcnt(2)
	v_sub_f32_e32 v136, v201, v136
	v_pk_add_f32 v[2:3], v[2:3], v[186:187]
	v_mul_f32_e32 v136, v197, v136
	v_pk_add_f32 v[2:3], v[2:3], v[194:195]
	s_waitcnt lgkmcnt(1)
	v_mul_f32_e32 v196, v136, v137
	v_pk_add_f32 v[2:3], v[2:3], v[192:193]
	ds_bpermute_b32 v140, v204, v140 offset:124
	v_pk_add_f32 v[2:3], v[2:3], v[198:199]
	s_nop 0
	v_pk_add_f32 v[138:139], v[2:3], v[196:197]
.LBB61_4:                               ;   in Loop: Header=BB61_5 Depth=1
	s_waitcnt lgkmcnt(1)
	v_sub_f32_e32 v0, v0, v142
	s_add_u32 s34, s34, s26
	v_mul_f32_e32 v0, v141, v0
	s_addc_u32 s35, s35, 0
	v_mov_b64_e32 v[136:137], s[12:13]
	s_waitcnt lgkmcnt(0)
	v_mul_f32_e32 v140, v0, v140
	s_add_u32 s28, s28, s26
	v_cmp_lt_i64_e32 vcc, s[34:35], v[136:137]
	v_pk_add_f32 v[2:3], v[138:139], v[140:141]
	v_lshl_add_u64 v[8:9], v[8:9], 0, s[30:31]
	v_lshl_add_u64 v[10:11], v[10:11], 0, s[30:31]
	;; [unrolled: 1-line block ×65, first 2 shown]
	s_addc_u32 s29, s29, 0
	s_cbranch_vccz .LBB61_145
.LBB61_5:                               ; =>This Inner Loop Header: Depth=1
	s_add_u32 s36, s10, s28
	s_addc_u32 s37, 0, s29
	v_mov_b64_e32 v[136:137], s[12:13]
	v_cmp_ge_i64_e32 vcc, s[36:37], v[136:137]
	v_lshl_add_u64 v[136:137], s[10:11], 0, v[4:5]
	s_cbranch_vccz .LBB61_75
; %bb.6:                                ;   in Loop: Header=BB61_5 Depth=1
	s_load_dword s9, s[24:25], 0xc
	v_mov_b32_e32 v139, 0
	v_mov_b32_e32 v198, 0
	;; [unrolled: 1-line block ×3, first 2 shown]
	s_waitcnt lgkmcnt(0)
	s_and_b32 s9, s9, 0xffff
	v_mad_u32_u24 v0, v203, s9, v202
	v_and_b32_e32 v214, 63, v0
	v_cmp_gt_u32_e32 vcc, 32, v214
	s_and_saveexec_b64 s[36:37], vcc
	s_cbranch_execz .LBB61_10
; %bb.7:                                ;   in Loop: Header=BB61_5 Depth=1
	v_lshl_add_u64 v[140:141], v[136:137], 0, v[214:215]
	v_cmp_gt_i64_e32 vcc, s[12:13], v[140:141]
	v_mov_b32_e32 v205, 0
	v_mov_b32_e32 v198, 0
	s_and_saveexec_b64 s[38:39], vcc
	s_cbranch_execz .LBB61_9
; %bb.8:                                ;   in Loop: Header=BB61_5 Depth=1
	v_lshlrev_b64 v[140:141], 2, v[140:141]
	v_lshl_add_u64 v[142:143], s[22:23], 0, v[140:141]
	v_lshl_add_u64 v[140:141], s[20:21], 0, v[140:141]
	global_load_dword v205, v[140:141], off
	global_load_dword v198, v[142:143], off
.LBB61_9:                               ;   in Loop: Header=BB61_5 Depth=1
	s_or_b64 exec, exec, s[38:39]
.LBB61_10:                              ;   in Loop: Header=BB61_5 Depth=1
	s_or_b64 exec, exec, s[36:37]
	v_cmp_gt_i64_e32 vcc, s[12:13], v[136:137]
	s_and_b64 s[38:39], s[6:7], vcc
	v_mov_b32_e32 v138, 0
	s_and_saveexec_b64 s[36:37], s[38:39]
	s_cbranch_execz .LBB61_12
; %bb.11:                               ;   in Loop: Header=BB61_5 Depth=1
	v_lshl_add_u64 v[138:139], v[132:133], 0, v[6:7]
	v_lshl_add_u64 v[140:141], v[134:135], 0, v[6:7]
	global_load_dword v139, v[138:139], off
	s_nop 0
	global_load_dword v138, v[140:141], off
.LBB61_12:                              ;   in Loop: Header=BB61_5 Depth=1
	s_or_b64 exec, exec, s[36:37]
	v_lshl_add_u64 v[140:141], v[136:137], 0, 1
	v_cmp_gt_i64_e32 vcc, s[12:13], v[140:141]
	s_and_b64 s[38:39], s[6:7], vcc
	v_mov_b32_e32 v143, 0
	v_mov_b32_e32 v145, 0
	;; [unrolled: 1-line block ×3, first 2 shown]
	s_and_saveexec_b64 s[36:37], s[38:39]
	s_cbranch_execz .LBB61_14
; %bb.13:                               ;   in Loop: Header=BB61_5 Depth=1
	v_lshl_add_u64 v[140:141], v[128:129], 0, v[6:7]
	global_load_dword v145, v[140:141], off
	v_lshl_add_u64 v[140:141], v[130:131], 0, v[6:7]
	global_load_dword v140, v[140:141], off
.LBB61_14:                              ;   in Loop: Header=BB61_5 Depth=1
	s_or_b64 exec, exec, s[36:37]
	v_lshl_add_u64 v[146:147], v[136:137], 0, 2
	v_cmp_gt_i64_e32 vcc, s[12:13], v[146:147]
	s_and_b64 s[38:39], s[6:7], vcc
	v_mov_b32_e32 v142, 0
	s_and_saveexec_b64 s[36:37], s[38:39]
	s_cbranch_execz .LBB61_16
; %bb.15:                               ;   in Loop: Header=BB61_5 Depth=1
	v_lshl_add_u64 v[142:143], v[124:125], 0, v[6:7]
	v_lshl_add_u64 v[146:147], v[126:127], 0, v[6:7]
	global_load_dword v143, v[142:143], off
	s_nop 0
	global_load_dword v142, v[146:147], off
.LBB61_16:                              ;   in Loop: Header=BB61_5 Depth=1
	s_or_b64 exec, exec, s[36:37]
	v_lshl_add_u64 v[146:147], v[136:137], 0, 3
	v_cmp_gt_i64_e32 vcc, s[12:13], v[146:147]
	s_and_b64 s[38:39], s[6:7], vcc
	v_mov_b32_e32 v147, 0
	v_mov_b32_e32 v149, 0
	;; [unrolled: 1-line block ×3, first 2 shown]
	s_and_saveexec_b64 s[36:37], s[38:39]
	s_cbranch_execz .LBB61_18
; %bb.17:                               ;   in Loop: Header=BB61_5 Depth=1
	v_lshl_add_u64 v[148:149], v[120:121], 0, v[6:7]
	v_lshl_add_u64 v[150:151], v[122:123], 0, v[6:7]
	global_load_dword v149, v[148:149], off
	s_nop 0
	global_load_dword v146, v[150:151], off
.LBB61_18:                              ;   in Loop: Header=BB61_5 Depth=1
	s_or_b64 exec, exec, s[36:37]
	v_lshl_add_u64 v[150:151], v[136:137], 0, 4
	v_cmp_gt_i64_e32 vcc, s[12:13], v[150:151]
	s_and_b64 s[38:39], s[6:7], vcc
	v_mov_b32_e32 v150, 0
	s_and_saveexec_b64 s[36:37], s[38:39]
	s_cbranch_execz .LBB61_20
; %bb.19:                               ;   in Loop: Header=BB61_5 Depth=1
	v_lshl_add_u64 v[150:151], v[116:117], 0, v[6:7]
	global_load_dword v147, v[150:151], off
	v_lshl_add_u64 v[150:151], v[118:119], 0, v[6:7]
	global_load_dword v150, v[150:151], off
.LBB61_20:                              ;   in Loop: Header=BB61_5 Depth=1
	s_or_b64 exec, exec, s[36:37]
	v_lshl_add_u64 v[152:153], v[136:137], 0, 5
	v_cmp_gt_i64_e32 vcc, s[12:13], v[152:153]
	s_and_b64 s[38:39], s[6:7], vcc
	v_mov_b32_e32 v151, 0
	v_mov_b32_e32 v153, 0
	v_mov_b32_e32 v152, 0
	s_and_saveexec_b64 s[36:37], s[38:39]
	s_cbranch_execz .LBB61_22
; %bb.21:                               ;   in Loop: Header=BB61_5 Depth=1
	v_lshl_add_u64 v[152:153], v[112:113], 0, v[6:7]
	v_lshl_add_u64 v[154:155], v[114:115], 0, v[6:7]
	global_load_dword v153, v[152:153], off
	s_nop 0
	global_load_dword v152, v[154:155], off
.LBB61_22:                              ;   in Loop: Header=BB61_5 Depth=1
	s_or_b64 exec, exec, s[36:37]
	v_lshl_add_u64 v[154:155], v[136:137], 0, 6
	v_cmp_gt_i64_e32 vcc, s[12:13], v[154:155]
	s_and_b64 s[38:39], s[6:7], vcc
	v_mov_b32_e32 v154, 0
	s_and_saveexec_b64 s[36:37], s[38:39]
	s_cbranch_execz .LBB61_24
; %bb.23:                               ;   in Loop: Header=BB61_5 Depth=1
	v_lshl_add_u64 v[154:155], v[108:109], 0, v[6:7]
	global_load_dword v151, v[154:155], off
	v_lshl_add_u64 v[154:155], v[110:111], 0, v[6:7]
	global_load_dword v154, v[154:155], off
.LBB61_24:                              ;   in Loop: Header=BB61_5 Depth=1
	s_or_b64 exec, exec, s[36:37]
	v_lshl_add_u64 v[156:157], v[136:137], 0, 7
	v_cmp_gt_i64_e32 vcc, s[12:13], v[156:157]
	s_and_b64 s[38:39], s[6:7], vcc
	v_mov_b32_e32 v159, 0
	v_mov_b32_e32 v161, 0
	;; [unrolled: 1-line block ×3, first 2 shown]
	s_and_saveexec_b64 s[36:37], s[38:39]
	s_cbranch_execz .LBB61_26
; %bb.25:                               ;   in Loop: Header=BB61_5 Depth=1
	v_lshl_add_u64 v[156:157], v[104:105], 0, v[6:7]
	global_load_dword v161, v[156:157], off
	v_lshl_add_u64 v[156:157], v[106:107], 0, v[6:7]
	global_load_dword v156, v[156:157], off
.LBB61_26:                              ;   in Loop: Header=BB61_5 Depth=1
	s_or_b64 exec, exec, s[36:37]
	v_lshl_add_u64 v[162:163], v[136:137], 0, 8
	v_cmp_gt_i64_e32 vcc, s[12:13], v[162:163]
	s_and_b64 s[38:39], s[6:7], vcc
	v_mov_b32_e32 v158, 0
	s_and_saveexec_b64 s[36:37], s[38:39]
	s_cbranch_execz .LBB61_28
; %bb.27:                               ;   in Loop: Header=BB61_5 Depth=1
	v_lshl_add_u64 v[158:159], v[100:101], 0, v[6:7]
	v_lshl_add_u64 v[162:163], v[102:103], 0, v[6:7]
	global_load_dword v159, v[158:159], off
	s_nop 0
	global_load_dword v158, v[162:163], off
.LBB61_28:                              ;   in Loop: Header=BB61_5 Depth=1
	s_or_b64 exec, exec, s[36:37]
	v_lshl_add_u64 v[162:163], v[136:137], 0, 9
	v_cmp_gt_i64_e32 vcc, s[12:13], v[162:163]
	s_and_b64 s[38:39], s[6:7], vcc
	v_mov_b32_e32 v167, 0
	v_mov_b32_e32 v169, 0
	v_mov_b32_e32 v164, 0
	s_and_saveexec_b64 s[36:37], s[38:39]
	s_cbranch_execz .LBB61_30
; %bb.29:                               ;   in Loop: Header=BB61_5 Depth=1
	v_lshl_add_u64 v[162:163], v[96:97], 0, v[6:7]
	global_load_dword v169, v[162:163], off
	v_lshl_add_u64 v[162:163], v[98:99], 0, v[6:7]
	global_load_dword v164, v[162:163], off
.LBB61_30:                              ;   in Loop: Header=BB61_5 Depth=1
	s_or_b64 exec, exec, s[36:37]
	v_lshl_add_u64 v[162:163], v[136:137], 0, 10
	v_cmp_gt_i64_e32 vcc, s[12:13], v[162:163]
	s_and_b64 s[38:39], s[6:7], vcc
	v_mov_b32_e32 v166, 0
	s_and_saveexec_b64 s[36:37], s[38:39]
	s_cbranch_execz .LBB61_32
; %bb.31:                               ;   in Loop: Header=BB61_5 Depth=1
	v_lshl_add_u64 v[162:163], v[92:93], 0, v[6:7]
	global_load_dword v167, v[162:163], off
	v_lshl_add_u64 v[162:163], v[94:95], 0, v[6:7]
	global_load_dword v166, v[162:163], off
.LBB61_32:                              ;   in Loop: Header=BB61_5 Depth=1
	s_or_b64 exec, exec, s[36:37]
	v_lshl_add_u64 v[162:163], v[136:137], 0, 11
	v_cmp_gt_i64_e32 vcc, s[12:13], v[162:163]
	s_and_b64 s[38:39], s[6:7], vcc
	v_mov_b32_e32 v155, 0
	v_mov_b32_e32 v157, 0
	v_mov_b32_e32 v162, 0
	s_and_saveexec_b64 s[36:37], s[38:39]
	s_cbranch_execz .LBB61_34
; %bb.33:                               ;   in Loop: Header=BB61_5 Depth=1
	v_lshl_add_u64 v[162:163], v[88:89], 0, v[6:7]
	global_load_dword v157, v[162:163], off
	v_lshl_add_u64 v[162:163], v[90:91], 0, v[6:7]
	global_load_dword v162, v[162:163], off
.LBB61_34:                              ;   in Loop: Header=BB61_5 Depth=1
	s_or_b64 exec, exec, s[36:37]
	v_lshl_add_u64 v[170:171], v[136:137], 0, 12
	v_cmp_gt_i64_e32 vcc, s[12:13], v[170:171]
	s_and_b64 s[38:39], s[6:7], vcc
	v_mov_b32_e32 v170, 0
	s_and_saveexec_b64 s[36:37], s[38:39]
	s_cbranch_execz .LBB61_36
; %bb.35:                               ;   in Loop: Header=BB61_5 Depth=1
	v_lshl_add_u64 v[170:171], v[84:85], 0, v[6:7]
	global_load_dword v155, v[170:171], off
	v_lshl_add_u64 v[170:171], v[86:87], 0, v[6:7]
	global_load_dword v170, v[170:171], off
.LBB61_36:                              ;   in Loop: Header=BB61_5 Depth=1
	;; [unrolled: 28-line block ×11, first 2 shown]
	s_or_b64 exec, exec, s[36:37]
	v_lshl_add_u64 v[210:211], v[136:137], 0, 31
	v_cmp_gt_i64_e32 vcc, s[12:13], v[210:211]
	s_and_b64 s[38:39], s[6:7], vcc
	v_mov_b32_e32 v141, 0
	v_mov_b32_e32 v0, 0
	s_and_saveexec_b64 s[36:37], s[38:39]
	s_cbranch_execz .LBB61_74
; %bb.73:                               ;   in Loop: Header=BB61_5 Depth=1
	v_lshl_add_u64 v[210:211], v[8:9], 0, v[6:7]
	global_load_dword v141, v[210:211], off
	v_lshl_add_u64 v[210:211], v[10:11], 0, v[6:7]
	global_load_dword v0, v[210:211], off
.LBB61_74:                              ;   in Loop: Header=BB61_5 Depth=1
	s_or_b64 exec, exec, s[36:37]
	s_waitcnt vmcnt(1)
	ds_bpermute_b32 v144, v204, v205
	s_waitcnt vmcnt(0)
	ds_bpermute_b32 v148, v204, v198
	ds_bpermute_b32 v168, v204, v205 offset:4
	ds_bpermute_b32 v160, v204, v198 offset:4
	;; [unrolled: 1-line block ×3, first 2 shown]
	s_waitcnt lgkmcnt(4)
	v_sub_f32_e32 v138, v138, v144
	v_mul_f32_e32 v138, v139, v138
	s_waitcnt lgkmcnt(3)
	v_mul_f32_e32 v138, v138, v148
	s_waitcnt lgkmcnt(2)
	v_sub_f32_e32 v140, v140, v168
	ds_bpermute_b32 v148, v204, v198 offset:8
	v_mul_f32_e32 v140, v145, v140
	s_waitcnt lgkmcnt(2)
	v_mul_f32_e32 v144, v140, v160
	ds_bpermute_b32 v160, v204, v205 offset:12
	s_waitcnt lgkmcnt(2)
	v_sub_f32_e32 v140, v142, v210
	v_mul_f32_e32 v140, v143, v140
	s_waitcnt lgkmcnt(1)
	v_mul_f32_e32 v142, v140, v148
	ds_bpermute_b32 v140, v204, v198 offset:12
	ds_bpermute_b32 v168, v204, v205 offset:16
	s_waitcnt lgkmcnt(2)
	v_sub_f32_e32 v146, v146, v160
	ds_bpermute_b32 v160, v204, v198 offset:16
	v_mul_f32_e32 v146, v149, v146
	s_waitcnt lgkmcnt(2)
	v_mul_f32_e32 v148, v146, v140
	s_waitcnt lgkmcnt(1)
	v_sub_f32_e32 v140, v150, v168
	ds_bpermute_b32 v150, v204, v205 offset:20
	v_mul_f32_e32 v140, v147, v140
	s_waitcnt lgkmcnt(1)
	v_mul_f32_e32 v146, v140, v160
	ds_bpermute_b32 v140, v204, v198 offset:20
	ds_bpermute_b32 v160, v204, v205 offset:24
	;; [unrolled: 1-line block ×3, first 2 shown]
	s_waitcnt lgkmcnt(3)
	v_sub_f32_e32 v150, v152, v150
	v_mul_f32_e32 v150, v153, v150
	s_waitcnt lgkmcnt(2)
	v_mul_f32_e32 v152, v150, v140
	s_waitcnt lgkmcnt(1)
	v_sub_f32_e32 v140, v154, v160
	ds_bpermute_b32 v154, v204, v205 offset:28
	v_mul_f32_e32 v140, v151, v140
	s_waitcnt lgkmcnt(1)
	v_mul_f32_e32 v150, v140, v168
	ds_bpermute_b32 v140, v204, v198 offset:28
	ds_bpermute_b32 v168, v204, v205 offset:32
	s_waitcnt lgkmcnt(2)
	v_sub_f32_e32 v154, v156, v154
	ds_bpermute_b32 v156, v204, v198 offset:32
	v_mul_f32_e32 v154, v161, v154
	s_waitcnt lgkmcnt(2)
	v_mul_f32_e32 v160, v154, v140
	ds_bpermute_b32 v154, v204, v205 offset:36
	s_waitcnt lgkmcnt(2)
	v_sub_f32_e32 v140, v158, v168
	v_mul_f32_e32 v140, v159, v140
	s_waitcnt lgkmcnt(1)
	v_mul_f32_e32 v158, v140, v156
	ds_bpermute_b32 v140, v204, v198 offset:36
	ds_bpermute_b32 v156, v204, v205 offset:40
	s_waitcnt lgkmcnt(2)
	v_sub_f32_e32 v154, v164, v154
	ds_bpermute_b32 v164, v204, v198 offset:40
	v_mul_f32_e32 v154, v169, v154
	s_waitcnt lgkmcnt(2)
	v_mul_f32_e32 v168, v154, v140
	s_waitcnt lgkmcnt(1)
	v_sub_f32_e32 v140, v166, v156
	v_mul_f32_e32 v140, v167, v140
	s_waitcnt lgkmcnt(0)
	v_mul_f32_e32 v166, v140, v164
	v_pk_add_f32 v[138:139], v[2:3], v[138:139]
	ds_bpermute_b32 v140, v204, v205 offset:44
	v_pk_add_f32 v[138:139], v[138:139], v[144:145]
	ds_bpermute_b32 v144, v204, v198 offset:52
	v_pk_add_f32 v[138:139], v[138:139], v[142:143]
	ds_bpermute_b32 v142, v204, v198 offset:44
	s_waitcnt lgkmcnt(2)
	v_sub_f32_e32 v140, v162, v140
	ds_bpermute_b32 v143, v204, v205 offset:48
	v_mul_f32_e32 v140, v157, v140
	v_pk_add_f32 v[138:139], v[138:139], v[148:149]
	s_waitcnt lgkmcnt(1)
	v_mul_f32_e32 v156, v140, v142
	ds_bpermute_b32 v140, v204, v198 offset:48
	ds_bpermute_b32 v142, v204, v205 offset:52
	s_waitcnt lgkmcnt(2)
	v_sub_f32_e32 v143, v170, v143
	v_mul_f32_e32 v143, v155, v143
	v_pk_add_f32 v[138:139], v[138:139], v[146:147]
	s_waitcnt lgkmcnt(1)
	v_mul_f32_e32 v154, v143, v140
	s_waitcnt lgkmcnt(0)
	v_sub_f32_e32 v140, v172, v142
	ds_bpermute_b32 v142, v204, v205 offset:56
	v_mul_f32_e32 v140, v165, v140
	v_mul_f32_e32 v164, v140, v144
	ds_bpermute_b32 v140, v204, v198 offset:56
	ds_bpermute_b32 v143, v204, v205 offset:60
	ds_bpermute_b32 v144, v204, v198 offset:60
	s_waitcnt lgkmcnt(3)
	v_sub_f32_e32 v142, v174, v142
	v_mul_f32_e32 v142, v163, v142
	s_waitcnt lgkmcnt(2)
	v_mul_f32_e32 v162, v142, v140
	s_waitcnt lgkmcnt(1)
	v_sub_f32_e32 v140, v176, v143
	ds_bpermute_b32 v142, v204, v205 offset:64
	v_mul_f32_e32 v140, v173, v140
	s_waitcnt lgkmcnt(1)
	v_mul_f32_e32 v172, v140, v144
	ds_bpermute_b32 v140, v204, v198 offset:64
	ds_bpermute_b32 v143, v204, v205 offset:68
	ds_bpermute_b32 v144, v204, v198 offset:68
	s_waitcnt lgkmcnt(3)
	v_sub_f32_e32 v142, v178, v142
	v_mul_f32_e32 v142, v171, v142
	s_waitcnt lgkmcnt(2)
	v_mul_f32_e32 v170, v142, v140
	s_waitcnt lgkmcnt(1)
	v_sub_f32_e32 v140, v180, v143
	ds_bpermute_b32 v142, v204, v205 offset:72
	v_mul_f32_e32 v140, v177, v140
	s_waitcnt lgkmcnt(1)
	;; [unrolled: 14-line block ×3, first 2 shown]
	v_mul_f32_e32 v182, v140, v144
	ds_bpermute_b32 v140, v204, v198 offset:80
	ds_bpermute_b32 v143, v204, v205 offset:84
	;; [unrolled: 1-line block ×3, first 2 shown]
	s_waitcnt lgkmcnt(3)
	v_sub_f32_e32 v142, v188, v142
	v_mul_f32_e32 v142, v181, v142
	s_waitcnt lgkmcnt(2)
	v_mul_f32_e32 v180, v142, v140
	s_waitcnt lgkmcnt(1)
	v_sub_f32_e32 v140, v192, v143
	v_mul_f32_e32 v140, v189, v140
	s_waitcnt lgkmcnt(0)
	v_mul_f32_e32 v188, v140, v144
	ds_bpermute_b32 v140, v204, v205 offset:88
	ds_bpermute_b32 v142, v204, v198 offset:88
	;; [unrolled: 1-line block ×4, first 2 shown]
	v_pk_add_f32 v[138:139], v[138:139], v[152:153]
	s_waitcnt lgkmcnt(3)
	v_sub_f32_e32 v140, v186, v140
	v_mul_f32_e32 v140, v179, v140
	s_waitcnt lgkmcnt(2)
	v_mul_f32_e32 v178, v140, v142
	s_waitcnt lgkmcnt(1)
	v_sub_f32_e32 v140, v190, v143
	ds_bpermute_b32 v142, v204, v205 offset:96
	v_mul_f32_e32 v140, v187, v140
	s_waitcnt lgkmcnt(1)
	v_mul_f32_e32 v186, v140, v144
	ds_bpermute_b32 v140, v204, v198 offset:96
	ds_bpermute_b32 v143, v204, v205 offset:100
	;; [unrolled: 1-line block ×3, first 2 shown]
	s_waitcnt lgkmcnt(3)
	v_sub_f32_e32 v142, v194, v142
	v_mul_f32_e32 v142, v185, v142
	s_waitcnt lgkmcnt(2)
	v_mul_f32_e32 v184, v142, v140
	s_waitcnt lgkmcnt(1)
	v_sub_f32_e32 v140, v196, v143
	ds_bpermute_b32 v142, v204, v205 offset:104
	v_pk_add_f32 v[138:139], v[138:139], v[150:151]
	v_mul_f32_e32 v140, v193, v140
	v_pk_add_f32 v[138:139], v[138:139], v[160:161]
	s_waitcnt lgkmcnt(1)
	v_mul_f32_e32 v192, v140, v144
	ds_bpermute_b32 v140, v204, v198 offset:104
	ds_bpermute_b32 v143, v204, v205 offset:108
	v_pk_add_f32 v[138:139], v[138:139], v[158:159]
	ds_bpermute_b32 v144, v204, v198 offset:108
	v_pk_add_f32 v[138:139], v[138:139], v[168:169]
	s_waitcnt lgkmcnt(3)
	v_sub_f32_e32 v142, v200, v142
	v_pk_add_f32 v[138:139], v[138:139], v[166:167]
	v_mul_f32_e32 v142, v191, v142
	v_pk_add_f32 v[138:139], v[138:139], v[156:157]
	s_waitcnt lgkmcnt(2)
	v_mul_f32_e32 v190, v142, v140
	v_pk_add_f32 v[138:139], v[138:139], v[154:155]
	s_waitcnt lgkmcnt(1)
	v_sub_f32_e32 v140, v206, v143
	ds_bpermute_b32 v142, v204, v205 offset:112
	v_pk_add_f32 v[138:139], v[138:139], v[164:165]
	v_mul_f32_e32 v140, v197, v140
	v_pk_add_f32 v[138:139], v[138:139], v[162:163]
	s_waitcnt lgkmcnt(1)
	v_mul_f32_e32 v196, v140, v144
	ds_bpermute_b32 v140, v204, v198 offset:112
	ds_bpermute_b32 v143, v204, v205 offset:116
	v_pk_add_f32 v[138:139], v[138:139], v[172:173]
	ds_bpermute_b32 v144, v204, v198 offset:116
	v_pk_add_f32 v[138:139], v[138:139], v[170:171]
	s_waitcnt lgkmcnt(3)
	v_sub_f32_e32 v142, v207, v142
	v_pk_add_f32 v[138:139], v[138:139], v[176:177]
	v_mul_f32_e32 v142, v195, v142
	v_pk_add_f32 v[138:139], v[138:139], v[174:175]
	s_waitcnt lgkmcnt(2)
	v_mul_f32_e32 v194, v142, v140
	v_pk_add_f32 v[138:139], v[138:139], v[182:183]
	s_waitcnt lgkmcnt(1)
	v_sub_f32_e32 v140, v209, v143
	v_pk_add_f32 v[138:139], v[138:139], v[180:181]
	v_mul_f32_e32 v140, v201, v140
	v_pk_add_f32 v[138:139], v[138:139], v[188:189]
	s_waitcnt lgkmcnt(0)
	v_mul_f32_e32 v200, v140, v144
	ds_bpermute_b32 v140, v204, v205 offset:120
	v_pk_add_f32 v[138:139], v[138:139], v[178:179]
	ds_bpermute_b32 v143, v204, v198 offset:120
	v_pk_add_f32 v[138:139], v[138:139], v[186:187]
	;; [unrolled: 2-line block ×3, first 2 shown]
	s_waitcnt lgkmcnt(2)
	v_sub_f32_e32 v144, v208, v140
	v_pk_add_f32 v[138:139], v[138:139], v[192:193]
	ds_bpermute_b32 v140, v204, v198 offset:124
	v_pk_add_f32 v[138:139], v[138:139], v[190:191]
	v_mul_f32_e32 v144, v199, v144
	v_pk_add_f32 v[138:139], v[138:139], v[196:197]
	s_waitcnt lgkmcnt(2)
	v_mul_f32_e32 v198, v144, v143
	v_pk_add_f32 v[138:139], v[138:139], v[194:195]
	s_nop 0
	v_pk_add_f32 v[138:139], v[138:139], v[200:201]
	s_nop 0
	v_pk_add_f32 v[138:139], v[138:139], v[198:199]
	s_branch .LBB61_4
.LBB61_75:                              ;   in Loop: Header=BB61_5 Depth=1
                                        ; implicit-def: $vgpr138_vgpr139
                                        ; implicit-def: $vgpr140
                                        ; implicit-def: $vgpr141
                                        ; implicit-def: $vgpr0
                                        ; implicit-def: $vgpr142
	s_cbranch_execz .LBB61_4
; %bb.76:                               ;   in Loop: Header=BB61_5 Depth=1
	s_load_dword s9, s[24:25], 0x0
	v_mov_b32_e32 v139, 0
	s_waitcnt lgkmcnt(0)
	v_mov_b32_e32 v140, 0
	v_mov_b32_e32 v196, 0
	s_cmp_lt_u32 s2, s9
	s_cselect_b32 s9, 12, 18
	s_add_u32 s36, s24, s9
	s_addc_u32 s37, s25, 0
	global_load_ushort v0, v215, s[36:37]
	s_waitcnt vmcnt(0)
	v_mad_u32_u24 v0, v203, v0, v202
	v_and_b32_e32 v214, 63, v0
	v_cmp_gt_u32_e32 vcc, 32, v214
	s_and_saveexec_b64 s[36:37], vcc
	s_cbranch_execz .LBB61_80
; %bb.77:                               ;   in Loop: Header=BB61_5 Depth=1
	v_lshl_add_u64 v[136:137], v[136:137], 0, v[214:215]
	v_cmp_gt_i64_e32 vcc, s[12:13], v[136:137]
	v_mov_b32_e32 v196, 0
	v_mov_b32_e32 v140, 0
	s_and_saveexec_b64 s[38:39], vcc
	s_cbranch_execz .LBB61_79
; %bb.78:                               ;   in Loop: Header=BB61_5 Depth=1
	v_lshlrev_b64 v[136:137], 2, v[136:137]
	v_lshl_add_u64 v[140:141], s[22:23], 0, v[136:137]
	v_lshl_add_u64 v[136:137], s[20:21], 0, v[136:137]
	global_load_dword v196, v[136:137], off
	s_nop 0
	global_load_dword v140, v[140:141], off
.LBB61_79:                              ;   in Loop: Header=BB61_5 Depth=1
	s_or_b64 exec, exec, s[38:39]
.LBB61_80:                              ;   in Loop: Header=BB61_5 Depth=1
	s_or_b64 exec, exec, s[36:37]
	v_mov_b32_e32 v136, 0
	s_and_saveexec_b64 s[36:37], s[6:7]
	s_cbranch_execz .LBB61_82
; %bb.81:                               ;   in Loop: Header=BB61_5 Depth=1
	v_lshl_add_u64 v[136:137], v[132:133], 0, v[6:7]
	global_load_dword v139, v[136:137], off
	v_lshl_add_u64 v[136:137], v[134:135], 0, v[6:7]
	global_load_dword v136, v[136:137], off
.LBB61_82:                              ;   in Loop: Header=BB61_5 Depth=1
	s_or_b64 exec, exec, s[36:37]
	v_mov_b32_e32 v137, 0
	v_mov_b32_e32 v143, 0
	;; [unrolled: 1-line block ×3, first 2 shown]
	s_and_saveexec_b64 s[36:37], s[6:7]
	s_cbranch_execz .LBB61_84
; %bb.83:                               ;   in Loop: Header=BB61_5 Depth=1
	v_lshl_add_u64 v[142:143], v[128:129], 0, v[6:7]
	v_lshl_add_u64 v[144:145], v[130:131], 0, v[6:7]
	global_load_dword v143, v[142:143], off
	s_nop 0
	global_load_dword v142, v[144:145], off
.LBB61_84:                              ;   in Loop: Header=BB61_5 Depth=1
	s_or_b64 exec, exec, s[36:37]
	v_mov_b32_e32 v144, 0
	s_and_saveexec_b64 s[36:37], s[6:7]
	s_cbranch_execz .LBB61_86
; %bb.85:                               ;   in Loop: Header=BB61_5 Depth=1
	v_lshl_add_u64 v[144:145], v[124:125], 0, v[6:7]
	global_load_dword v137, v[144:145], off
	v_lshl_add_u64 v[144:145], v[126:127], 0, v[6:7]
	global_load_dword v144, v[144:145], off
.LBB61_86:                              ;   in Loop: Header=BB61_5 Depth=1
	s_or_b64 exec, exec, s[36:37]
	v_mov_b32_e32 v145, 0
	v_mov_b32_e32 v147, 0
	;; [unrolled: 1-line block ×3, first 2 shown]
	s_and_saveexec_b64 s[36:37], s[6:7]
	s_cbranch_execz .LBB61_88
; %bb.87:                               ;   in Loop: Header=BB61_5 Depth=1
	v_lshl_add_u64 v[146:147], v[120:121], 0, v[6:7]
	v_lshl_add_u64 v[148:149], v[122:123], 0, v[6:7]
	global_load_dword v147, v[146:147], off
	s_nop 0
	global_load_dword v146, v[148:149], off
.LBB61_88:                              ;   in Loop: Header=BB61_5 Depth=1
	s_or_b64 exec, exec, s[36:37]
	v_mov_b32_e32 v148, 0
	s_and_saveexec_b64 s[36:37], s[6:7]
	s_cbranch_execz .LBB61_90
; %bb.89:                               ;   in Loop: Header=BB61_5 Depth=1
	v_lshl_add_u64 v[148:149], v[116:117], 0, v[6:7]
	global_load_dword v145, v[148:149], off
	v_lshl_add_u64 v[148:149], v[118:119], 0, v[6:7]
	global_load_dword v148, v[148:149], off
.LBB61_90:                              ;   in Loop: Header=BB61_5 Depth=1
	s_or_b64 exec, exec, s[36:37]
	v_mov_b32_e32 v151, 0
	v_mov_b32_e32 v155, 0
	;; [unrolled: 1-line block ×3, first 2 shown]
	s_and_saveexec_b64 s[36:37], s[6:7]
	s_cbranch_execz .LBB61_92
; %bb.91:                               ;   in Loop: Header=BB61_5 Depth=1
	v_lshl_add_u64 v[152:153], v[112:113], 0, v[6:7]
	global_load_dword v155, v[152:153], off
	v_lshl_add_u64 v[152:153], v[114:115], 0, v[6:7]
	global_load_dword v150, v[152:153], off
.LBB61_92:                              ;   in Loop: Header=BB61_5 Depth=1
	s_or_b64 exec, exec, s[36:37]
	v_mov_b32_e32 v152, 0
	s_and_saveexec_b64 s[36:37], s[6:7]
	s_cbranch_execz .LBB61_94
; %bb.93:                               ;   in Loop: Header=BB61_5 Depth=1
	v_lshl_add_u64 v[152:153], v[108:109], 0, v[6:7]
	global_load_dword v151, v[152:153], off
	v_lshl_add_u64 v[152:153], v[110:111], 0, v[6:7]
	global_load_dword v152, v[152:153], off
.LBB61_94:                              ;   in Loop: Header=BB61_5 Depth=1
	s_or_b64 exec, exec, s[36:37]
	v_mov_b32_e32 v157, 0
	v_mov_b32_e32 v163, 0
	;; [unrolled: 1-line block ×3, first 2 shown]
	s_and_saveexec_b64 s[36:37], s[6:7]
	s_cbranch_execz .LBB61_96
; %bb.95:                               ;   in Loop: Header=BB61_5 Depth=1
	v_lshl_add_u64 v[158:159], v[104:105], 0, v[6:7]
	global_load_dword v163, v[158:159], off
	v_lshl_add_u64 v[158:159], v[106:107], 0, v[6:7]
	global_load_dword v156, v[158:159], off
.LBB61_96:                              ;   in Loop: Header=BB61_5 Depth=1
	s_or_b64 exec, exec, s[36:37]
	v_mov_b32_e32 v160, 0
	s_and_saveexec_b64 s[36:37], s[6:7]
	s_cbranch_execz .LBB61_98
; %bb.97:                               ;   in Loop: Header=BB61_5 Depth=1
	v_lshl_add_u64 v[158:159], v[100:101], 0, v[6:7]
	global_load_dword v157, v[158:159], off
	v_lshl_add_u64 v[158:159], v[102:103], 0, v[6:7]
	global_load_dword v160, v[158:159], off
.LBB61_98:                              ;   in Loop: Header=BB61_5 Depth=1
	s_or_b64 exec, exec, s[36:37]
	v_mov_b32_e32 v165, 0
	v_mov_b32_e32 v167, 0
	;; [unrolled: 1-line block ×3, first 2 shown]
	s_and_saveexec_b64 s[36:37], s[6:7]
	s_cbranch_execz .LBB61_100
; %bb.99:                               ;   in Loop: Header=BB61_5 Depth=1
	v_lshl_add_u64 v[158:159], v[96:97], 0, v[6:7]
	global_load_dword v167, v[158:159], off
	v_lshl_add_u64 v[158:159], v[98:99], 0, v[6:7]
	global_load_dword v164, v[158:159], off
.LBB61_100:                             ;   in Loop: Header=BB61_5 Depth=1
	s_or_b64 exec, exec, s[36:37]
	v_mov_b32_e32 v172, 0
	s_and_saveexec_b64 s[36:37], s[6:7]
	s_cbranch_execz .LBB61_102
; %bb.101:                              ;   in Loop: Header=BB61_5 Depth=1
	v_lshl_add_u64 v[158:159], v[92:93], 0, v[6:7]
	global_load_dword v165, v[158:159], off
	v_lshl_add_u64 v[158:159], v[94:95], 0, v[6:7]
	global_load_dword v172, v[158:159], off
.LBB61_102:                             ;   in Loop: Header=BB61_5 Depth=1
	s_or_b64 exec, exec, s[36:37]
	v_mov_b32_e32 v149, 0
	v_mov_b32_e32 v153, 0
	v_mov_b32_e32 v158, 0
	s_and_saveexec_b64 s[36:37], s[6:7]
	s_cbranch_execz .LBB61_104
; %bb.103:                              ;   in Loop: Header=BB61_5 Depth=1
	v_lshl_add_u64 v[158:159], v[88:89], 0, v[6:7]
	global_load_dword v153, v[158:159], off
	v_lshl_add_u64 v[158:159], v[90:91], 0, v[6:7]
	global_load_dword v158, v[158:159], off
.LBB61_104:                             ;   in Loop: Header=BB61_5 Depth=1
	s_or_b64 exec, exec, s[36:37]
	v_mov_b32_e32 v168, 0
	s_and_saveexec_b64 s[36:37], s[6:7]
	s_cbranch_execz .LBB61_106
; %bb.105:                              ;   in Loop: Header=BB61_5 Depth=1
	v_lshl_add_u64 v[168:169], v[84:85], 0, v[6:7]
	global_load_dword v149, v[168:169], off
	v_lshl_add_u64 v[168:169], v[86:87], 0, v[6:7]
	global_load_dword v168, v[168:169], off
.LBB61_106:                             ;   in Loop: Header=BB61_5 Depth=1
	s_or_b64 exec, exec, s[36:37]
	v_mov_b32_e32 v159, 0
	v_mov_b32_e32 v161, 0
	v_mov_b32_e32 v170, 0
	s_and_saveexec_b64 s[36:37], s[6:7]
	s_cbranch_execz .LBB61_108
; %bb.107:                              ;   in Loop: Header=BB61_5 Depth=1
	v_lshl_add_u64 v[170:171], v[80:81], 0, v[6:7]
	global_load_dword v161, v[170:171], off
	v_lshl_add_u64 v[170:171], v[82:83], 0, v[6:7]
	global_load_dword v170, v[170:171], off
.LBB61_108:                             ;   in Loop: Header=BB61_5 Depth=1
	;; [unrolled: 22-line block ×4, first 2 shown]
	s_or_b64 exec, exec, s[36:37]
	v_mov_b32_e32 v182, 0
	s_and_saveexec_b64 s[36:37], s[6:7]
	s_cbranch_execz .LBB61_118
; %bb.117:                              ;   in Loop: Header=BB61_5 Depth=1
	v_lshl_add_u64 v[182:183], v[60:61], 0, v[6:7]
	global_load_dword v175, v[182:183], off
	v_lshl_add_u64 v[182:183], v[62:63], 0, v[6:7]
	global_load_dword v182, v[182:183], off
.LBB61_118:                             ;   in Loop: Header=BB61_5 Depth=1
	s_or_b64 exec, exec, s[36:37]
	v_mov_b32_e32 v181, 0
	v_mov_b32_e32 v185, 0
	v_mov_b32_e32 v184, 0
	s_and_saveexec_b64 s[36:37], s[6:7]
	s_cbranch_execz .LBB61_120
; %bb.119:                              ;   in Loop: Header=BB61_5 Depth=1
	v_lshl_add_u64 v[184:185], v[56:57], 0, v[6:7]
	v_lshl_add_u64 v[186:187], v[58:59], 0, v[6:7]
	global_load_dword v185, v[184:185], off
	s_nop 0
	global_load_dword v184, v[186:187], off
.LBB61_120:                             ;   in Loop: Header=BB61_5 Depth=1
	s_or_b64 exec, exec, s[36:37]
	v_mov_b32_e32 v188, 0
	s_and_saveexec_b64 s[36:37], s[6:7]
	s_cbranch_execz .LBB61_122
; %bb.121:                              ;   in Loop: Header=BB61_5 Depth=1
	v_lshl_add_u64 v[186:187], v[52:53], 0, v[6:7]
	global_load_dword v181, v[186:187], off
	v_lshl_add_u64 v[186:187], v[54:55], 0, v[6:7]
	global_load_dword v188, v[186:187], off
.LBB61_122:                             ;   in Loop: Header=BB61_5 Depth=1
	s_or_b64 exec, exec, s[36:37]
	v_mov_b32_e32 v173, 0
	v_mov_b32_e32 v191, 0
	v_mov_b32_e32 v190, 0
	s_and_saveexec_b64 s[36:37], s[6:7]
	s_cbranch_execz .LBB61_124
; %bb.123:                              ;   in Loop: Header=BB61_5 Depth=1
	v_lshl_add_u64 v[186:187], v[48:49], 0, v[6:7]
	global_load_dword v191, v[186:187], off
	v_lshl_add_u64 v[186:187], v[50:51], 0, v[6:7]
	global_load_dword v190, v[186:187], off
.LBB61_124:                             ;   in Loop: Header=BB61_5 Depth=1
	s_or_b64 exec, exec, s[36:37]
	v_mov_b32_e32 v186, 0
	s_and_saveexec_b64 s[36:37], s[6:7]
	s_cbranch_execz .LBB61_126
; %bb.125:                              ;   in Loop: Header=BB61_5 Depth=1
	v_lshl_add_u64 v[186:187], v[44:45], 0, v[6:7]
	global_load_dword v173, v[186:187], off
	v_lshl_add_u64 v[186:187], v[46:47], 0, v[6:7]
	global_load_dword v186, v[186:187], off
.LBB61_126:                             ;   in Loop: Header=BB61_5 Depth=1
	s_or_b64 exec, exec, s[36:37]
	v_mov_b32_e32 v179, 0
	v_mov_b32_e32 v183, 0
	v_mov_b32_e32 v192, 0
	s_and_saveexec_b64 s[36:37], s[6:7]
	s_cbranch_execz .LBB61_128
; %bb.127:                              ;   in Loop: Header=BB61_5 Depth=1
	v_lshl_add_u64 v[192:193], v[40:41], 0, v[6:7]
	global_load_dword v183, v[192:193], off
	v_lshl_add_u64 v[192:193], v[42:43], 0, v[6:7]
	global_load_dword v192, v[192:193], off
.LBB61_128:                             ;   in Loop: Header=BB61_5 Depth=1
	;; [unrolled: 22-line block ×5, first 2 shown]
	s_or_b64 exec, exec, s[36:37]
	v_mov_b32_e32 v201, 0
	s_and_saveexec_b64 s[36:37], s[6:7]
	s_cbranch_execz .LBB61_142
; %bb.141:                              ;   in Loop: Header=BB61_5 Depth=1
	v_lshl_add_u64 v[208:209], v[12:13], 0, v[6:7]
	global_load_dword v197, v[208:209], off
	v_lshl_add_u64 v[208:209], v[14:15], 0, v[6:7]
	global_load_dword v201, v[208:209], off
.LBB61_142:                             ;   in Loop: Header=BB61_5 Depth=1
	s_or_b64 exec, exec, s[36:37]
	v_mov_b32_e32 v141, 0
	v_mov_b32_e32 v0, 0
	s_and_saveexec_b64 s[36:37], s[6:7]
	s_cbranch_execz .LBB61_3
; %bb.143:                              ;   in Loop: Header=BB61_5 Depth=1
	v_lshl_add_u64 v[208:209], v[8:9], 0, v[6:7]
	global_load_dword v141, v[208:209], off
	v_lshl_add_u64 v[208:209], v[10:11], 0, v[6:7]
	global_load_dword v0, v[208:209], off
	s_branch .LBB61_3
.LBB61_144:
                                        ; implicit-def: $vgpr3
	s_branch .LBB61_147
.LBB61_145:
	v_mov_b32_e32 v0, v212
.LBB61_146:
	s_cbranch_execnz .LBB61_228
.LBB61_147:
	v_mov_b32_e32 v3, 0
	s_mov_b32 s7, 0
	s_and_b64 vcc, exec, s[4:5]
	v_mov_b32_e32 v2, v3
	s_cbranch_vccnz .LBB61_228
; %bb.148:
	v_and_b32_e32 v1, 0x3ff, v0
	v_add_u32_e32 v80, s3, v1
	v_mov_b32_e32 v81, 0
	v_accvgpr_write_b32 a1, v0
	v_bfe_u32 v0, v0, 10, 10
	v_lshlrev_b64 v[8:9], 2, v[80:81]
	v_lshlrev_b32_e32 v80, 7, v0
	v_accvgpr_write_b32 a0, v1
	v_lshlrev_b32_e32 v242, 5, v0
	v_accvgpr_write_b32 a2, v0
	v_lshl_add_u64 v[0:1], s[10:11], 2, v[80:81]
	v_lshl_add_u64 v[40:41], v[0:1], 0, 4
	v_mov_b64_e32 v[6:7], s[16:17]
	v_mad_u64_u32 v[2:3], s[24:25], s14, v40, v[6:7]
	v_mul_lo_u32 v41, s14, v41
	v_mul_lo_u32 v70, s15, v40
	v_add3_u32 v3, v70, v3, v41
	v_accvgpr_write_b32 a7, v3
	v_lshl_add_u64 v[48:49], v[0:1], 0, 8
	v_accvgpr_write_b32 a6, v2
	v_mad_u64_u32 v[2:3], s[26:27], s14, v48, v[6:7]
	v_mul_lo_u32 v49, s14, v49
	v_mul_lo_u32 v71, s15, v48
	v_add3_u32 v3, v71, v3, v49
	v_accvgpr_write_b32 a9, v3
	v_lshl_add_u64 v[50:51], v[0:1], 0, 12
	v_accvgpr_write_b32 a8, v2
	;; [unrolled: 7-line block ×15, first 2 shown]
	v_mad_u64_u32 v[2:3], s[26:27], s14, v36, v[6:7]
	v_mul_lo_u32 v37, s14, v37
	v_mul_lo_u32 v106, s15, v36
	v_add3_u32 v3, v106, v3, v37
	s_mov_b64 s[26:27], 0x44
	v_accvgpr_write_b32 a37, v3
	v_lshl_add_u64 v[34:35], v[0:1], 0, s[26:27]
	v_accvgpr_write_b32 a36, v2
	v_mad_u64_u32 v[2:3], s[26:27], s14, v34, v[6:7]
	v_mul_lo_u32 v35, s14, v35
	v_mul_lo_u32 v108, s15, v34
	v_add3_u32 v3, v108, v3, v35
	s_mov_b64 s[26:27], 0x48
	v_accvgpr_write_b32 a39, v3
	v_lshl_add_u64 v[32:33], v[0:1], 0, s[26:27]
	v_accvgpr_write_b32 a38, v2
	;; [unrolled: 8-line block ×14, first 2 shown]
	v_mad_u64_u32 v[2:3], s[26:27], s14, v4, v[6:7]
	v_mul_lo_u32 v134, s14, v5
	v_mul_lo_u32 v135, s15, v4
	v_add3_u32 v3, v135, v3, v134
	v_accvgpr_write_b32 a65, v3
	s_mov_b64 s[26:27], 0x7c
	v_accvgpr_write_b32 a64, v2
	v_lshl_add_u64 v[2:3], v[0:1], 0, s[26:27]
	v_mad_u64_u32 v[0:1], s[26:27], s14, v2, v[6:7]
	v_mul_lo_u32 v136, s14, v3
	v_mul_lo_u32 v137, s15, v2
	v_add3_u32 v1, v137, v1, v136
	v_mov_b32_e32 v243, v81
	v_accvgpr_write_b32 a67, v1
	v_accvgpr_write_b32 a66, v0
	v_lshl_add_u64 v[0:1], v[242:243], 0, s[10:11]
	v_mul_lo_u32 v3, s15, v0
	v_mul_lo_u32 v5, s14, v1
	v_mad_u64_u32 v[6:7], s[26:27], s14, v0, 0
	v_add3_u32 v7, v7, v5, v3
	v_lshlrev_b64 v[6:7], 2, v[6:7]
	v_lshl_add_u64 v[68:69], s[16:17], 0, v[6:7]
	v_accvgpr_write_b32 a68, v68
	v_accvgpr_write_b32 a69, v69
	v_mov_b64_e32 v[68:69], s[18:19]
	v_mad_u64_u32 v[94:95], s[26:27], s14, v54, v[68:69]
	v_add3_u32 v95, v96, v95, v55
	v_mad_u64_u32 v[96:97], s[26:27], s14, v46, v[68:69]
	v_add3_u32 v97, v98, v97, v47
	;; [unrolled: 2-line block ×21, first 2 shown]
	v_lshl_add_u64 v[136:137], s[18:19], 0, v[6:7]
	v_lshl_add_u64 v[6:7], v[0:1], 0, 31
	v_mul_lo_u32 v2, s15, v6
	v_mul_lo_u32 v4, s14, v7
	v_mad_u64_u32 v[6:7], s[28:29], s14, v6, 0
	v_add3_u32 v7, v7, v4, v2
	v_lshlrev_b64 v[6:7], 2, v[6:7]
	v_lshl_add_u64 v[138:139], s[16:17], 0, v[6:7]
	v_lshl_add_u64 v[140:141], s[18:19], 0, v[6:7]
	v_lshl_add_u64 v[6:7], v[0:1], 0, 30
	v_mul_lo_u32 v2, s15, v6
	v_mul_lo_u32 v4, s14, v7
	v_mad_u64_u32 v[6:7], s[28:29], s14, v6, 0
	v_add3_u32 v7, v7, v4, v2
	v_lshlrev_b64 v[6:7], 2, v[6:7]
	v_lshl_add_u64 v[142:143], s[16:17], 0, v[6:7]
	v_lshl_add_u64 v[144:145], s[18:19], 0, v[6:7]
	v_lshl_add_u64 v[6:7], v[0:1], 0, 29
	v_mul_lo_u32 v2, s15, v6
	v_mul_lo_u32 v4, s14, v7
	v_mad_u64_u32 v[6:7], s[28:29], s14, v6, 0
	v_add3_u32 v7, v7, v4, v2
	v_lshlrev_b64 v[6:7], 2, v[6:7]
	v_lshl_add_u64 v[146:147], s[16:17], 0, v[6:7]
	v_lshl_add_u64 v[148:149], s[18:19], 0, v[6:7]
	v_lshl_add_u64 v[6:7], v[0:1], 0, 28
	v_mul_lo_u32 v2, s15, v6
	v_mul_lo_u32 v4, s14, v7
	v_mad_u64_u32 v[6:7], s[28:29], s14, v6, 0
	v_add3_u32 v7, v7, v4, v2
	v_lshlrev_b64 v[6:7], 2, v[6:7]
	v_lshl_add_u64 v[150:151], s[16:17], 0, v[6:7]
	v_lshl_add_u64 v[152:153], s[18:19], 0, v[6:7]
	v_lshl_add_u64 v[6:7], v[0:1], 0, 27
	v_mul_lo_u32 v2, s15, v6
	v_mul_lo_u32 v4, s14, v7
	v_mad_u64_u32 v[6:7], s[28:29], s14, v6, 0
	v_add3_u32 v7, v7, v4, v2
	v_lshlrev_b64 v[6:7], 2, v[6:7]
	v_lshl_add_u64 v[154:155], s[16:17], 0, v[6:7]
	v_lshl_add_u64 v[156:157], s[18:19], 0, v[6:7]
	v_lshl_add_u64 v[6:7], v[0:1], 0, 26
	v_mul_lo_u32 v2, s15, v6
	v_mul_lo_u32 v4, s14, v7
	v_mad_u64_u32 v[6:7], s[28:29], s14, v6, 0
	v_add3_u32 v7, v7, v4, v2
	v_lshlrev_b64 v[6:7], 2, v[6:7]
	v_lshl_add_u64 v[158:159], s[16:17], 0, v[6:7]
	v_lshl_add_u64 v[160:161], s[18:19], 0, v[6:7]
	v_lshl_add_u64 v[6:7], v[0:1], 0, 25
	v_mul_lo_u32 v2, s15, v6
	v_mul_lo_u32 v4, s14, v7
	v_mad_u64_u32 v[6:7], s[28:29], s14, v6, 0
	v_add3_u32 v7, v7, v4, v2
	v_lshlrev_b64 v[6:7], 2, v[6:7]
	v_lshl_add_u64 v[162:163], s[16:17], 0, v[6:7]
	v_lshl_add_u64 v[164:165], s[18:19], 0, v[6:7]
	v_lshl_add_u64 v[6:7], v[0:1], 0, 24
	v_mul_lo_u32 v2, s15, v6
	v_mul_lo_u32 v4, s14, v7
	v_mad_u64_u32 v[6:7], s[28:29], s14, v6, 0
	v_add3_u32 v7, v7, v4, v2
	v_lshlrev_b64 v[6:7], 2, v[6:7]
	v_lshl_add_u64 v[166:167], s[16:17], 0, v[6:7]
	v_lshl_add_u64 v[168:169], s[18:19], 0, v[6:7]
	v_lshl_add_u64 v[6:7], v[0:1], 0, 23
	v_mul_lo_u32 v2, s15, v6
	v_mul_lo_u32 v4, s14, v7
	v_mad_u64_u32 v[6:7], s[28:29], s14, v6, 0
	v_add3_u32 v7, v7, v4, v2
	v_lshlrev_b64 v[6:7], 2, v[6:7]
	v_lshl_add_u64 v[170:171], s[16:17], 0, v[6:7]
	v_lshl_add_u64 v[172:173], s[18:19], 0, v[6:7]
	v_lshl_add_u64 v[6:7], v[0:1], 0, 22
	v_mul_lo_u32 v2, s15, v6
	v_mul_lo_u32 v4, s14, v7
	v_mad_u64_u32 v[6:7], s[28:29], s14, v6, 0
	v_add3_u32 v7, v7, v4, v2
	v_lshlrev_b64 v[6:7], 2, v[6:7]
	v_lshl_add_u64 v[174:175], s[16:17], 0, v[6:7]
	v_lshl_add_u64 v[176:177], s[18:19], 0, v[6:7]
	v_lshl_add_u64 v[6:7], v[0:1], 0, 21
	v_mul_lo_u32 v2, s15, v6
	v_mul_lo_u32 v4, s14, v7
	v_mad_u64_u32 v[6:7], s[28:29], s14, v6, 0
	v_add3_u32 v7, v7, v4, v2
	v_lshlrev_b64 v[6:7], 2, v[6:7]
	v_lshl_add_u64 v[178:179], s[16:17], 0, v[6:7]
	v_lshl_add_u64 v[180:181], s[18:19], 0, v[6:7]
	v_lshl_add_u64 v[6:7], v[0:1], 0, 20
	v_mul_lo_u32 v2, s15, v6
	v_mul_lo_u32 v4, s14, v7
	v_mad_u64_u32 v[6:7], s[28:29], s14, v6, 0
	v_add3_u32 v7, v7, v4, v2
	v_lshlrev_b64 v[6:7], 2, v[6:7]
	v_lshl_add_u64 v[182:183], s[16:17], 0, v[6:7]
	v_lshl_add_u64 v[184:185], s[18:19], 0, v[6:7]
	v_lshl_add_u64 v[6:7], v[0:1], 0, 19
	v_mul_lo_u32 v2, s15, v6
	v_mul_lo_u32 v4, s14, v7
	v_mad_u64_u32 v[6:7], s[28:29], s14, v6, 0
	v_add3_u32 v7, v7, v4, v2
	v_lshlrev_b64 v[6:7], 2, v[6:7]
	v_lshl_add_u64 v[186:187], s[16:17], 0, v[6:7]
	v_lshl_add_u64 v[188:189], s[18:19], 0, v[6:7]
	v_lshl_add_u64 v[6:7], v[0:1], 0, 18
	v_mul_lo_u32 v2, s15, v6
	v_mul_lo_u32 v4, s14, v7
	v_mad_u64_u32 v[6:7], s[28:29], s14, v6, 0
	v_add3_u32 v7, v7, v4, v2
	v_lshlrev_b64 v[6:7], 2, v[6:7]
	v_lshl_add_u64 v[190:191], s[16:17], 0, v[6:7]
	v_lshl_add_u64 v[192:193], s[18:19], 0, v[6:7]
	v_lshl_add_u64 v[6:7], v[0:1], 0, 17
	v_mul_lo_u32 v2, s15, v6
	v_mul_lo_u32 v4, s14, v7
	v_mad_u64_u32 v[6:7], s[28:29], s14, v6, 0
	v_add3_u32 v7, v7, v4, v2
	v_lshlrev_b64 v[6:7], 2, v[6:7]
	v_lshl_add_u64 v[194:195], s[16:17], 0, v[6:7]
	v_lshl_add_u64 v[196:197], s[18:19], 0, v[6:7]
	v_lshl_add_u64 v[6:7], v[0:1], 0, 16
	v_mul_lo_u32 v2, s15, v6
	v_mul_lo_u32 v4, s14, v7
	v_mad_u64_u32 v[6:7], s[28:29], s14, v6, 0
	v_add3_u32 v7, v7, v4, v2
	v_lshlrev_b64 v[6:7], 2, v[6:7]
	v_lshl_add_u64 v[198:199], s[16:17], 0, v[6:7]
	v_lshl_add_u64 v[200:201], s[18:19], 0, v[6:7]
	v_lshl_add_u64 v[6:7], v[0:1], 0, 15
	v_mul_lo_u32 v2, s15, v6
	v_mul_lo_u32 v4, s14, v7
	v_mad_u64_u32 v[6:7], s[28:29], s14, v6, 0
	v_add3_u32 v7, v7, v4, v2
	v_lshlrev_b64 v[6:7], 2, v[6:7]
	v_lshl_add_u64 v[202:203], s[16:17], 0, v[6:7]
	v_lshl_add_u64 v[204:205], s[18:19], 0, v[6:7]
	v_lshl_add_u64 v[6:7], v[0:1], 0, 14
	v_mul_lo_u32 v2, s15, v6
	v_mul_lo_u32 v4, s14, v7
	v_mad_u64_u32 v[6:7], s[28:29], s14, v6, 0
	v_add3_u32 v7, v7, v4, v2
	v_lshlrev_b64 v[6:7], 2, v[6:7]
	v_lshl_add_u64 v[206:207], s[16:17], 0, v[6:7]
	v_lshl_add_u64 v[208:209], s[18:19], 0, v[6:7]
	v_lshl_add_u64 v[6:7], v[0:1], 0, 13
	v_mul_lo_u32 v2, s15, v6
	v_mul_lo_u32 v4, s14, v7
	v_mad_u64_u32 v[6:7], s[28:29], s14, v6, 0
	v_add3_u32 v7, v7, v4, v2
	v_lshlrev_b64 v[6:7], 2, v[6:7]
	v_lshl_add_u64 v[210:211], s[16:17], 0, v[6:7]
	v_lshl_add_u64 v[212:213], s[18:19], 0, v[6:7]
	v_lshl_add_u64 v[6:7], v[0:1], 0, 12
	v_mul_lo_u32 v2, s15, v6
	v_mul_lo_u32 v4, s14, v7
	v_mad_u64_u32 v[6:7], s[28:29], s14, v6, 0
	v_add3_u32 v7, v7, v4, v2
	v_lshlrev_b64 v[6:7], 2, v[6:7]
	v_lshl_add_u64 v[214:215], s[16:17], 0, v[6:7]
	v_lshl_add_u64 v[216:217], s[18:19], 0, v[6:7]
	v_lshl_add_u64 v[6:7], v[0:1], 0, 11
	v_mul_lo_u32 v2, s15, v6
	v_mul_lo_u32 v4, s14, v7
	v_mad_u64_u32 v[6:7], s[28:29], s14, v6, 0
	v_add3_u32 v7, v7, v4, v2
	v_lshlrev_b64 v[6:7], 2, v[6:7]
	v_lshl_add_u64 v[218:219], s[16:17], 0, v[6:7]
	v_lshl_add_u64 v[220:221], s[18:19], 0, v[6:7]
	v_lshl_add_u64 v[6:7], v[0:1], 0, 10
	v_mul_lo_u32 v2, s15, v6
	v_mul_lo_u32 v4, s14, v7
	v_mad_u64_u32 v[6:7], s[28:29], s14, v6, 0
	v_add3_u32 v7, v7, v4, v2
	v_lshlrev_b64 v[6:7], 2, v[6:7]
	v_lshl_add_u64 v[222:223], s[16:17], 0, v[6:7]
	v_lshl_add_u64 v[224:225], s[18:19], 0, v[6:7]
	v_lshl_add_u64 v[6:7], v[0:1], 0, 9
	v_mul_lo_u32 v2, s15, v6
	v_mul_lo_u32 v4, s14, v7
	v_mad_u64_u32 v[6:7], s[28:29], s14, v6, 0
	v_add3_u32 v7, v7, v4, v2
	v_lshlrev_b64 v[6:7], 2, v[6:7]
	v_lshl_add_u64 v[226:227], s[16:17], 0, v[6:7]
	v_lshl_add_u64 v[228:229], s[18:19], 0, v[6:7]
	v_lshl_add_u64 v[6:7], v[0:1], 0, 8
	v_mul_lo_u32 v2, s15, v6
	v_mul_lo_u32 v4, s14, v7
	v_mad_u64_u32 v[6:7], s[28:29], s14, v6, 0
	v_add3_u32 v7, v7, v4, v2
	v_lshlrev_b64 v[6:7], 2, v[6:7]
	v_lshl_add_u64 v[230:231], s[16:17], 0, v[6:7]
	v_lshl_add_u64 v[232:233], s[18:19], 0, v[6:7]
	v_lshl_add_u64 v[6:7], v[0:1], 0, 7
	v_mul_lo_u32 v2, s15, v6
	v_mul_lo_u32 v4, s14, v7
	v_mad_u64_u32 v[6:7], s[28:29], s14, v6, 0
	v_lshl_add_u64 v[10:11], v[0:1], 0, 6
	v_add3_u32 v7, v7, v4, v2
	v_mul_lo_u32 v2, s15, v10
	v_mul_lo_u32 v4, s14, v11
	v_mad_u64_u32 v[10:11], s[28:29], s14, v10, 0
	v_lshl_add_u64 v[12:13], v[0:1], 0, 5
	v_add3_u32 v11, v11, v4, v2
	;; [unrolled: 5-line block ×4, first 2 shown]
	v_mul_lo_u32 v2, s15, v16
	v_mul_lo_u32 v4, s14, v17
	v_mad_u64_u32 v[16:17], s[28:29], s14, v16, 0
	v_lshl_add_u64 v[18:19], v[0:1], 0, 2
	v_mad_u64_u32 v[82:83], s[26:27], s14, v40, v[68:69]
	v_add3_u32 v17, v17, v4, v2
	v_mul_lo_u32 v1, s15, v18
	v_mul_lo_u32 v2, s14, v19
	v_mad_u64_u32 v[18:19], s[28:29], s14, v18, 0
	v_mov_b64_e32 v[20:21], s[14:15]
	v_add3_u32 v83, v70, v83, v41
	v_mad_u64_u32 v[40:41], s[26:27], s14, v48, v[68:69]
	v_add3_u32 v19, v19, v2, v1
	v_mad_u64_u32 v[0:1], s[28:29], s14, v0, v[20:21]
	s_load_dword s3, s[0:1], 0x44
	v_add3_u32 v41, v71, v41, v49
	v_add3_u32 v1, v3, v1, v5
	v_lshlrev_b64 v[2:3], 2, v[12:13]
	v_accvgpr_write_b32 a73, v41
	v_mov_b64_e32 v[12:13], v[242:243]
	v_lshl_add_u64 v[242:243], s[16:17], 0, v[2:3]
	v_lshl_add_u64 v[244:245], s[18:19], 0, v[2:3]
	v_lshlrev_b64 v[2:3], 2, v[14:15]
	v_accvgpr_write_b32 a72, v40
	v_mad_u64_u32 v[40:41], s[26:27], s14, v50, v[68:69]
	v_lshl_add_u64 v[246:247], s[16:17], 0, v[2:3]
	v_lshl_add_u64 v[248:249], s[18:19], 0, v[2:3]
	v_lshlrev_b64 v[2:3], 2, v[16:17]
	v_add3_u32 v41, v72, v41, v51
	v_lshl_add_u64 v[250:251], s[16:17], 0, v[2:3]
	v_lshl_add_u64 v[252:253], s[18:19], 0, v[2:3]
	v_lshlrev_b64 v[2:3], 2, v[18:19]
	s_add_u32 s4, s0, 64
	v_accvgpr_write_b32 a75, v41
	v_lshlrev_b64 v[6:7], 2, v[6:7]
	v_lshl_add_u64 v[254:255], s[16:17], 0, v[2:3]
	v_lshl_add_u64 v[4:5], s[18:19], 0, v[2:3]
	v_lshlrev_b64 v[2:3], 2, v[0:1]
	s_addc_u32 s5, s1, 0
	s_waitcnt lgkmcnt(0)
	s_lshl_b32 s6, s3, 5
	v_accvgpr_write_b32 a74, v40
	v_mad_u64_u32 v[40:41], s[26:27], s14, v52, v[68:69]
	v_lshl_add_u64 v[234:235], s[16:17], 0, v[6:7]
	v_lshl_add_u64 v[236:237], s[18:19], 0, v[6:7]
	v_lshlrev_b64 v[6:7], 2, v[10:11]
	v_lshl_add_u64 v[0:1], s[16:17], 0, v[2:3]
	v_lshl_add_u64 v[10:11], s[18:19], 0, v[2:3]
	v_mbcnt_lo_u32_b32 v2, -1, 0
	s_mul_i32 s3, s15, s6
	s_mul_hi_u32 s9, s14, s6
	v_accvgpr_write_b32 a70, v82
	v_add3_u32 v41, v73, v41, v53
	v_mbcnt_hi_u32_b32 v2, -1, v2
	s_add_i32 s25, s9, s3
	s_mul_i32 s24, s14, s6
	v_accvgpr_write_b32 a71, v83
	v_accvgpr_write_b32 a77, v41
	v_mad_u64_u32 v[82:83], s[26:27], s14, v56, v[68:69]
	v_mad_u64_u32 v[84:85], s[26:27], s14, v60, v[68:69]
	;; [unrolled: 1-line block ×6, first 2 shown]
	v_lshlrev_b32_e32 v2, 2, v2
	s_lshl_b64 s[24:25], s[24:25], 2
	v_accvgpr_write_b32 a76, v40
	v_add3_u32 v83, v74, v83, v57
	v_add3_u32 v85, v75, v85, v61
	v_add3_u32 v87, v76, v87, v63
	v_add3_u32 v89, v77, v89, v67
	v_add3_u32 v91, v78, v91, v65
	v_add3_u32 v93, v79, v93, v59
	s_mov_b64 s[26:27], 31
	v_lshl_add_u64 v[238:239], s[16:17], 0, v[6:7]
	v_lshl_add_u64 v[240:241], s[18:19], 0, v[6:7]
	v_and_b32_e32 v76, 0x100, v2
	v_mov_b32_e32 v2, v81
	v_accvgpr_write_b32 a3, v81
	v_mov_b32_e32 v3, v81
	v_accvgpr_read_b32 v81, a2
	s_mov_b64 s[16:17], s[10:11]
.LBB61_149:                             ; =>This Inner Loop Header: Depth=1
	s_add_u32 s18, s10, s26
	s_addc_u32 s19, 0, s27
	v_mov_b64_e32 v[6:7], s[12:13]
	v_cmp_ge_i64_e32 vcc, s[18:19], v[6:7]
	v_accvgpr_write_b32 a4, v12
	v_accvgpr_write_b32 a5, v13
	v_lshl_add_u64 v[14:15], s[10:11], 0, v[12:13]
	s_cbranch_vccz .LBB61_219
; %bb.150:                              ;   in Loop: Header=BB61_149 Depth=1
	s_load_dword s3, s[4:5], 0xc
	v_accvgpr_read_b32 v6, a0
	v_accvgpr_read_b32 v7, a3
	v_mov_b32_e32 v35, 0
	v_mov_b32_e32 v77, 0
	s_waitcnt lgkmcnt(0)
	s_and_b32 s3, s3, 0xffff
	v_mad_u32_u24 v6, v81, s3, v6
	v_and_b32_e32 v6, 63, v6
	v_accvgpr_write_b32 a2, v6
	v_accvgpr_write_b32 a3, v7
	v_cmp_gt_u32_e32 vcc, 32, v6
	v_mov_b32_e32 v12, 0
	s_and_saveexec_b64 s[18:19], vcc
	s_cbranch_execz .LBB61_154
; %bb.151:                              ;   in Loop: Header=BB61_149 Depth=1
	v_accvgpr_read_b32 v7, a3
	v_accvgpr_read_b32 v6, a2
	v_lshl_add_u64 v[6:7], v[14:15], 0, v[6:7]
	v_cmp_gt_i64_e32 vcc, s[12:13], v[6:7]
	v_mov_b32_e32 v12, 0
	v_mov_b32_e32 v77, 0
	s_and_saveexec_b64 s[28:29], vcc
	s_cbranch_execz .LBB61_153
; %bb.152:                              ;   in Loop: Header=BB61_149 Depth=1
	v_lshlrev_b64 v[6:7], 2, v[6:7]
	v_lshl_add_u64 v[16:17], s[22:23], 0, v[6:7]
	v_lshl_add_u64 v[6:7], s[20:21], 0, v[6:7]
	global_load_dword v12, v[6:7], off
	global_load_dword v77, v[16:17], off
.LBB61_153:                             ;   in Loop: Header=BB61_149 Depth=1
	s_or_b64 exec, exec, s[28:29]
.LBB61_154:                             ;   in Loop: Header=BB61_149 Depth=1
	s_or_b64 exec, exec, s[18:19]
	v_cmp_gt_i64_e32 vcc, s[12:13], v[14:15]
	v_mov_b32_e32 v34, 0
	s_and_saveexec_b64 s[18:19], vcc
	s_cbranch_execz .LBB61_156
; %bb.155:                              ;   in Loop: Header=BB61_149 Depth=1
	v_accvgpr_read_b32 v6, a68
	v_accvgpr_read_b32 v7, a69
	v_lshl_add_u64 v[6:7], v[6:7], 0, v[8:9]
	global_load_dword v35, v[6:7], off
	v_lshl_add_u64 v[6:7], v[136:137], 0, v[8:9]
	global_load_dword v34, v[6:7], off
.LBB61_156:                             ;   in Loop: Header=BB61_149 Depth=1
	s_or_b64 exec, exec, s[18:19]
	v_lshl_add_u64 v[6:7], v[14:15], 0, 1
	v_cmp_gt_i64_e32 vcc, s[12:13], v[6:7]
	v_mov_b32_e32 v51, 0
	v_mov_b32_e32 v55, 0
	v_mov_b32_e32 v54, 0
	s_and_saveexec_b64 s[18:19], vcc
	s_cbranch_execz .LBB61_158
; %bb.157:                              ;   in Loop: Header=BB61_149 Depth=1
	v_lshl_add_u64 v[6:7], v[0:1], 0, v[8:9]
	global_load_dword v55, v[6:7], off
	v_lshl_add_u64 v[6:7], v[10:11], 0, v[8:9]
	global_load_dword v54, v[6:7], off
.LBB61_158:                             ;   in Loop: Header=BB61_149 Depth=1
	s_or_b64 exec, exec, s[18:19]
	v_lshl_add_u64 v[6:7], v[14:15], 0, 2
	v_cmp_gt_i64_e32 vcc, s[12:13], v[6:7]
	v_mov_b32_e32 v50, 0
	s_and_saveexec_b64 s[18:19], vcc
	s_cbranch_execz .LBB61_160
; %bb.159:                              ;   in Loop: Header=BB61_149 Depth=1
	v_lshl_add_u64 v[6:7], v[254:255], 0, v[8:9]
	global_load_dword v51, v[6:7], off
	v_lshl_add_u64 v[6:7], v[4:5], 0, v[8:9]
	global_load_dword v50, v[6:7], off
.LBB61_160:                             ;   in Loop: Header=BB61_149 Depth=1
	s_or_b64 exec, exec, s[18:19]
	v_lshl_add_u64 v[6:7], v[14:15], 0, 3
	v_cmp_gt_i64_e32 vcc, s[12:13], v[6:7]
	v_mov_b32_e32 v61, 0
	v_mov_b32_e32 v63, 0
	v_mov_b32_e32 v62, 0
	s_and_saveexec_b64 s[18:19], vcc
	s_cbranch_execz .LBB61_162
; %bb.161:                              ;   in Loop: Header=BB61_149 Depth=1
	v_lshl_add_u64 v[6:7], v[250:251], 0, v[8:9]
	global_load_dword v63, v[6:7], off
	v_lshl_add_u64 v[6:7], v[252:253], 0, v[8:9]
	global_load_dword v62, v[6:7], off
.LBB61_162:                             ;   in Loop: Header=BB61_149 Depth=1
	s_or_b64 exec, exec, s[18:19]
	v_lshl_add_u64 v[6:7], v[14:15], 0, 4
	v_cmp_gt_i64_e32 vcc, s[12:13], v[6:7]
	v_mov_b32_e32 v60, 0
	s_and_saveexec_b64 s[18:19], vcc
	s_cbranch_execz .LBB61_164
; %bb.163:                              ;   in Loop: Header=BB61_149 Depth=1
	v_lshl_add_u64 v[6:7], v[246:247], 0, v[8:9]
	global_load_dword v61, v[6:7], off
	v_lshl_add_u64 v[6:7], v[248:249], 0, v[8:9]
	global_load_dword v60, v[6:7], off
.LBB61_164:                             ;   in Loop: Header=BB61_149 Depth=1
	;; [unrolled: 26-line block ×4, first 2 shown]
	s_or_b64 exec, exec, s[18:19]
	v_lshl_add_u64 v[6:7], v[14:15], 0, 9
	v_cmp_gt_i64_e32 vcc, s[12:13], v[6:7]
	v_mov_b32_e32 v7, 0
	v_mov_b32_e32 v75, 0
	;; [unrolled: 1-line block ×3, first 2 shown]
	s_and_saveexec_b64 s[18:19], vcc
	s_cbranch_execz .LBB61_174
; %bb.173:                              ;   in Loop: Header=BB61_149 Depth=1
	v_lshl_add_u64 v[16:17], v[226:227], 0, v[8:9]
	global_load_dword v75, v[16:17], off
	v_lshl_add_u64 v[16:17], v[228:229], 0, v[8:9]
	global_load_dword v74, v[16:17], off
.LBB61_174:                             ;   in Loop: Header=BB61_149 Depth=1
	s_or_b64 exec, exec, s[18:19]
	v_lshl_add_u64 v[16:17], v[14:15], 0, 10
	v_cmp_gt_i64_e32 vcc, s[12:13], v[16:17]
	v_mov_b32_e32 v6, 0
	s_and_saveexec_b64 s[18:19], vcc
	s_cbranch_execz .LBB61_176
; %bb.175:                              ;   in Loop: Header=BB61_149 Depth=1
	v_lshl_add_u64 v[6:7], v[222:223], 0, v[8:9]
	v_lshl_add_u64 v[16:17], v[224:225], 0, v[8:9]
	global_load_dword v7, v[6:7], off
	s_nop 0
	global_load_dword v6, v[16:17], off
.LBB61_176:                             ;   in Loop: Header=BB61_149 Depth=1
	s_or_b64 exec, exec, s[18:19]
	v_lshl_add_u64 v[16:17], v[14:15], 0, 11
	v_cmp_gt_i64_e32 vcc, s[12:13], v[16:17]
	v_mov_b32_e32 v19, 0
	v_mov_b32_e32 v23, 0
	v_mov_b32_e32 v18, 0
	s_and_saveexec_b64 s[18:19], vcc
	s_cbranch_execz .LBB61_178
; %bb.177:                              ;   in Loop: Header=BB61_149 Depth=1
	v_lshl_add_u64 v[16:17], v[218:219], 0, v[8:9]
	global_load_dword v23, v[16:17], off
	v_lshl_add_u64 v[16:17], v[220:221], 0, v[8:9]
	global_load_dword v18, v[16:17], off
.LBB61_178:                             ;   in Loop: Header=BB61_149 Depth=1
	s_or_b64 exec, exec, s[18:19]
	v_lshl_add_u64 v[16:17], v[14:15], 0, 12
	v_cmp_gt_i64_e32 vcc, s[12:13], v[16:17]
	v_mov_b32_e32 v30, 0
	s_and_saveexec_b64 s[18:19], vcc
	s_cbranch_execz .LBB61_180
; %bb.179:                              ;   in Loop: Header=BB61_149 Depth=1
	v_lshl_add_u64 v[16:17], v[214:215], 0, v[8:9]
	global_load_dword v19, v[16:17], off
	v_lshl_add_u64 v[16:17], v[216:217], 0, v[8:9]
	global_load_dword v30, v[16:17], off
.LBB61_180:                             ;   in Loop: Header=BB61_149 Depth=1
	s_or_b64 exec, exec, s[18:19]
	v_lshl_add_u64 v[16:17], v[14:15], 0, 13
	v_cmp_gt_i64_e32 vcc, s[12:13], v[16:17]
	v_mov_b32_e32 v27, 0
	v_mov_b32_e32 v31, 0
	v_mov_b32_e32 v26, 0
	s_and_saveexec_b64 s[18:19], vcc
	s_cbranch_execz .LBB61_182
; %bb.181:                              ;   in Loop: Header=BB61_149 Depth=1
	v_lshl_add_u64 v[16:17], v[210:211], 0, v[8:9]
	global_load_dword v31, v[16:17], off
	v_lshl_add_u64 v[16:17], v[212:213], 0, v[8:9]
	global_load_dword v26, v[16:17], off
.LBB61_182:                             ;   in Loop: Header=BB61_149 Depth=1
	s_or_b64 exec, exec, s[18:19]
	v_lshl_add_u64 v[16:17], v[14:15], 0, 14
	v_cmp_gt_i64_e32 vcc, s[12:13], v[16:17]
	v_mov_b32_e32 v38, 0
	s_and_saveexec_b64 s[18:19], vcc
	s_cbranch_execz .LBB61_184
; %bb.183:                              ;   in Loop: Header=BB61_149 Depth=1
	v_lshl_add_u64 v[16:17], v[206:207], 0, v[8:9]
	global_load_dword v27, v[16:17], off
	v_lshl_add_u64 v[16:17], v[208:209], 0, v[8:9]
	global_load_dword v38, v[16:17], off
.LBB61_184:                             ;   in Loop: Header=BB61_149 Depth=1
	;; [unrolled: 26-line block ×5, first 2 shown]
	s_or_b64 exec, exec, s[18:19]
	v_lshl_add_u64 v[16:17], v[14:15], 0, 21
	v_cmp_gt_i64_e32 vcc, s[12:13], v[16:17]
	v_mov_b32_e32 v17, 0
	v_mov_b32_e32 v65, 0
	;; [unrolled: 1-line block ×3, first 2 shown]
	s_and_saveexec_b64 s[18:19], vcc
	s_cbranch_execz .LBB61_198
; %bb.197:                              ;   in Loop: Header=BB61_149 Depth=1
	v_lshl_add_u64 v[20:21], v[178:179], 0, v[8:9]
	global_load_dword v65, v[20:21], off
	v_lshl_add_u64 v[20:21], v[180:181], 0, v[8:9]
	global_load_dword v24, v[20:21], off
.LBB61_198:                             ;   in Loop: Header=BB61_149 Depth=1
	s_or_b64 exec, exec, s[18:19]
	v_lshl_add_u64 v[20:21], v[14:15], 0, 22
	v_cmp_gt_i64_e32 vcc, s[12:13], v[20:21]
	v_mov_b32_e32 v16, 0
	s_and_saveexec_b64 s[18:19], vcc
	s_cbranch_execz .LBB61_200
; %bb.199:                              ;   in Loop: Header=BB61_149 Depth=1
	v_lshl_add_u64 v[16:17], v[174:175], 0, v[8:9]
	v_lshl_add_u64 v[20:21], v[176:177], 0, v[8:9]
	global_load_dword v17, v[16:17], off
	s_nop 0
	global_load_dword v16, v[20:21], off
.LBB61_200:                             ;   in Loop: Header=BB61_149 Depth=1
	s_or_b64 exec, exec, s[18:19]
	v_lshl_add_u64 v[20:21], v[14:15], 0, 23
	v_cmp_gt_i64_e32 vcc, s[12:13], v[20:21]
	v_mov_b32_e32 v21, 0
	v_mov_b32_e32 v25, 0
	v_mov_b32_e32 v20, 0
	s_and_saveexec_b64 s[18:19], vcc
	s_cbranch_execz .LBB61_202
; %bb.201:                              ;   in Loop: Header=BB61_149 Depth=1
	v_lshl_add_u64 v[28:29], v[170:171], 0, v[8:9]
	global_load_dword v25, v[28:29], off
	v_lshl_add_u64 v[28:29], v[172:173], 0, v[8:9]
	global_load_dword v20, v[28:29], off
.LBB61_202:                             ;   in Loop: Header=BB61_149 Depth=1
	s_or_b64 exec, exec, s[18:19]
	v_lshl_add_u64 v[28:29], v[14:15], 0, 24
	v_cmp_gt_i64_e32 vcc, s[12:13], v[28:29]
	v_mov_b32_e32 v32, 0
	s_and_saveexec_b64 s[18:19], vcc
	s_cbranch_execz .LBB61_204
; %bb.203:                              ;   in Loop: Header=BB61_149 Depth=1
	v_lshl_add_u64 v[28:29], v[166:167], 0, v[8:9]
	global_load_dword v21, v[28:29], off
	v_lshl_add_u64 v[28:29], v[168:169], 0, v[8:9]
	global_load_dword v32, v[28:29], off
.LBB61_204:                             ;   in Loop: Header=BB61_149 Depth=1
	s_or_b64 exec, exec, s[18:19]
	v_lshl_add_u64 v[28:29], v[14:15], 0, 25
	v_cmp_gt_i64_e32 vcc, s[12:13], v[28:29]
	v_mov_b32_e32 v29, 0
	v_mov_b32_e32 v33, 0
	v_mov_b32_e32 v28, 0
	s_and_saveexec_b64 s[18:19], vcc
	s_cbranch_execz .LBB61_206
; %bb.205:                              ;   in Loop: Header=BB61_149 Depth=1
	v_lshl_add_u64 v[40:41], v[162:163], 0, v[8:9]
	global_load_dword v33, v[40:41], off
	v_lshl_add_u64 v[40:41], v[164:165], 0, v[8:9]
	global_load_dword v28, v[40:41], off
.LBB61_206:                             ;   in Loop: Header=BB61_149 Depth=1
	s_or_b64 exec, exec, s[18:19]
	v_lshl_add_u64 v[40:41], v[14:15], 0, 26
	v_cmp_gt_i64_e32 vcc, s[12:13], v[40:41]
	v_mov_b32_e32 v42, 0
	s_and_saveexec_b64 s[18:19], vcc
	s_cbranch_execz .LBB61_208
; %bb.207:                              ;   in Loop: Header=BB61_149 Depth=1
	v_lshl_add_u64 v[40:41], v[158:159], 0, v[8:9]
	global_load_dword v29, v[40:41], off
	v_lshl_add_u64 v[40:41], v[160:161], 0, v[8:9]
	global_load_dword v42, v[40:41], off
.LBB61_208:                             ;   in Loop: Header=BB61_149 Depth=1
	;; [unrolled: 26-line block ×3, first 2 shown]
	s_or_b64 exec, exec, s[18:19]
	v_lshl_add_u64 v[52:53], v[14:15], 0, 29
	v_cmp_gt_i64_e32 vcc, s[12:13], v[52:53]
	v_mov_b32_e32 v45, 0
	v_mov_b32_e32 v53, 0
	;; [unrolled: 1-line block ×3, first 2 shown]
	s_and_saveexec_b64 s[18:19], vcc
	s_cbranch_execz .LBB61_214
; %bb.213:                              ;   in Loop: Header=BB61_149 Depth=1
	v_lshl_add_u64 v[52:53], v[146:147], 0, v[8:9]
	v_lshl_add_u64 v[78:79], v[148:149], 0, v[8:9]
	global_load_dword v53, v[52:53], off
	s_nop 0
	global_load_dword v52, v[78:79], off
.LBB61_214:                             ;   in Loop: Header=BB61_149 Depth=1
	s_or_b64 exec, exec, s[18:19]
	v_lshl_add_u64 v[78:79], v[14:15], 0, 30
	v_cmp_gt_i64_e32 vcc, s[12:13], v[78:79]
	v_mov_b32_e32 v80, 0
	s_and_saveexec_b64 s[18:19], vcc
	s_cbranch_execz .LBB61_216
; %bb.215:                              ;   in Loop: Header=BB61_149 Depth=1
	v_lshl_add_u64 v[78:79], v[142:143], 0, v[8:9]
	global_load_dword v45, v[78:79], off
	v_lshl_add_u64 v[78:79], v[144:145], 0, v[8:9]
	global_load_dword v80, v[78:79], off
.LBB61_216:                             ;   in Loop: Header=BB61_149 Depth=1
	s_or_b64 exec, exec, s[18:19]
	v_lshl_add_u64 v[78:79], v[14:15], 0, 31
	v_cmp_gt_i64_e32 vcc, s[12:13], v[78:79]
	v_mov_b32_e32 v13, 0
	v_mov_b32_e32 v79, 0
	s_and_saveexec_b64 s[18:19], vcc
	s_cbranch_execz .LBB61_218
; %bb.217:                              ;   in Loop: Header=BB61_149 Depth=1
	v_lshl_add_u64 v[78:79], v[138:139], 0, v[8:9]
	global_load_dword v13, v[78:79], off
	v_lshl_add_u64 v[78:79], v[140:141], 0, v[8:9]
	global_load_dword v79, v[78:79], off
.LBB61_218:                             ;   in Loop: Header=BB61_149 Depth=1
	s_or_b64 exec, exec, s[18:19]
	s_waitcnt vmcnt(1)
	ds_bpermute_b32 v78, v76, v12
	s_waitcnt vmcnt(0)
	ds_bpermute_b32 v72, v76, v77
	s_waitcnt lgkmcnt(1)
	v_sub_f32_e32 v34, v34, v78
	ds_bpermute_b32 v78, v76, v12 offset:4
	v_mul_f32_e32 v34, v35, v34
	s_waitcnt lgkmcnt(1)
	v_mul_f32_e32 v34, v34, v72
	ds_bpermute_b32 v72, v76, v77 offset:4
	v_pk_add_f32 v[34:35], v[2:3], v[34:35]
	s_waitcnt lgkmcnt(1)
	v_sub_f32_e32 v54, v54, v78
	ds_bpermute_b32 v78, v76, v12 offset:8
	v_mul_f32_e32 v54, v55, v54
	s_waitcnt lgkmcnt(1)
	v_mul_f32_e32 v54, v54, v72
	ds_bpermute_b32 v72, v76, v77 offset:8
	v_pk_add_f32 v[34:35], v[34:35], v[54:55]
	;; [unrolled: 8-line block ×10, first 2 shown]
	s_waitcnt lgkmcnt(1)
	v_sub_f32_e32 v6, v6, v78
	v_mul_f32_e32 v6, v7, v6
	s_waitcnt lgkmcnt(0)
	v_mul_f32_e32 v6, v6, v22
	v_pk_add_f32 v[6:7], v[34:35], v[6:7]
	ds_bpermute_b32 v34, v76, v12 offset:44
	ds_bpermute_b32 v22, v76, v77 offset:44
	;; [unrolled: 1-line block ×3, first 2 shown]
	s_waitcnt lgkmcnt(2)
	v_sub_f32_e32 v18, v18, v34
	ds_bpermute_b32 v34, v76, v12 offset:48
	v_mul_f32_e32 v18, v23, v18
	s_waitcnt lgkmcnt(2)
	v_mul_f32_e32 v22, v18, v22
	ds_bpermute_b32 v18, v76, v77 offset:48
	s_waitcnt lgkmcnt(2)
	v_sub_f32_e32 v35, v36, v35
	s_waitcnt lgkmcnt(1)
	v_sub_f32_e32 v30, v30, v34
	ds_bpermute_b32 v34, v76, v12 offset:52
	v_mul_f32_e32 v30, v19, v30
	s_waitcnt lgkmcnt(1)
	v_mul_f32_e32 v18, v30, v18
	ds_bpermute_b32 v30, v76, v77 offset:52
	v_mul_f32_e32 v35, v39, v35
	s_waitcnt lgkmcnt(1)
	v_sub_f32_e32 v26, v26, v34
	ds_bpermute_b32 v34, v76, v12 offset:56
	v_mul_f32_e32 v26, v31, v26
	s_waitcnt lgkmcnt(1)
	v_mul_f32_e32 v30, v26, v30
	ds_bpermute_b32 v26, v76, v77 offset:56
	v_pk_add_f32 v[6:7], v[6:7], v[22:23]
	s_waitcnt lgkmcnt(1)
	v_sub_f32_e32 v34, v38, v34
	v_mul_f32_e32 v34, v27, v34
	v_pk_add_f32 v[6:7], v[6:7], v[18:19]
	s_waitcnt lgkmcnt(0)
	v_mul_f32_e32 v26, v34, v26
	ds_bpermute_b32 v34, v76, v77 offset:60
	ds_bpermute_b32 v19, v76, v12 offset:88
	;; [unrolled: 1-line block ×3, first 2 shown]
	v_pk_add_f32 v[6:7], v[6:7], v[30:31]
	s_waitcnt lgkmcnt(2)
	v_mul_f32_e32 v38, v35, v34
	ds_bpermute_b32 v35, v76, v12 offset:64
	ds_bpermute_b32 v34, v76, v77 offset:64
	s_waitcnt lgkmcnt(3)
	v_sub_f32_e32 v16, v16, v19
	ds_bpermute_b32 v19, v76, v12 offset:92
	v_mul_f32_e32 v16, v17, v16
	s_waitcnt lgkmcnt(2)
	v_sub_f32_e32 v35, v48, v35
	v_mul_f32_e32 v35, v37, v35
	s_waitcnt lgkmcnt(1)
	v_mul_f32_e32 v36, v35, v34
	ds_bpermute_b32 v35, v76, v12 offset:68
	ds_bpermute_b32 v34, v76, v77 offset:68
	v_mul_f32_e32 v16, v16, v18
	ds_bpermute_b32 v18, v76, v77 offset:92
	s_waitcnt lgkmcnt(3)
	v_sub_f32_e32 v19, v20, v19
	s_waitcnt lgkmcnt(2)
	v_sub_f32_e32 v35, v46, v35
	v_mul_f32_e32 v35, v49, v35
	s_waitcnt lgkmcnt(1)
	v_mul_f32_e32 v48, v35, v34
	ds_bpermute_b32 v35, v76, v12 offset:72
	ds_bpermute_b32 v34, v76, v77 offset:72
	v_mul_f32_e32 v19, v25, v19
	v_pk_add_f32 v[6:7], v[6:7], v[26:27]
	s_waitcnt lgkmcnt(1)
	v_sub_f32_e32 v35, v58, v35
	v_mul_f32_e32 v35, v47, v35
	s_waitcnt lgkmcnt(0)
	v_mul_f32_e32 v46, v35, v34
	ds_bpermute_b32 v35, v76, v12 offset:76
	ds_bpermute_b32 v34, v76, v77 offset:76
	v_pk_add_f32 v[6:7], v[6:7], v[38:39]
	s_waitcnt lgkmcnt(1)
	v_sub_f32_e32 v35, v56, v35
	v_mul_f32_e32 v35, v59, v35
	s_waitcnt lgkmcnt(0)
	v_mul_f32_e32 v58, v35, v34
	ds_bpermute_b32 v35, v76, v12 offset:80
	ds_bpermute_b32 v34, v76, v77 offset:80
	;; [unrolled: 8-line block ×3, first 2 shown]
	v_pk_add_f32 v[6:7], v[6:7], v[48:49]
	s_waitcnt lgkmcnt(1)
	v_sub_f32_e32 v24, v24, v35
	v_mul_f32_e32 v24, v65, v24
	s_waitcnt lgkmcnt(0)
	v_mul_f32_e32 v64, v24, v34
	v_mul_f32_e32 v24, v19, v18
	ds_bpermute_b32 v19, v76, v12 offset:96
	ds_bpermute_b32 v18, v76, v77 offset:96
	v_pk_add_f32 v[6:7], v[6:7], v[46:47]
	s_waitcnt lgkmcnt(1)
	v_sub_f32_e32 v19, v32, v19
	v_mul_f32_e32 v19, v21, v19
	s_waitcnt lgkmcnt(0)
	v_mul_f32_e32 v20, v19, v18
	ds_bpermute_b32 v19, v76, v12 offset:100
	ds_bpermute_b32 v18, v76, v77 offset:100
	v_pk_add_f32 v[6:7], v[6:7], v[58:59]
	s_waitcnt lgkmcnt(1)
	v_sub_f32_e32 v19, v28, v19
	v_mul_f32_e32 v19, v33, v19
	s_waitcnt lgkmcnt(0)
	;; [unrolled: 8-line block ×4, first 2 shown]
	v_mul_f32_e32 v42, v19, v18
	ds_bpermute_b32 v19, v76, v12 offset:112
	ds_bpermute_b32 v18, v76, v77 offset:112
	v_pk_add_f32 v[6:7], v[6:7], v[16:17]
	ds_bpermute_b32 v17, v76, v12 offset:120
	ds_bpermute_b32 v16, v76, v77 offset:120
	s_waitcnt lgkmcnt(3)
	v_sub_f32_e32 v19, v44, v19
	v_mul_f32_e32 v19, v41, v19
	s_waitcnt lgkmcnt(2)
	v_mul_f32_e32 v40, v19, v18
	ds_bpermute_b32 v19, v76, v12 offset:116
	ds_bpermute_b32 v18, v76, v77 offset:116
	v_pk_add_f32 v[6:7], v[6:7], v[24:25]
	s_waitcnt lgkmcnt(3)
	v_sub_f32_e32 v17, v80, v17
	v_pk_add_f32 v[6:7], v[6:7], v[20:21]
	v_mul_f32_e32 v17, v45, v17
	v_pk_add_f32 v[6:7], v[6:7], v[32:33]
	s_waitcnt lgkmcnt(1)
	v_sub_f32_e32 v19, v52, v19
	v_pk_add_f32 v[6:7], v[6:7], v[28:29]
	v_mul_f32_e32 v44, v17, v16
	ds_bpermute_b32 v16, v76, v77 offset:124
	ds_bpermute_b32 v12, v76, v12 offset:124
	v_mul_f32_e32 v19, v53, v19
	v_pk_add_f32 v[6:7], v[6:7], v[42:43]
	s_waitcnt lgkmcnt(2)
	v_mul_f32_e32 v52, v19, v18
	v_pk_add_f32 v[6:7], v[6:7], v[40:41]
	s_nop 0
	v_pk_add_f32 v[6:7], v[6:7], v[52:53]
	s_nop 0
	v_pk_add_f32 v[6:7], v[6:7], v[44:45]
	s_branch .LBB61_225
.LBB61_219:                             ;   in Loop: Header=BB61_149 Depth=1
                                        ; implicit-def: $vgpr6_vgpr7
                                        ; implicit-def: $vgpr16
                                        ; implicit-def: $vgpr13
                                        ; implicit-def: $vgpr79
                                        ; implicit-def: $vgpr12
	s_cbranch_execz .LBB61_225
; %bb.220:                              ;   in Loop: Header=BB61_149 Depth=1
	s_load_dword s3, s[4:5], 0x0
	v_accvgpr_read_b32 v17, a3
	v_accvgpr_read_b32 v7, a0
	s_waitcnt lgkmcnt(0)
	v_mov_b32_e32 v12, 0
	v_mov_b32_e32 v74, 0
	s_cmp_lt_u32 s2, s3
	s_cselect_b32 s3, 12, 18
	s_add_u32 s18, s4, s3
	s_addc_u32 s19, s5, 0
	global_load_ushort v6, v17, s[18:19]
	s_waitcnt vmcnt(0)
	v_mad_u32_u24 v6, v81, v6, v7
	v_and_b32_e32 v16, 63, v6
	v_accvgpr_write_b32 a2, v16
	v_accvgpr_write_b32 a3, v17
	v_cmp_gt_u32_e32 vcc, 32, v16
	s_and_saveexec_b64 s[18:19], vcc
	s_cbranch_execz .LBB61_224
; %bb.221:                              ;   in Loop: Header=BB61_149 Depth=1
	v_accvgpr_read_b32 v7, a3
	v_accvgpr_read_b32 v6, a2
	v_lshl_add_u64 v[6:7], v[14:15], 0, v[6:7]
	v_cmp_gt_i64_e32 vcc, s[12:13], v[6:7]
	v_mov_b32_e32 v74, 0
	v_mov_b32_e32 v12, 0
	s_and_saveexec_b64 s[28:29], vcc
	s_cbranch_execz .LBB61_223
; %bb.222:                              ;   in Loop: Header=BB61_149 Depth=1
	v_lshlrev_b64 v[6:7], 2, v[6:7]
	v_lshl_add_u64 v[12:13], s[22:23], 0, v[6:7]
	v_lshl_add_u64 v[6:7], s[20:21], 0, v[6:7]
	global_load_dword v74, v[6:7], off
	s_nop 0
	global_load_dword v12, v[12:13], off
.LBB61_223:                             ;   in Loop: Header=BB61_149 Depth=1
	s_or_b64 exec, exec, s[28:29]
.LBB61_224:                             ;   in Loop: Header=BB61_149 Depth=1
	s_or_b64 exec, exec, s[18:19]
	v_accvgpr_read_b32 v6, a68
	v_accvgpr_read_b32 v7, a69
	v_lshl_add_u64 v[6:7], v[6:7], 0, v[8:9]
	global_load_dword v53, v[6:7], off
	v_lshl_add_u64 v[6:7], v[136:137], 0, v[8:9]
	global_load_dword v32, v[6:7], off
	v_accvgpr_read_b32 v6, a6
	v_accvgpr_read_b32 v7, a7
	v_lshl_add_u64 v[6:7], v[6:7], 0, v[8:9]
	global_load_dword v55, v[6:7], off
	v_accvgpr_read_b32 v6, a70
	v_accvgpr_read_b32 v7, a71
	;; [unrolled: 4-line block ×9, first 2 shown]
	v_lshl_add_u64 v[6:7], v[6:7], 0, v[8:9]
	global_load_dword v63, v[6:7], off
	v_lshl_add_u64 v[6:7], v[82:83], 0, v[8:9]
	global_load_dword v62, v[6:7], off
	v_accvgpr_read_b32 v6, a16
	v_accvgpr_read_b32 v7, a17
	v_lshl_add_u64 v[6:7], v[6:7], 0, v[8:9]
	global_load_dword v65, v[6:7], off
	v_lshl_add_u64 v[6:7], v[84:85], 0, v[8:9]
	global_load_dword v64, v[6:7], off
	v_accvgpr_read_b32 v6, a18
	v_accvgpr_read_b32 v7, a19
	;; [unrolled: 6-line block ×6, first 2 shown]
	v_lshl_add_u64 v[6:7], v[6:7], 0, v[8:9]
	v_lshl_add_u64 v[14:15], v[94:95], 0, v[8:9]
	global_load_dword v7, v[6:7], off
	s_waitcnt vmcnt(24)
	ds_bpermute_b32 v54, v76, v74
	global_load_dword v6, v[14:15], off
	v_accvgpr_read_b32 v14, a28
	v_accvgpr_read_b32 v15, a29
	v_lshl_add_u64 v[14:15], v[14:15], 0, v[8:9]
	global_load_dword v33, v[14:15], off
	v_lshl_add_u64 v[14:15], v[96:97], 0, v[8:9]
	global_load_dword v75, v[14:15], off
	v_accvgpr_read_b32 v14, a30
	v_accvgpr_read_b32 v15, a31
	v_lshl_add_u64 v[14:15], v[14:15], 0, v[8:9]
	global_load_dword v35, v[14:15], off
	v_lshl_add_u64 v[14:15], v[98:99], 0, v[8:9]
	;; [unrolled: 6-line block ×9, first 2 shown]
	global_load_dword v48, v[14:15], off
	v_accvgpr_read_b32 v14, a46
	v_accvgpr_read_b32 v15, a47
	v_lshl_add_u64 v[14:15], v[14:15], 0, v[8:9]
	s_waitcnt vmcnt(42)
	ds_bpermute_b32 v52, v76, v12
	global_load_dword v51, v[14:15], off
	v_lshl_add_u64 v[14:15], v[114:115], 0, v[8:9]
	global_load_dword v50, v[14:15], off
	v_accvgpr_read_b32 v14, a48
	v_accvgpr_read_b32 v15, a49
	s_waitcnt vmcnt(42) lgkmcnt(1)
	v_sub_f32_e32 v32, v32, v54
	ds_bpermute_b32 v54, v76, v74 offset:4
	v_lshl_add_u64 v[14:15], v[14:15], 0, v[8:9]
	v_mul_f32_e32 v32, v53, v32
	global_load_dword v17, v[14:15], off
	v_lshl_add_u64 v[14:15], v[116:117], 0, v[8:9]
	s_waitcnt lgkmcnt(1)
	v_mul_f32_e32 v52, v32, v52
	ds_bpermute_b32 v32, v76, v12 offset:4
	global_load_dword v16, v[14:15], off
	s_waitcnt vmcnt(42) lgkmcnt(1)
	v_sub_f32_e32 v34, v34, v54
	v_accvgpr_read_b32 v14, a50
	v_mul_f32_e32 v34, v55, v34
	v_accvgpr_read_b32 v15, a51
	s_waitcnt lgkmcnt(0)
	v_mul_f32_e32 v54, v34, v32
	ds_bpermute_b32 v34, v76, v74 offset:8
	v_lshl_add_u64 v[14:15], v[14:15], 0, v[8:9]
	global_load_dword v19, v[14:15], off
	v_lshl_add_u64 v[14:15], v[118:119], 0, v[8:9]
	ds_bpermute_b32 v32, v76, v12 offset:8
	global_load_dword v18, v[14:15], off
	s_waitcnt vmcnt(42) lgkmcnt(1)
	v_sub_f32_e32 v34, v36, v34
	v_accvgpr_read_b32 v14, a52
	v_mul_f32_e32 v34, v57, v34
	v_accvgpr_read_b32 v15, a53
	s_waitcnt lgkmcnt(0)
	v_mul_f32_e32 v56, v34, v32
	ds_bpermute_b32 v34, v76, v74 offset:12
	v_lshl_add_u64 v[14:15], v[14:15], 0, v[8:9]
	global_load_dword v21, v[14:15], off
	v_lshl_add_u64 v[14:15], v[120:121], 0, v[8:9]
	;; [unrolled: 13-line block ×7, first 2 shown]
	ds_bpermute_b32 v32, v76, v12 offset:32
	global_load_dword v30, v[14:15], off
	s_waitcnt vmcnt(42) lgkmcnt(1)
	v_sub_f32_e32 v34, v68, v34
	v_mul_f32_e32 v34, v69, v34
	v_accvgpr_read_b32 v14, a64
	s_waitcnt lgkmcnt(0)
	v_mul_f32_e32 v68, v34, v32
	ds_bpermute_b32 v34, v76, v74 offset:36
	v_accvgpr_read_b32 v15, a65
	v_lshl_add_u64 v[14:15], v[14:15], 0, v[8:9]
	v_lshl_add_u64 v[78:79], v[132:133], 0, v[8:9]
	ds_bpermute_b32 v32, v76, v12 offset:36
	global_load_dword v15, v[14:15], off
	s_waitcnt vmcnt(41) lgkmcnt(1)
	v_sub_f32_e32 v34, v70, v34
	global_load_dword v14, v[78:79], off
	v_accvgpr_read_b32 v79, a67
	v_accvgpr_read_b32 v78, a66
	v_lshl_add_u64 v[78:79], v[78:79], 0, v[8:9]
	global_load_dword v13, v[78:79], off
	v_lshl_add_u64 v[78:79], v[134:135], 0, v[8:9]
	v_mul_f32_e32 v34, v71, v34
	global_load_dword v79, v[78:79], off
	s_waitcnt lgkmcnt(0)
	v_mul_f32_e32 v70, v34, v32
	ds_bpermute_b32 v34, v76, v74 offset:40
	ds_bpermute_b32 v32, v76, v12 offset:40
	v_pk_add_f32 v[2:3], v[2:3], v[52:53]
	ds_bpermute_b32 v36, v76, v74 offset:52
	v_pk_add_f32 v[2:3], v[2:3], v[54:55]
	s_waitcnt vmcnt(42) lgkmcnt(2)
	v_sub_f32_e32 v34, v72, v34
	v_mul_f32_e32 v34, v73, v34
	v_pk_add_f32 v[2:3], v[2:3], v[56:57]
	s_waitcnt lgkmcnt(1)
	v_mul_f32_e32 v72, v34, v32
	v_pk_add_f32 v[2:3], v[2:3], v[58:59]
	ds_bpermute_b32 v34, v76, v74 offset:44
	v_pk_add_f32 v[2:3], v[2:3], v[60:61]
	ds_bpermute_b32 v32, v76, v12 offset:44
	v_pk_add_f32 v[2:3], v[2:3], v[62:63]
	s_waitcnt vmcnt(36) lgkmcnt(2)
	v_sub_f32_e32 v36, v77, v36
	v_pk_add_f32 v[2:3], v[2:3], v[64:65]
	s_waitcnt lgkmcnt(1)
	v_sub_f32_e32 v6, v6, v34
	v_pk_add_f32 v[2:3], v[2:3], v[66:67]
	v_mul_f32_e32 v6, v7, v6
	v_pk_add_f32 v[2:3], v[2:3], v[68:69]
	s_waitcnt lgkmcnt(0)
	v_mul_f32_e32 v6, v6, v32
	v_pk_add_f32 v[2:3], v[2:3], v[70:71]
	ds_bpermute_b32 v34, v76, v74 offset:48
	v_pk_add_f32 v[2:3], v[2:3], v[72:73]
	ds_bpermute_b32 v32, v76, v12 offset:48
	;; [unrolled: 2-line block ×3, first 2 shown]
	ds_bpermute_b32 v6, v76, v12 offset:88
	s_waitcnt lgkmcnt(3)
	v_sub_f32_e32 v34, v75, v34
	v_mul_f32_e32 v34, v33, v34
	s_waitcnt lgkmcnt(2)
	v_mul_f32_e32 v32, v34, v32
	s_waitcnt vmcnt(18) lgkmcnt(1)
	v_sub_f32_e32 v7, v16, v7
	v_mul_f32_e32 v7, v17, v7
	s_waitcnt lgkmcnt(0)
	v_mul_f32_e32 v16, v7, v6
	ds_bpermute_b32 v7, v76, v74 offset:92
	ds_bpermute_b32 v34, v76, v12 offset:52
	ds_bpermute_b32 v6, v76, v12 offset:92
	ds_bpermute_b32 v52, v76, v74 offset:56
	v_mul_f32_e32 v36, v35, v36
	s_waitcnt vmcnt(16) lgkmcnt(3)
	v_sub_f32_e32 v7, v18, v7
	v_mul_f32_e32 v7, v19, v7
	s_waitcnt lgkmcnt(2)
	v_mul_f32_e32 v34, v36, v34
	ds_bpermute_b32 v36, v76, v12 offset:56
	s_waitcnt lgkmcnt(2)
	v_mul_f32_e32 v18, v7, v6
	ds_bpermute_b32 v7, v76, v74 offset:96
	ds_bpermute_b32 v6, v76, v12 offset:96
	s_waitcnt lgkmcnt(3)
	v_sub_f32_e32 v52, v80, v52
	ds_bpermute_b32 v53, v76, v74 offset:60
	v_mul_f32_e32 v52, v37, v52
	s_waitcnt lgkmcnt(3)
	v_mul_f32_e32 v36, v52, v36
	ds_bpermute_b32 v52, v76, v12 offset:60
	s_waitcnt vmcnt(14) lgkmcnt(3)
	v_sub_f32_e32 v7, v20, v7
	v_mul_f32_e32 v7, v21, v7
	s_waitcnt lgkmcnt(2)
	v_mul_f32_e32 v20, v7, v6
	ds_bpermute_b32 v7, v76, v74 offset:100
	s_waitcnt lgkmcnt(2)
	v_sub_f32_e32 v38, v38, v53
	ds_bpermute_b32 v53, v76, v74 offset:64
	v_mul_f32_e32 v38, v39, v38
	ds_bpermute_b32 v6, v76, v12 offset:100
	s_waitcnt lgkmcnt(3)
	v_mul_f32_e32 v38, v38, v52
	ds_bpermute_b32 v52, v76, v12 offset:64
	s_waitcnt vmcnt(12) lgkmcnt(3)
	v_sub_f32_e32 v7, v22, v7
	s_waitcnt lgkmcnt(2)
	v_sub_f32_e32 v40, v40, v53
	ds_bpermute_b32 v53, v76, v74 offset:68
	v_mul_f32_e32 v7, v23, v7
	v_mul_f32_e32 v40, v41, v40
	s_waitcnt lgkmcnt(2)
	v_mul_f32_e32 v22, v7, v6
	ds_bpermute_b32 v7, v76, v74 offset:104
	s_waitcnt lgkmcnt(2)
	v_mul_f32_e32 v40, v40, v52
	ds_bpermute_b32 v52, v76, v12 offset:68
	ds_bpermute_b32 v6, v76, v12 offset:104
	s_waitcnt lgkmcnt(3)
	v_sub_f32_e32 v42, v42, v53
	ds_bpermute_b32 v53, v76, v74 offset:72
	v_mul_f32_e32 v42, v43, v42
	s_waitcnt vmcnt(10) lgkmcnt(3)
	v_sub_f32_e32 v7, v24, v7
	s_waitcnt lgkmcnt(2)
	v_mul_f32_e32 v42, v42, v52
	ds_bpermute_b32 v52, v76, v12 offset:72
	v_mul_f32_e32 v7, v25, v7
	s_waitcnt lgkmcnt(2)
	v_mul_f32_e32 v24, v7, v6
	ds_bpermute_b32 v7, v76, v74 offset:108
	s_waitcnt lgkmcnt(2)
	v_sub_f32_e32 v44, v44, v53
	ds_bpermute_b32 v53, v76, v74 offset:76
	ds_bpermute_b32 v6, v76, v12 offset:108
	v_mul_f32_e32 v44, v45, v44
	s_waitcnt lgkmcnt(3)
	v_mul_f32_e32 v44, v44, v52
	ds_bpermute_b32 v52, v76, v12 offset:76
	s_waitcnt vmcnt(8) lgkmcnt(3)
	v_sub_f32_e32 v7, v26, v7
	v_mul_f32_e32 v7, v27, v7
	s_waitcnt lgkmcnt(2)
	v_sub_f32_e32 v46, v46, v53
	ds_bpermute_b32 v53, v76, v74 offset:80
	s_waitcnt lgkmcnt(2)
	v_mul_f32_e32 v26, v7, v6
	ds_bpermute_b32 v7, v76, v74 offset:112
	v_mul_f32_e32 v46, v47, v46
	s_waitcnt lgkmcnt(2)
	v_mul_f32_e32 v46, v46, v52
	ds_bpermute_b32 v52, v76, v12 offset:80
	ds_bpermute_b32 v6, v76, v12 offset:112
	v_pk_add_f32 v[2:3], v[2:3], v[32:33]
	s_waitcnt lgkmcnt(3)
	v_sub_f32_e32 v48, v48, v53
	ds_bpermute_b32 v53, v76, v74 offset:84
	v_pk_add_f32 v[2:3], v[2:3], v[34:35]
	s_waitcnt vmcnt(6) lgkmcnt(3)
	v_sub_f32_e32 v7, v28, v7
	v_mul_f32_e32 v48, v49, v48
	v_pk_add_f32 v[2:3], v[2:3], v[36:37]
	v_mul_f32_e32 v7, v29, v7
	s_waitcnt lgkmcnt(2)
	v_mul_f32_e32 v48, v48, v52
	ds_bpermute_b32 v52, v76, v12 offset:84
	v_pk_add_f32 v[2:3], v[2:3], v[38:39]
	s_waitcnt lgkmcnt(2)
	v_mul_f32_e32 v28, v7, v6
	ds_bpermute_b32 v7, v76, v74 offset:116
	v_pk_add_f32 v[2:3], v[2:3], v[40:41]
	ds_bpermute_b32 v6, v76, v12 offset:116
	v_pk_add_f32 v[2:3], v[2:3], v[42:43]
	s_waitcnt lgkmcnt(3)
	v_sub_f32_e32 v50, v50, v53
	v_pk_add_f32 v[2:3], v[2:3], v[44:45]
	v_mul_f32_e32 v50, v51, v50
	v_pk_add_f32 v[2:3], v[2:3], v[46:47]
	s_waitcnt lgkmcnt(2)
	v_mul_f32_e32 v50, v50, v52
	v_pk_add_f32 v[2:3], v[2:3], v[48:49]
	s_waitcnt vmcnt(4) lgkmcnt(1)
	v_sub_f32_e32 v7, v30, v7
	v_pk_add_f32 v[2:3], v[2:3], v[50:51]
	v_mul_f32_e32 v7, v31, v7
	s_waitcnt lgkmcnt(0)
	v_mul_f32_e32 v30, v7, v6
	v_pk_add_f32 v[2:3], v[2:3], v[16:17]
	ds_bpermute_b32 v7, v76, v74 offset:120
	v_pk_add_f32 v[2:3], v[2:3], v[18:19]
	ds_bpermute_b32 v6, v76, v12 offset:120
	v_pk_add_f32 v[2:3], v[2:3], v[20:21]
	ds_bpermute_b32 v16, v76, v12 offset:124
	v_pk_add_f32 v[2:3], v[2:3], v[22:23]
	s_waitcnt vmcnt(2) lgkmcnt(2)
	v_sub_f32_e32 v7, v14, v7
	v_pk_add_f32 v[2:3], v[2:3], v[24:25]
	v_mul_f32_e32 v7, v15, v7
	v_pk_add_f32 v[2:3], v[2:3], v[26:27]
	s_waitcnt lgkmcnt(1)
	v_mul_f32_e32 v14, v7, v6
	v_pk_add_f32 v[2:3], v[2:3], v[28:29]
	ds_bpermute_b32 v12, v76, v74 offset:124
	v_pk_add_f32 v[2:3], v[2:3], v[30:31]
	s_nop 0
	v_pk_add_f32 v[6:7], v[2:3], v[14:15]
.LBB61_225:                             ;   in Loop: Header=BB61_149 Depth=1
	s_waitcnt vmcnt(0) lgkmcnt(0)
	v_sub_f32_e32 v2, v79, v12
	v_mul_f32_e32 v2, v13, v2
	v_mul_f32_e32 v12, v2, v16
	s_add_u32 s16, s16, s6
	v_pk_add_f32 v[2:3], v[6:7], v[12:13]
	s_addc_u32 s17, s17, 0
	v_mov_b64_e32 v[6:7], s[12:13]
	v_cmp_ge_i64_e32 vcc, s[16:17], v[6:7]
	v_accvgpr_read_b32 v6, a6
	v_accvgpr_read_b32 v7, a7
	v_lshl_add_u64 v[6:7], v[6:7], 0, s[24:25]
	v_accvgpr_write_b32 a6, v6
	v_accvgpr_write_b32 a7, v7
	v_accvgpr_read_b32 v6, a8
	v_accvgpr_read_b32 v7, a9
	v_lshl_add_u64 v[6:7], v[6:7], 0, s[24:25]
	v_accvgpr_write_b32 a9, v7
	v_accvgpr_write_b32 a8, v6
	;; [unrolled: 5-line block ×34, first 2 shown]
	v_accvgpr_read_b32 v6, a74
	v_accvgpr_read_b32 v7, a75
	v_lshl_add_u64 v[6:7], v[6:7], 0, s[24:25]
	v_accvgpr_write_b32 a75, v7
	v_accvgpr_read_b32 v13, a5
	v_accvgpr_write_b32 a74, v6
	v_accvgpr_read_b32 v6, a76
	v_accvgpr_read_b32 v12, a4
	;; [unrolled: 1-line block ×3, first 2 shown]
	s_add_u32 s26, s26, s6
	v_lshl_add_u64 v[12:13], v[12:13], 0, s[6:7]
	v_lshl_add_u64 v[6:7], v[6:7], 0, s[24:25]
	;; [unrolled: 1-line block ×92, first 2 shown]
	s_addc_u32 s27, s27, 0
	s_cbranch_vccnz .LBB61_227
; %bb.226:                              ;   in Loop: Header=BB61_149 Depth=1
	v_accvgpr_write_b32 a77, v7
	v_accvgpr_write_b32 a76, v6
	s_branch .LBB61_149
.LBB61_227:
	v_accvgpr_read_b32 v0, a1
.LBB61_228:
	s_mov_b32 s3, 0
	s_lshl_b64 s[2:3], s[2:3], 5
	v_and_b32_e32 v1, 0x3ff, v0
	v_or_b32_e32 v10, s2, v1
	v_mov_b32_e32 v11, s3
	v_cmp_gt_i64_e32 vcc, s[14:15], v[10:11]
	s_and_saveexec_b64 s[2:3], vcc
	s_cbranch_execz .LBB61_233
; %bb.229:
	s_load_dword s2, s[0:1], 0x4c
	s_load_dwordx4 s[4:7], s[0:1], 0x30
	v_bfe_u32 v4, v0, 10, 10
	v_mov_b32_e32 v5, 0
	v_mov_b32_e32 v6, s8
	s_waitcnt lgkmcnt(0)
	s_lshr_b32 s0, s2, 16
	v_mad_u64_u32 v[4:5], s[0:1], s0, v6, v[4:5]
	s_cmp_eq_u64 s[4:5], 0
	v_mul_lo_u32 v5, v5, s14
	v_mul_lo_u32 v6, v4, s15
	s_cbranch_scc1 .LBB61_231
; %bb.230:
	v_mad_u64_u32 v[8:9], s[0:1], v4, s14, 0
	v_add3_u32 v9, v9, v6, v5
	v_lshl_add_u64 v[8:9], v[8:9], 2, s[4:5]
	v_lshl_add_u64 v[8:9], v[10:11], 2, v[8:9]
	global_store_dword v[8:9], v2, off
.LBB61_231:
	s_cmp_eq_u64 s[6:7], 0
	s_cbranch_scc1 .LBB61_233
; %bb.232:
	v_mad_u64_u32 v[8:9], s[0:1], v4, s14, 0
	v_add3_u32 v9, v9, v6, v5
	v_lshl_add_u64 v[4:5], v[8:9], 2, s[6:7]
	v_lshl_add_u64 v[0:1], v[10:11], 2, v[4:5]
	global_store_dword v[0:1], v3, off
.LBB61_233:
	s_endpgm
	.section	.rodata,"a",@progbits
	.p2align	6, 0x0
	.amdhsa_kernel _ZN2at6native12_GLOBAL__N_135GammaBetaBackwardCUDAKernelTemplateIffLj32ELj1ELj32ELb1ELb0ELb0EEEvllPKT_S5_PKT0_S8_PS3_S9_
		.amdhsa_group_segment_fixed_size 0
		.amdhsa_private_segment_fixed_size 0
		.amdhsa_kernarg_size 320
		.amdhsa_user_sgpr_count 2
		.amdhsa_user_sgpr_dispatch_ptr 0
		.amdhsa_user_sgpr_queue_ptr 0
		.amdhsa_user_sgpr_kernarg_segment_ptr 1
		.amdhsa_user_sgpr_dispatch_id 0
		.amdhsa_user_sgpr_kernarg_preload_length 0
		.amdhsa_user_sgpr_kernarg_preload_offset 0
		.amdhsa_user_sgpr_private_segment_size 0
		.amdhsa_uses_dynamic_stack 0
		.amdhsa_enable_private_segment 0
		.amdhsa_system_sgpr_workgroup_id_x 1
		.amdhsa_system_sgpr_workgroup_id_y 1
		.amdhsa_system_sgpr_workgroup_id_z 0
		.amdhsa_system_sgpr_workgroup_info 0
		.amdhsa_system_vgpr_workitem_id 1
		.amdhsa_next_free_vgpr 334
		.amdhsa_next_free_sgpr 40
		.amdhsa_accum_offset 256
		.amdhsa_reserve_vcc 1
		.amdhsa_float_round_mode_32 0
		.amdhsa_float_round_mode_16_64 0
		.amdhsa_float_denorm_mode_32 3
		.amdhsa_float_denorm_mode_16_64 3
		.amdhsa_dx10_clamp 1
		.amdhsa_ieee_mode 1
		.amdhsa_fp16_overflow 0
		.amdhsa_tg_split 0
		.amdhsa_exception_fp_ieee_invalid_op 0
		.amdhsa_exception_fp_denorm_src 0
		.amdhsa_exception_fp_ieee_div_zero 0
		.amdhsa_exception_fp_ieee_overflow 0
		.amdhsa_exception_fp_ieee_underflow 0
		.amdhsa_exception_fp_ieee_inexact 0
		.amdhsa_exception_int_div_zero 0
	.end_amdhsa_kernel
	.section	.text._ZN2at6native12_GLOBAL__N_135GammaBetaBackwardCUDAKernelTemplateIffLj32ELj1ELj32ELb1ELb0ELb0EEEvllPKT_S5_PKT0_S8_PS3_S9_,"axG",@progbits,_ZN2at6native12_GLOBAL__N_135GammaBetaBackwardCUDAKernelTemplateIffLj32ELj1ELj32ELb1ELb0ELb0EEEvllPKT_S5_PKT0_S8_PS3_S9_,comdat
.Lfunc_end61:
	.size	_ZN2at6native12_GLOBAL__N_135GammaBetaBackwardCUDAKernelTemplateIffLj32ELj1ELj32ELb1ELb0ELb0EEEvllPKT_S5_PKT0_S8_PS3_S9_, .Lfunc_end61-_ZN2at6native12_GLOBAL__N_135GammaBetaBackwardCUDAKernelTemplateIffLj32ELj1ELj32ELb1ELb0ELb0EEEvllPKT_S5_PKT0_S8_PS3_S9_
                                        ; -- End function
	.section	.AMDGPU.csdata,"",@progbits
; Kernel info:
; codeLenInByte = 23824
; NumSgprs: 46
; NumVgprs: 256
; NumAgprs: 78
; TotalNumVgprs: 334
; ScratchSize: 0
; MemoryBound: 0
; FloatMode: 240
; IeeeMode: 1
; LDSByteSize: 0 bytes/workgroup (compile time only)
; SGPRBlocks: 5
; VGPRBlocks: 41
; NumSGPRsForWavesPerEU: 46
; NumVGPRsForWavesPerEU: 334
; AccumOffset: 256
; Occupancy: 1
; WaveLimiterHint : 0
; COMPUTE_PGM_RSRC2:SCRATCH_EN: 0
; COMPUTE_PGM_RSRC2:USER_SGPR: 2
; COMPUTE_PGM_RSRC2:TRAP_HANDLER: 0
; COMPUTE_PGM_RSRC2:TGID_X_EN: 1
; COMPUTE_PGM_RSRC2:TGID_Y_EN: 1
; COMPUTE_PGM_RSRC2:TGID_Z_EN: 0
; COMPUTE_PGM_RSRC2:TIDIG_COMP_CNT: 1
; COMPUTE_PGM_RSRC3_GFX90A:ACCUM_OFFSET: 63
; COMPUTE_PGM_RSRC3_GFX90A:TG_SPLIT: 0
	.section	.text._ZN2at6native12_GLOBAL__N_135GammaBetaBackwardCUDAKernelTemplateIffLj32ELj1ELj8ELb1ELb1ELb0EEEvllPKT_S5_PKT0_S8_PS3_S9_,"axG",@progbits,_ZN2at6native12_GLOBAL__N_135GammaBetaBackwardCUDAKernelTemplateIffLj32ELj1ELj8ELb1ELb1ELb0EEEvllPKT_S5_PKT0_S8_PS3_S9_,comdat
	.globl	_ZN2at6native12_GLOBAL__N_135GammaBetaBackwardCUDAKernelTemplateIffLj32ELj1ELj8ELb1ELb1ELb0EEEvllPKT_S5_PKT0_S8_PS3_S9_ ; -- Begin function _ZN2at6native12_GLOBAL__N_135GammaBetaBackwardCUDAKernelTemplateIffLj32ELj1ELj8ELb1ELb1ELb0EEEvllPKT_S5_PKT0_S8_PS3_S9_
	.p2align	8
	.type	_ZN2at6native12_GLOBAL__N_135GammaBetaBackwardCUDAKernelTemplateIffLj32ELj1ELj8ELb1ELb1ELb0EEEvllPKT_S5_PKT0_S8_PS3_S9_,@function
_ZN2at6native12_GLOBAL__N_135GammaBetaBackwardCUDAKernelTemplateIffLj32ELj1ELj8ELb1ELb1ELb0EEEvllPKT_S5_PKT0_S8_PS3_S9_: ; @_ZN2at6native12_GLOBAL__N_135GammaBetaBackwardCUDAKernelTemplateIffLj32ELj1ELj8ELb1ELb1ELb0EEEvllPKT_S5_PKT0_S8_PS3_S9_
; %bb.0:
	s_load_dwordx4 s[16:19], s[0:1], 0x0
	s_lshl_b32 s6, s3, 3
	s_mov_b32 s7, 0
	s_mov_b32 s4, s3
	v_bfe_u32 v1, v0, 10, 10
	s_waitcnt lgkmcnt(0)
	v_mov_b64_e32 v[2:3], s[16:17]
	v_cmp_lt_i64_e32 vcc, s[6:7], v[2:3]
	s_cbranch_vccnz .LBB62_2
; %bb.1:
	s_add_u32 s24, s0, 64
	s_addc_u32 s25, s1, 0
	s_mov_b64 s[8:9], 0
	v_bfe_u32 v4, v0, 10, 10
	s_branch .LBB62_3
.LBB62_2:
	s_mov_b64 s[8:9], -1
                                        ; implicit-def: $sgpr24_sgpr25
                                        ; implicit-def: $vgpr4
.LBB62_3:
	s_load_dwordx4 s[20:23], s[0:1], 0x30
	v_and_b32_e32 v0, 0x3ff, v0
	s_andn2_b64 vcc, exec, s[8:9]
	v_mov_b32_e32 v3, s7
	v_mov_b32_e32 v2, s7
	s_cbranch_vccnz .LBB62_11
; %bb.4:
	s_load_dword s3, s[0:1], 0x4c
	s_load_dword s5, s[0:1], 0x44
	s_load_dwordx8 s[8:15], s[0:1], 0x10
	s_add_u32 s24, s0, 64
	s_addc_u32 s25, s1, 0
	s_waitcnt lgkmcnt(0)
	s_and_b32 s0, s3, 0xffff
	v_mad_u32_u24 v2, v1, s0, v0
	v_and_b32_e32 v4, 63, v2
	v_lshlrev_b32_e32 v2, 3, v1
	v_mov_b32_e32 v3, 0
	v_mbcnt_lo_u32_b32 v6, -1, 0
	v_mov_b32_e32 v5, v3
	v_mbcnt_hi_u32_b32 v6, -1, v6
	s_lshl_b32 s26, s5, 3
	v_lshl_add_u64 v[10:11], v[2:3], 0, s[6:7]
	v_cmp_gt_u32_e64 s[0:1], 8, v4
	v_lshl_add_u32 v8, s2, 5, v0
	v_mov_b32_e32 v9, v3
	v_lshlrev_b32_e32 v6, 2, v6
	v_lshl_add_u64 v[4:5], v[10:11], 0, v[4:5]
	v_mul_lo_u32 v2, s19, v10
	v_mul_lo_u32 v20, s18, v11
	v_mad_u64_u32 v[10:11], s[30:31], s18, v10, 0
	s_mul_i32 s3, s19, s26
	s_mul_hi_u32 s5, s18, s26
	s_mov_b32 s27, 0
	v_and_b32_e32 v12, 0x100, v6
	v_add3_u32 v11, v11, v20, v2
	v_lshlrev_b64 v[8:9], 2, v[8:9]
	s_add_i32 s31, s5, s3
	s_mul_i32 s30, s18, s26
	v_or_b32_e32 v13, 4, v12
	v_or_b32_e32 v14, 8, v12
	;; [unrolled: 1-line block ×7, first 2 shown]
	v_lshlrev_b64 v[6:7], 2, v[4:5]
	s_lshl_b64 s[28:29], s[26:27], 2
	v_lshl_add_u64 v[8:9], v[10:11], 2, v[8:9]
	s_lshl_b64 s[30:31], s[30:31], 2
	s_lshl_b64 s[34:35], s[18:19], 2
	v_mov_b64_e32 v[10:11], s[16:17]
	v_mov_b32_e32 v2, v3
	s_branch .LBB62_7
.LBB62_5:                               ;   in Loop: Header=BB62_7 Depth=1
	s_or_b64 exec, exec, s[38:39]
.LBB62_6:                               ;   in Loop: Header=BB62_7 Depth=1
	s_or_b64 exec, exec, s[36:37]
	v_lshl_add_u64 v[26:27], s[10:11], 0, v[8:9]
	v_lshl_add_u64 v[22:23], s[8:9], 0, v[8:9]
	global_load_dword v24, v[26:27], off
	v_lshl_add_u64 v[26:27], v[26:27], 0, s[34:35]
	global_load_dword v25, v[22:23], off
	v_lshl_add_u64 v[22:23], v[22:23], 0, s[34:35]
	global_load_dword v28, v[26:27], off
	v_lshl_add_u64 v[26:27], v[26:27], 0, s[34:35]
	global_load_dword v29, v[22:23], off
	v_lshl_add_u64 v[22:23], v[22:23], 0, s[34:35]
	global_load_dword v30, v[26:27], off
	global_load_dword v31, v[22:23], off
	v_lshl_add_u64 v[26:27], v[26:27], 0, s[34:35]
	global_load_dword v32, v[26:27], off
	v_lshl_add_u64 v[22:23], v[22:23], 0, s[34:35]
	v_lshl_add_u64 v[26:27], v[26:27], 0, s[34:35]
	global_load_dword v33, v[22:23], off
	global_load_dword v34, v[26:27], off
	v_lshl_add_u64 v[22:23], v[22:23], 0, s[34:35]
	v_lshl_add_u64 v[26:27], v[26:27], 0, s[34:35]
	global_load_dword v35, v[22:23], off
	;; [unrolled: 4-line block ×4, first 2 shown]
	v_lshl_add_u64 v[22:23], v[22:23], 0, s[34:35]
	global_load_dword v26, v[26:27], off
	s_waitcnt vmcnt(16)
	ds_bpermute_b32 v27, v12, v20
	global_load_dword v23, v[22:23], off
	ds_bpermute_b32 v41, v13, v20
	s_waitcnt vmcnt(16)
	ds_bpermute_b32 v22, v12, v21
	ds_bpermute_b32 v43, v14, v20
	;; [unrolled: 1-line block ×14, first 2 shown]
	s_add_u32 s6, s6, s26
	s_addc_u32 s7, s7, 0
	v_cmp_lt_i64_e32 vcc, s[6:7], v[10:11]
	v_lshl_add_u64 v[6:7], v[6:7], 0, s[28:29]
	v_lshl_add_u64 v[4:5], v[4:5], 0, s[26:27]
	;; [unrolled: 1-line block ×3, first 2 shown]
	s_and_b64 vcc, exec, vcc
	s_waitcnt vmcnt(15) lgkmcnt(14)
	v_sub_f32_e32 v24, v24, v27
	s_waitcnt vmcnt(14)
	v_mul_f32_e32 v24, v25, v24
	s_waitcnt lgkmcnt(13)
	v_mul_f32_e32 v24, v24, v22
	s_waitcnt vmcnt(13)
	v_sub_f32_e32 v27, v28, v41
	v_pk_add_f32 v[2:3], v[2:3], v[24:25]
	s_waitcnt vmcnt(12)
	v_mul_f32_e32 v22, v29, v27
	s_waitcnt vmcnt(11) lgkmcnt(12)
	v_sub_f32_e32 v27, v30, v43
	s_waitcnt lgkmcnt(11)
	v_mul_f32_e32 v28, v22, v40
	s_waitcnt vmcnt(10)
	v_mul_f32_e32 v22, v31, v27
	s_waitcnt vmcnt(9) lgkmcnt(10)
	v_sub_f32_e32 v27, v32, v45
	s_waitcnt lgkmcnt(9)
	v_mul_f32_e32 v30, v22, v42
	v_pk_add_f32 v[2:3], v[2:3], v[28:29]
	s_waitcnt vmcnt(8)
	v_mul_f32_e32 v22, v33, v27
	s_waitcnt vmcnt(7) lgkmcnt(8)
	v_sub_f32_e32 v24, v34, v47
	s_waitcnt lgkmcnt(7)
	v_mul_f32_e32 v32, v22, v44
	v_pk_add_f32 v[2:3], v[2:3], v[30:31]
	;; [unrolled: 7-line block ×4, first 2 shown]
	s_waitcnt vmcnt(2)
	v_mul_f32_e32 v22, v39, v24
	s_waitcnt lgkmcnt(1)
	v_mul_f32_e32 v38, v22, v50
	s_waitcnt vmcnt(1)
	v_sub_f32_e32 v20, v26, v20
	v_pk_add_f32 v[2:3], v[2:3], v[36:37]
	s_waitcnt vmcnt(0)
	v_mul_f32_e32 v20, v23, v20
	v_pk_add_f32 v[2:3], v[2:3], v[38:39]
	s_waitcnt lgkmcnt(0)
	v_mul_f32_e32 v22, v20, v21
	v_pk_add_f32 v[2:3], v[2:3], v[22:23]
	s_cbranch_vccz .LBB62_10
.LBB62_7:                               ; =>This Inner Loop Header: Depth=1
	v_mov_b32_e32 v21, 0
	v_mov_b32_e32 v20, 0
	s_and_saveexec_b64 s[36:37], s[0:1]
	s_cbranch_execz .LBB62_6
; %bb.8:                                ;   in Loop: Header=BB62_7 Depth=1
	v_cmp_gt_i64_e32 vcc, s[16:17], v[4:5]
	v_mov_b32_e32 v20, 0
	v_mov_b32_e32 v21, 0
	s_and_saveexec_b64 s[38:39], vcc
	s_cbranch_execz .LBB62_5
; %bb.9:                                ;   in Loop: Header=BB62_7 Depth=1
	v_lshl_add_u64 v[24:25], s[12:13], 0, v[6:7]
	v_lshl_add_u64 v[22:23], s[14:15], 0, v[6:7]
	global_load_dword v20, v[24:25], off
	global_load_dword v21, v[22:23], off
	s_branch .LBB62_5
.LBB62_10:
	v_mov_b32_e32 v4, v1
.LBB62_11:
	s_load_dword s5, s[24:25], 0xc
	s_mov_b32 s3, 0
	v_mov_b32_e32 v1, 0
	s_lshl_b64 s[0:1], s[2:3], 5
	v_lshl_add_u64 v[6:7], s[0:1], 0, v[0:1]
	s_waitcnt lgkmcnt(0)
	s_lshr_b32 s0, s5, 16
	v_mov_b32_e32 v5, v1
	v_mov_b32_e32 v0, s4
	v_mad_u64_u32 v[0:1], s[0:1], s0, v0, v[4:5]
	s_cmp_eq_u64 s[20:21], 0
	v_mul_lo_u32 v1, v1, s18
	v_mul_lo_u32 v4, v0, s19
	s_cbranch_scc1 .LBB62_13
; %bb.12:
	v_mad_u64_u32 v[8:9], s[0:1], v0, s18, 0
	v_add3_u32 v9, v9, v4, v1
	v_lshl_add_u64 v[8:9], v[8:9], 2, s[20:21]
	v_lshl_add_u64 v[8:9], v[6:7], 2, v[8:9]
	global_store_dword v[8:9], v2, off
.LBB62_13:
	s_cmp_eq_u64 s[22:23], 0
	s_cbranch_scc1 .LBB62_15
; %bb.14:
	v_mad_u64_u32 v[8:9], s[0:1], v0, s18, 0
	v_add3_u32 v9, v9, v4, v1
	v_lshl_add_u64 v[0:1], v[8:9], 2, s[22:23]
	v_lshl_add_u64 v[0:1], v[6:7], 2, v[0:1]
	global_store_dword v[0:1], v3, off
.LBB62_15:
	s_endpgm
	.section	.rodata,"a",@progbits
	.p2align	6, 0x0
	.amdhsa_kernel _ZN2at6native12_GLOBAL__N_135GammaBetaBackwardCUDAKernelTemplateIffLj32ELj1ELj8ELb1ELb1ELb0EEEvllPKT_S5_PKT0_S8_PS3_S9_
		.amdhsa_group_segment_fixed_size 0
		.amdhsa_private_segment_fixed_size 0
		.amdhsa_kernarg_size 320
		.amdhsa_user_sgpr_count 2
		.amdhsa_user_sgpr_dispatch_ptr 0
		.amdhsa_user_sgpr_queue_ptr 0
		.amdhsa_user_sgpr_kernarg_segment_ptr 1
		.amdhsa_user_sgpr_dispatch_id 0
		.amdhsa_user_sgpr_kernarg_preload_length 0
		.amdhsa_user_sgpr_kernarg_preload_offset 0
		.amdhsa_user_sgpr_private_segment_size 0
		.amdhsa_uses_dynamic_stack 0
		.amdhsa_enable_private_segment 0
		.amdhsa_system_sgpr_workgroup_id_x 1
		.amdhsa_system_sgpr_workgroup_id_y 1
		.amdhsa_system_sgpr_workgroup_id_z 0
		.amdhsa_system_sgpr_workgroup_info 0
		.amdhsa_system_vgpr_workitem_id 1
		.amdhsa_next_free_vgpr 52
		.amdhsa_next_free_sgpr 40
		.amdhsa_accum_offset 52
		.amdhsa_reserve_vcc 1
		.amdhsa_float_round_mode_32 0
		.amdhsa_float_round_mode_16_64 0
		.amdhsa_float_denorm_mode_32 3
		.amdhsa_float_denorm_mode_16_64 3
		.amdhsa_dx10_clamp 1
		.amdhsa_ieee_mode 1
		.amdhsa_fp16_overflow 0
		.amdhsa_tg_split 0
		.amdhsa_exception_fp_ieee_invalid_op 0
		.amdhsa_exception_fp_denorm_src 0
		.amdhsa_exception_fp_ieee_div_zero 0
		.amdhsa_exception_fp_ieee_overflow 0
		.amdhsa_exception_fp_ieee_underflow 0
		.amdhsa_exception_fp_ieee_inexact 0
		.amdhsa_exception_int_div_zero 0
	.end_amdhsa_kernel
	.section	.text._ZN2at6native12_GLOBAL__N_135GammaBetaBackwardCUDAKernelTemplateIffLj32ELj1ELj8ELb1ELb1ELb0EEEvllPKT_S5_PKT0_S8_PS3_S9_,"axG",@progbits,_ZN2at6native12_GLOBAL__N_135GammaBetaBackwardCUDAKernelTemplateIffLj32ELj1ELj8ELb1ELb1ELb0EEEvllPKT_S5_PKT0_S8_PS3_S9_,comdat
.Lfunc_end62:
	.size	_ZN2at6native12_GLOBAL__N_135GammaBetaBackwardCUDAKernelTemplateIffLj32ELj1ELj8ELb1ELb1ELb0EEEvllPKT_S5_PKT0_S8_PS3_S9_, .Lfunc_end62-_ZN2at6native12_GLOBAL__N_135GammaBetaBackwardCUDAKernelTemplateIffLj32ELj1ELj8ELb1ELb1ELb0EEEvllPKT_S5_PKT0_S8_PS3_S9_
                                        ; -- End function
	.section	.AMDGPU.csdata,"",@progbits
; Kernel info:
; codeLenInByte = 1312
; NumSgprs: 46
; NumVgprs: 52
; NumAgprs: 0
; TotalNumVgprs: 52
; ScratchSize: 0
; MemoryBound: 0
; FloatMode: 240
; IeeeMode: 1
; LDSByteSize: 0 bytes/workgroup (compile time only)
; SGPRBlocks: 5
; VGPRBlocks: 6
; NumSGPRsForWavesPerEU: 46
; NumVGPRsForWavesPerEU: 52
; AccumOffset: 52
; Occupancy: 8
; WaveLimiterHint : 0
; COMPUTE_PGM_RSRC2:SCRATCH_EN: 0
; COMPUTE_PGM_RSRC2:USER_SGPR: 2
; COMPUTE_PGM_RSRC2:TRAP_HANDLER: 0
; COMPUTE_PGM_RSRC2:TGID_X_EN: 1
; COMPUTE_PGM_RSRC2:TGID_Y_EN: 1
; COMPUTE_PGM_RSRC2:TGID_Z_EN: 0
; COMPUTE_PGM_RSRC2:TIDIG_COMP_CNT: 1
; COMPUTE_PGM_RSRC3_GFX90A:ACCUM_OFFSET: 12
; COMPUTE_PGM_RSRC3_GFX90A:TG_SPLIT: 0
	.section	.text._ZN2at6native12_GLOBAL__N_135GammaBetaBackwardCUDAKernelTemplateIffLj32ELj1ELj8ELb1ELb0ELb0EEEvllPKT_S5_PKT0_S8_PS3_S9_,"axG",@progbits,_ZN2at6native12_GLOBAL__N_135GammaBetaBackwardCUDAKernelTemplateIffLj32ELj1ELj8ELb1ELb0ELb0EEEvllPKT_S5_PKT0_S8_PS3_S9_,comdat
	.globl	_ZN2at6native12_GLOBAL__N_135GammaBetaBackwardCUDAKernelTemplateIffLj32ELj1ELj8ELb1ELb0ELb0EEEvllPKT_S5_PKT0_S8_PS3_S9_ ; -- Begin function _ZN2at6native12_GLOBAL__N_135GammaBetaBackwardCUDAKernelTemplateIffLj32ELj1ELj8ELb1ELb0ELb0EEEvllPKT_S5_PKT0_S8_PS3_S9_
	.p2align	8
	.type	_ZN2at6native12_GLOBAL__N_135GammaBetaBackwardCUDAKernelTemplateIffLj32ELj1ELj8ELb1ELb0ELb0EEEvllPKT_S5_PKT0_S8_PS3_S9_,@function
_ZN2at6native12_GLOBAL__N_135GammaBetaBackwardCUDAKernelTemplateIffLj32ELj1ELj8ELb1ELb0ELb0EEEvllPKT_S5_PKT0_S8_PS3_S9_: ; @_ZN2at6native12_GLOBAL__N_135GammaBetaBackwardCUDAKernelTemplateIffLj32ELj1ELj8ELb1ELb0ELb0EEEvllPKT_S5_PKT0_S8_PS3_S9_
; %bb.0:
	s_load_dwordx8 s[12:19], s[0:1], 0x0
	s_load_dwordx4 s[28:31], s[0:1], 0x20
	s_mov_b32 s8, s3
	s_lshl_b32 s3, s2, 5
	s_mov_b32 s20, 0
	s_or_b32 s4, s3, 31
	s_mov_b32 s5, s20
	s_waitcnt lgkmcnt(0)
	v_mov_b64_e32 v[2:3], s[14:15]
	v_cmp_ge_i64_e32 vcc, s[4:5], v[2:3]
	s_lshl_b32 s10, s8, 3
	s_mov_b32 s11, s20
	v_mov_b64_e32 v[2:3], s[12:13]
	v_cmp_lt_i64_e64 s[4:5], s[10:11], v[2:3]
	s_nop 1
	v_cndmask_b32_e64 v1, 0, 1, s[4:5]
	v_cmp_ne_u32_e64 s[4:5], 1, v1
	s_cbranch_vccz .LBB63_48
; %bb.1:
	v_mov_b32_e32 v27, 0
	s_and_b64 vcc, exec, s[4:5]
	v_mov_b32_e32 v26, v27
	s_cbranch_vccnz .LBB63_49
; %bb.2:
	v_mov_b32_e32 v3, 0
	v_bfe_u32 v66, v0, 10, 10
	s_load_dword s9, s[0:1], 0x44
	v_lshlrev_b32_e32 v28, 3, v66
	v_mov_b32_e32 v29, v3
	v_and_b32_e32 v1, 0x3ff, v0
	v_lshl_add_u64 v[4:5], v[28:29], 0, s[10:11]
	v_add_u32_e32 v2, s3, v1
	v_lshl_add_u64 v[6:7], v[4:5], 0, 7
	s_add_u32 s34, s0, 64
	v_cmp_gt_i64_e64 s[6:7], s[14:15], v[2:3]
	v_lshlrev_b64 v[30:31], 2, v[2:3]
	v_mul_lo_u32 v2, s15, v6
	v_mul_lo_u32 v8, s14, v7
	v_mad_u64_u32 v[6:7], s[22:23], s14, v6, 0
	s_addc_u32 s35, s1, 0
	s_waitcnt lgkmcnt(0)
	s_lshl_b32 s36, s9, 3
	v_add3_u32 v7, v7, v8, v2
	v_lshlrev_b64 v[6:7], 2, v[6:7]
	s_mul_i32 s9, s15, s36
	s_mul_hi_u32 s21, s14, s36
	v_lshl_add_u64 v[32:33], s[16:17], 0, v[6:7]
	s_add_i32 s23, s21, s9
	s_mul_i32 s22, s14, s36
	v_lshl_add_u64 v[34:35], s[18:19], 0, v[6:7]
	v_lshl_add_u64 v[6:7], v[4:5], 0, 6
	s_lshl_b64 s[40:41], s[22:23], 2
	v_mul_lo_u32 v2, s15, v6
	v_mul_lo_u32 v8, s14, v7
	v_mad_u64_u32 v[6:7], s[22:23], s14, v6, 0
	v_add3_u32 v7, v7, v8, v2
	v_lshlrev_b64 v[6:7], 2, v[6:7]
	v_lshl_add_u64 v[36:37], s[16:17], 0, v[6:7]
	v_lshl_add_u64 v[38:39], s[18:19], 0, v[6:7]
	v_lshl_add_u64 v[6:7], v[4:5], 0, 5
	v_mul_lo_u32 v2, s15, v6
	v_mul_lo_u32 v8, s14, v7
	v_mad_u64_u32 v[6:7], s[22:23], s14, v6, 0
	v_add3_u32 v7, v7, v8, v2
	v_lshlrev_b64 v[6:7], 2, v[6:7]
	v_lshl_add_u64 v[40:41], s[16:17], 0, v[6:7]
	v_lshl_add_u64 v[42:43], s[18:19], 0, v[6:7]
	v_lshl_add_u64 v[6:7], v[4:5], 0, 4
	;; [unrolled: 8-line block ×4, first 2 shown]
	v_mul_lo_u32 v2, s15, v6
	v_mul_lo_u32 v8, s14, v7
	v_mad_u64_u32 v[6:7], s[22:23], s14, v6, 0
	v_add3_u32 v7, v7, v8, v2
	v_lshlrev_b64 v[6:7], 2, v[6:7]
	v_lshl_add_u64 v[52:53], s[16:17], 0, v[6:7]
	v_lshl_add_u64 v[54:55], s[18:19], 0, v[6:7]
	v_mov_b64_e32 v[6:7], s[14:15]
	v_mad_u64_u32 v[6:7], s[22:23], s14, v4, v[6:7]
	v_mul_lo_u32 v2, s14, v5
	v_mul_lo_u32 v8, s15, v4
	v_mad_u64_u32 v[4:5], s[22:23], s14, v4, 0
	v_add3_u32 v7, v8, v7, v2
	v_add3_u32 v5, v5, v2, v8
	v_mbcnt_lo_u32_b32 v2, -1, 0
	v_mbcnt_hi_u32_b32 v2, -1, v2
	v_lshlrev_b64 v[6:7], 2, v[6:7]
	v_lshlrev_b64 v[4:5], 2, v[4:5]
	v_lshlrev_b32_e32 v2, 2, v2
	s_mov_b32 s37, s20
	s_mov_b64 s[38:39], 7
	v_lshl_add_u64 v[56:57], s[16:17], 0, v[6:7]
	v_lshl_add_u64 v[58:59], s[18:19], 0, v[6:7]
	;; [unrolled: 1-line block ×4, first 2 shown]
	v_and_b32_e32 v67, 0x100, v2
	s_mov_b64 s[42:43], s[10:11]
	v_mov_b32_e32 v26, v3
	v_mov_b32_e32 v27, v3
	s_branch .LBB63_5
.LBB63_3:                               ;   in Loop: Header=BB63_5 Depth=1
	s_or_b64 exec, exec, s[22:23]
	s_waitcnt vmcnt(1)
	ds_bpermute_b32 v2, v67, v69
	ds_bpermute_b32 v4, v67, v69 offset:4
	s_waitcnt vmcnt(0)
	ds_bpermute_b32 v5, v67, v68
	ds_bpermute_b32 v6, v67, v68 offset:4
	ds_bpermute_b32 v9, v67, v68 offset:12
	s_waitcnt lgkmcnt(4)
	v_sub_f32_e32 v2, v10, v2
	v_mul_f32_e32 v2, v18, v2
	s_waitcnt lgkmcnt(3)
	v_sub_f32_e32 v7, v11, v4
	s_waitcnt lgkmcnt(2)
	v_mul_f32_e32 v4, v2, v5
	ds_bpermute_b32 v2, v67, v69 offset:8
	v_mul_f32_e32 v5, v19, v7
	s_waitcnt lgkmcnt(2)
	v_mul_f32_e32 v6, v5, v6
	ds_bpermute_b32 v5, v67, v68 offset:8
	ds_bpermute_b32 v7, v67, v69 offset:12
	s_waitcnt lgkmcnt(2)
	v_sub_f32_e32 v2, v12, v2
	v_mul_f32_e32 v2, v20, v2
	v_mov_b32_e32 v11, v21
	s_waitcnt lgkmcnt(1)
	v_mul_f32_e32 v8, v2, v5
	s_waitcnt lgkmcnt(0)
	v_sub_f32_e32 v2, v13, v7
	ds_bpermute_b32 v5, v67, v69 offset:16
	v_mul_f32_e32 v2, v21, v2
	v_mul_f32_e32 v10, v2, v9
	ds_bpermute_b32 v2, v67, v68 offset:16
	ds_bpermute_b32 v7, v67, v69 offset:20
	;; [unrolled: 1-line block ×3, first 2 shown]
	s_waitcnt lgkmcnt(3)
	v_sub_f32_e32 v5, v14, v5
	v_mul_f32_e32 v5, v22, v5
	s_waitcnt lgkmcnt(2)
	v_mul_f32_e32 v12, v5, v2
	s_waitcnt lgkmcnt(1)
	v_sub_f32_e32 v2, v15, v7
	v_mul_f32_e32 v2, v23, v2
	s_waitcnt lgkmcnt(0)
	v_mul_f32_e32 v14, v2, v9
	v_mov_b32_e32 v5, v18
	ds_bpermute_b32 v2, v67, v69 offset:24
	v_pk_add_f32 v[4:5], v[26:27], v[4:5]
	v_mov_b32_e32 v7, v19
	v_pk_add_f32 v[4:5], v[6:7], v[4:5]
	ds_bpermute_b32 v7, v67, v68 offset:24
	v_mov_b32_e32 v9, v20
	v_pk_add_f32 v[4:5], v[8:9], v[4:5]
	v_mov_b32_e32 v13, v22
	v_pk_add_f32 v[4:5], v[10:11], v[4:5]
	s_waitcnt lgkmcnt(1)
	v_sub_f32_e32 v8, v16, v2
	v_pk_add_f32 v[4:5], v[12:13], v[4:5]
	v_mov_b32_e32 v15, v23
	v_mul_f32_e32 v8, v24, v8
	v_pk_add_f32 v[4:5], v[14:15], v[4:5]
	s_waitcnt lgkmcnt(0)
	v_mul_f32_e32 v8, v8, v7
	v_mov_b32_e32 v9, v24
	ds_bpermute_b32 v2, v67, v68 offset:28
	ds_bpermute_b32 v6, v67, v69 offset:28
	v_pk_add_f32 v[4:5], v[8:9], v[4:5]
.LBB63_4:                               ;   in Loop: Header=BB63_5 Depth=1
	s_waitcnt lgkmcnt(0)
	v_sub_f32_e32 v6, v17, v6
	v_mul_f32_e32 v6, v25, v6
	v_mul_f32_e32 v24, v6, v2
	s_add_u32 s42, s42, s36
	v_pk_add_f32 v[26:27], v[4:5], v[24:25]
	s_addc_u32 s43, s43, 0
	v_mov_b64_e32 v[4:5], s[12:13]
	s_add_u32 s38, s38, s36
	v_cmp_lt_i64_e32 vcc, s[42:43], v[4:5]
	v_lshl_add_u64 v[32:33], v[32:33], 0, s[40:41]
	v_lshl_add_u64 v[34:35], v[34:35], 0, s[40:41]
	;; [unrolled: 1-line block ×17, first 2 shown]
	s_addc_u32 s39, s39, 0
	s_cbranch_vccz .LBB63_49
.LBB63_5:                               ; =>This Inner Loop Header: Depth=1
	s_add_u32 s22, s10, s38
	s_addc_u32 s23, 0, s39
	v_mov_b64_e32 v[4:5], s[12:13]
	v_cmp_ge_i64_e32 vcc, s[22:23], v[4:5]
	v_lshl_add_u64 v[64:65], s[10:11], 0, v[28:29]
	s_cbranch_vccz .LBB63_27
; %bb.6:                                ;   in Loop: Header=BB63_5 Depth=1
	s_load_dword s9, s[34:35], 0xc
	v_mov_b32_e32 v68, 0
	v_mov_b32_e32 v69, 0
	s_waitcnt lgkmcnt(0)
	s_and_b32 s9, s9, 0xffff
	v_mad_u32_u24 v2, v66, s9, v1
	v_and_b32_e32 v2, 63, v2
	v_cmp_gt_u32_e32 vcc, 8, v2
	s_and_saveexec_b64 s[22:23], vcc
	s_cbranch_execz .LBB63_10
; %bb.7:                                ;   in Loop: Header=BB63_5 Depth=1
	v_lshl_add_u64 v[4:5], v[64:65], 0, v[2:3]
	v_cmp_gt_i64_e32 vcc, s[12:13], v[4:5]
	v_mov_b32_e32 v69, 0
	v_mov_b32_e32 v68, 0
	s_and_saveexec_b64 s[24:25], vcc
	s_cbranch_execz .LBB63_9
; %bb.8:                                ;   in Loop: Header=BB63_5 Depth=1
	v_lshlrev_b64 v[4:5], 2, v[4:5]
	v_lshl_add_u64 v[6:7], s[30:31], 0, v[4:5]
	v_lshl_add_u64 v[4:5], s[28:29], 0, v[4:5]
	global_load_dword v69, v[4:5], off
	global_load_dword v68, v[6:7], off
.LBB63_9:                               ;   in Loop: Header=BB63_5 Depth=1
	s_or_b64 exec, exec, s[24:25]
.LBB63_10:                              ;   in Loop: Header=BB63_5 Depth=1
	s_or_b64 exec, exec, s[22:23]
	s_mov_b32 s21, s20
	s_mov_b32 s22, s20
	;; [unrolled: 1-line block ×7, first 2 shown]
	v_mov_b64_e32 v[10:11], s[20:21]
	v_mov_b64_e32 v[16:17], s[26:27]
	v_cmp_gt_i64_e32 vcc, s[12:13], v[64:65]
	v_mov_b64_e32 v[12:13], s[22:23]
	v_mov_b64_e32 v[14:15], s[24:25]
	;; [unrolled: 1-line block ×3, first 2 shown]
	s_and_b64 s[44:45], s[6:7], vcc
	v_mov_b64_e32 v[22:23], v[14:15]
	v_mov_b64_e32 v[20:21], v[12:13]
	;; [unrolled: 1-line block ×3, first 2 shown]
	s_and_saveexec_b64 s[22:23], s[44:45]
	s_cbranch_execz .LBB63_12
; %bb.11:                               ;   in Loop: Header=BB63_5 Depth=1
	v_lshl_add_u64 v[4:5], v[60:61], 0, v[30:31]
	global_load_dword v2, v[4:5], off
	v_lshl_add_u64 v[4:5], v[62:63], 0, v[30:31]
	global_load_dword v10, v[4:5], off
	v_mov_b32_e32 v8, v3
	v_mov_b32_e32 v9, v3
	;; [unrolled: 1-line block ×6, first 2 shown]
	s_waitcnt vmcnt(1)
	v_mov_b64_e32 v[24:25], v[8:9]
	v_mov_b32_e32 v11, v3
	v_mov_b32_e32 v12, v3
	;; [unrolled: 1-line block ×7, first 2 shown]
	v_mov_b64_e32 v[22:23], v[6:7]
	v_mov_b64_e32 v[20:21], v[4:5]
	;; [unrolled: 1-line block ×3, first 2 shown]
.LBB63_12:                              ;   in Loop: Header=BB63_5 Depth=1
	s_or_b64 exec, exec, s[22:23]
	v_lshl_add_u64 v[4:5], v[64:65], 0, 1
	v_cmp_gt_i64_e32 vcc, s[12:13], v[4:5]
	s_and_b64 s[24:25], s[6:7], vcc
	s_and_saveexec_b64 s[22:23], s[24:25]
	s_cbranch_execz .LBB63_14
; %bb.13:                               ;   in Loop: Header=BB63_5 Depth=1
	v_lshl_add_u64 v[4:5], v[56:57], 0, v[30:31]
	global_load_dword v19, v[4:5], off
	v_lshl_add_u64 v[4:5], v[58:59], 0, v[30:31]
	global_load_dword v11, v[4:5], off
.LBB63_14:                              ;   in Loop: Header=BB63_5 Depth=1
	s_or_b64 exec, exec, s[22:23]
	v_lshl_add_u64 v[4:5], v[64:65], 0, 2
	v_cmp_gt_i64_e32 vcc, s[12:13], v[4:5]
	s_and_b64 s[24:25], s[6:7], vcc
	s_and_saveexec_b64 s[22:23], s[24:25]
	s_cbranch_execz .LBB63_16
; %bb.15:                               ;   in Loop: Header=BB63_5 Depth=1
	v_lshl_add_u64 v[4:5], v[52:53], 0, v[30:31]
	global_load_dword v20, v[4:5], off
	v_lshl_add_u64 v[4:5], v[54:55], 0, v[30:31]
	global_load_dword v12, v[4:5], off
.LBB63_16:                              ;   in Loop: Header=BB63_5 Depth=1
	;; [unrolled: 12-line block ×7, first 2 shown]
	s_or_b64 exec, exec, s[22:23]
	s_waitcnt vmcnt(1)
	ds_bpermute_b32 v2, v67, v69
	ds_bpermute_b32 v4, v67, v69 offset:4
	s_waitcnt vmcnt(0)
	ds_bpermute_b32 v5, v67, v68
	ds_bpermute_b32 v6, v67, v68 offset:4
	ds_bpermute_b32 v9, v67, v68 offset:12
	s_waitcnt lgkmcnt(4)
	v_sub_f32_e32 v2, v10, v2
	v_mul_f32_e32 v2, v18, v2
	s_waitcnt lgkmcnt(3)
	v_sub_f32_e32 v7, v11, v4
	s_waitcnt lgkmcnt(2)
	v_mul_f32_e32 v4, v2, v5
	ds_bpermute_b32 v2, v67, v69 offset:8
	v_mul_f32_e32 v5, v19, v7
	s_waitcnt lgkmcnt(2)
	v_mul_f32_e32 v6, v5, v6
	ds_bpermute_b32 v5, v67, v68 offset:8
	ds_bpermute_b32 v7, v67, v69 offset:12
	s_waitcnt lgkmcnt(2)
	v_sub_f32_e32 v2, v12, v2
	v_mul_f32_e32 v2, v20, v2
	v_mov_b32_e32 v11, v21
	s_waitcnt lgkmcnt(1)
	v_mul_f32_e32 v8, v2, v5
	s_waitcnt lgkmcnt(0)
	v_sub_f32_e32 v2, v13, v7
	ds_bpermute_b32 v5, v67, v69 offset:16
	v_mul_f32_e32 v2, v21, v2
	v_mul_f32_e32 v10, v2, v9
	ds_bpermute_b32 v2, v67, v68 offset:16
	ds_bpermute_b32 v7, v67, v69 offset:20
	;; [unrolled: 1-line block ×3, first 2 shown]
	s_waitcnt lgkmcnt(3)
	v_sub_f32_e32 v5, v14, v5
	v_mul_f32_e32 v5, v22, v5
	s_waitcnt lgkmcnt(2)
	v_mul_f32_e32 v12, v5, v2
	s_waitcnt lgkmcnt(1)
	v_sub_f32_e32 v2, v15, v7
	v_mul_f32_e32 v2, v23, v2
	s_waitcnt lgkmcnt(0)
	v_mul_f32_e32 v14, v2, v9
	ds_bpermute_b32 v2, v67, v69 offset:24
	v_mov_b32_e32 v5, v18
	v_pk_add_f32 v[4:5], v[26:27], v[4:5]
	v_mov_b32_e32 v7, v19
	v_pk_add_f32 v[4:5], v[6:7], v[4:5]
	ds_bpermute_b32 v7, v67, v68 offset:24
	v_mov_b32_e32 v9, v20
	s_waitcnt lgkmcnt(1)
	v_sub_f32_e32 v2, v16, v2
	v_pk_add_f32 v[4:5], v[8:9], v[4:5]
	v_mul_f32_e32 v8, v24, v2
	ds_bpermute_b32 v2, v67, v68 offset:28
	ds_bpermute_b32 v6, v67, v69 offset:28
	v_pk_add_f32 v[4:5], v[10:11], v[4:5]
	v_mov_b32_e32 v13, v22
	v_pk_add_f32 v[4:5], v[12:13], v[4:5]
	v_mov_b32_e32 v15, v23
	v_pk_add_f32 v[4:5], v[14:15], v[4:5]
	s_waitcnt lgkmcnt(2)
	v_mul_f32_e32 v8, v8, v7
	v_mov_b32_e32 v9, v24
	v_pk_add_f32 v[4:5], v[8:9], v[4:5]
	s_branch .LBB63_4
.LBB63_27:                              ;   in Loop: Header=BB63_5 Depth=1
                                        ; implicit-def: $vgpr4_vgpr5
                                        ; implicit-def: $vgpr2
                                        ; implicit-def: $vgpr10_vgpr11_vgpr12_vgpr13_vgpr14_vgpr15_vgpr16_vgpr17
                                        ; implicit-def: $vgpr18_vgpr19_vgpr20_vgpr21_vgpr22_vgpr23_vgpr24_vgpr25
                                        ; implicit-def: $vgpr6
	s_cbranch_execz .LBB63_4
; %bb.28:                               ;   in Loop: Header=BB63_5 Depth=1
	s_load_dword s9, s[34:35], 0x0
	v_mov_b32_e32 v68, 0
	v_mov_b32_e32 v69, 0
	s_waitcnt lgkmcnt(0)
	s_cmp_lt_u32 s2, s9
	s_cselect_b32 s9, 12, 18
	s_add_u32 s22, s34, s9
	s_addc_u32 s23, s35, 0
	global_load_ushort v2, v3, s[22:23]
	s_waitcnt vmcnt(0)
	v_mad_u32_u24 v2, v66, v2, v1
	v_and_b32_e32 v2, 63, v2
	v_cmp_gt_u32_e32 vcc, 8, v2
	s_and_saveexec_b64 s[22:23], vcc
	s_cbranch_execz .LBB63_32
; %bb.29:                               ;   in Loop: Header=BB63_5 Depth=1
	v_lshl_add_u64 v[4:5], v[64:65], 0, v[2:3]
	v_cmp_gt_i64_e32 vcc, s[12:13], v[4:5]
	v_mov_b32_e32 v69, 0
	v_mov_b32_e32 v68, 0
	s_and_saveexec_b64 s[24:25], vcc
	s_cbranch_execz .LBB63_31
; %bb.30:                               ;   in Loop: Header=BB63_5 Depth=1
	v_lshlrev_b64 v[4:5], 2, v[4:5]
	v_lshl_add_u64 v[6:7], s[30:31], 0, v[4:5]
	v_lshl_add_u64 v[4:5], s[28:29], 0, v[4:5]
	global_load_dword v69, v[4:5], off
	global_load_dword v68, v[6:7], off
.LBB63_31:                              ;   in Loop: Header=BB63_5 Depth=1
	s_or_b64 exec, exec, s[24:25]
.LBB63_32:                              ;   in Loop: Header=BB63_5 Depth=1
	s_or_b64 exec, exec, s[22:23]
	s_mov_b32 s21, s20
	s_mov_b32 s22, s20
	;; [unrolled: 1-line block ×7, first 2 shown]
	v_mov_b64_e32 v[10:11], s[20:21]
	v_mov_b64_e32 v[16:17], s[26:27]
	;; [unrolled: 1-line block ×8, first 2 shown]
	s_and_saveexec_b64 s[22:23], s[6:7]
	s_cbranch_execnz .LBB63_40
; %bb.33:                               ;   in Loop: Header=BB63_5 Depth=1
	s_or_b64 exec, exec, s[22:23]
	s_and_saveexec_b64 s[22:23], s[6:7]
	s_cbranch_execnz .LBB63_41
.LBB63_34:                              ;   in Loop: Header=BB63_5 Depth=1
	s_or_b64 exec, exec, s[22:23]
	s_and_saveexec_b64 s[22:23], s[6:7]
	s_cbranch_execnz .LBB63_42
.LBB63_35:                              ;   in Loop: Header=BB63_5 Depth=1
	s_or_b64 exec, exec, s[22:23]
	s_and_saveexec_b64 s[22:23], s[6:7]
	s_cbranch_execnz .LBB63_43
.LBB63_36:                              ;   in Loop: Header=BB63_5 Depth=1
	s_or_b64 exec, exec, s[22:23]
	s_and_saveexec_b64 s[22:23], s[6:7]
	s_cbranch_execnz .LBB63_44
.LBB63_37:                              ;   in Loop: Header=BB63_5 Depth=1
	s_or_b64 exec, exec, s[22:23]
	s_and_saveexec_b64 s[22:23], s[6:7]
	s_cbranch_execnz .LBB63_45
.LBB63_38:                              ;   in Loop: Header=BB63_5 Depth=1
	s_or_b64 exec, exec, s[22:23]
	s_and_saveexec_b64 s[22:23], s[6:7]
	s_cbranch_execnz .LBB63_46
.LBB63_39:                              ;   in Loop: Header=BB63_5 Depth=1
	s_or_b64 exec, exec, s[22:23]
	s_and_saveexec_b64 s[22:23], s[6:7]
	s_cbranch_execz .LBB63_3
	s_branch .LBB63_47
.LBB63_40:                              ;   in Loop: Header=BB63_5 Depth=1
	v_lshl_add_u64 v[4:5], v[60:61], 0, v[30:31]
	global_load_dword v2, v[4:5], off
	v_lshl_add_u64 v[4:5], v[62:63], 0, v[30:31]
	global_load_dword v10, v[4:5], off
	v_mov_b32_e32 v8, v3
	v_mov_b32_e32 v9, v3
	;; [unrolled: 1-line block ×6, first 2 shown]
	s_waitcnt vmcnt(1)
	v_mov_b64_e32 v[24:25], v[8:9]
	v_mov_b32_e32 v11, v3
	v_mov_b32_e32 v12, v3
	;; [unrolled: 1-line block ×7, first 2 shown]
	v_mov_b64_e32 v[22:23], v[6:7]
	v_mov_b64_e32 v[20:21], v[4:5]
	;; [unrolled: 1-line block ×3, first 2 shown]
	s_or_b64 exec, exec, s[22:23]
	s_and_saveexec_b64 s[22:23], s[6:7]
	s_cbranch_execz .LBB63_34
.LBB63_41:                              ;   in Loop: Header=BB63_5 Depth=1
	v_lshl_add_u64 v[4:5], v[56:57], 0, v[30:31]
	global_load_dword v19, v[4:5], off
	v_lshl_add_u64 v[4:5], v[58:59], 0, v[30:31]
	global_load_dword v11, v[4:5], off
	s_or_b64 exec, exec, s[22:23]
	s_and_saveexec_b64 s[22:23], s[6:7]
	s_cbranch_execz .LBB63_35
.LBB63_42:                              ;   in Loop: Header=BB63_5 Depth=1
	v_lshl_add_u64 v[4:5], v[52:53], 0, v[30:31]
	global_load_dword v20, v[4:5], off
	v_lshl_add_u64 v[4:5], v[54:55], 0, v[30:31]
	global_load_dword v12, v[4:5], off
	s_or_b64 exec, exec, s[22:23]
	s_and_saveexec_b64 s[22:23], s[6:7]
	s_cbranch_execz .LBB63_36
.LBB63_43:                              ;   in Loop: Header=BB63_5 Depth=1
	v_lshl_add_u64 v[4:5], v[48:49], 0, v[30:31]
	global_load_dword v21, v[4:5], off
	v_lshl_add_u64 v[4:5], v[50:51], 0, v[30:31]
	global_load_dword v13, v[4:5], off
	s_or_b64 exec, exec, s[22:23]
	s_and_saveexec_b64 s[22:23], s[6:7]
	s_cbranch_execz .LBB63_37
.LBB63_44:                              ;   in Loop: Header=BB63_5 Depth=1
	v_lshl_add_u64 v[4:5], v[44:45], 0, v[30:31]
	global_load_dword v22, v[4:5], off
	v_lshl_add_u64 v[4:5], v[46:47], 0, v[30:31]
	global_load_dword v14, v[4:5], off
	s_or_b64 exec, exec, s[22:23]
	s_and_saveexec_b64 s[22:23], s[6:7]
	s_cbranch_execz .LBB63_38
.LBB63_45:                              ;   in Loop: Header=BB63_5 Depth=1
	v_lshl_add_u64 v[4:5], v[40:41], 0, v[30:31]
	global_load_dword v23, v[4:5], off
	v_lshl_add_u64 v[4:5], v[42:43], 0, v[30:31]
	global_load_dword v15, v[4:5], off
	s_or_b64 exec, exec, s[22:23]
	s_and_saveexec_b64 s[22:23], s[6:7]
	s_cbranch_execz .LBB63_39
.LBB63_46:                              ;   in Loop: Header=BB63_5 Depth=1
	v_lshl_add_u64 v[4:5], v[36:37], 0, v[30:31]
	global_load_dword v24, v[4:5], off
	v_lshl_add_u64 v[4:5], v[38:39], 0, v[30:31]
	global_load_dword v16, v[4:5], off
	s_or_b64 exec, exec, s[22:23]
	s_and_saveexec_b64 s[22:23], s[6:7]
	s_cbranch_execz .LBB63_3
.LBB63_47:                              ;   in Loop: Header=BB63_5 Depth=1
	v_lshl_add_u64 v[4:5], v[32:33], 0, v[30:31]
	global_load_dword v25, v[4:5], off
	v_lshl_add_u64 v[4:5], v[34:35], 0, v[30:31]
	global_load_dword v17, v[4:5], off
	s_branch .LBB63_3
.LBB63_48:
                                        ; implicit-def: $vgpr27
	s_branch .LBB63_50
.LBB63_49:
	s_cbranch_execnz .LBB63_81
.LBB63_50:
	v_mov_b32_e32 v27, 0
	s_mov_b32 s20, 0
	s_and_b64 vcc, exec, s[4:5]
	v_mov_b32_e32 v26, v27
	s_cbranch_vccnz .LBB63_81
; %bb.51:
	v_and_b32_e32 v1, 0x3ff, v0
	v_add_u32_e32 v2, s3, v1
	v_mov_b32_e32 v3, 0
	v_bfe_u32 v88, v0, 10, 10
	v_lshlrev_b64 v[22:23], 2, v[2:3]
	v_lshlrev_b32_e32 v2, 5, v88
	v_lshl_add_u64 v[4:5], s[10:11], 2, v[2:3]
	v_lshl_add_u64 v[6:7], v[4:5], 0, 4
	v_mov_b64_e32 v[8:9], s[16:17]
	v_lshl_add_u64 v[10:11], v[4:5], 0, 8
	v_lshl_add_u64 v[12:13], v[4:5], 0, 12
	;; [unrolled: 1-line block ×6, first 2 shown]
	v_mad_u64_u32 v[24:25], s[4:5], s14, v6, v[8:9]
	v_mad_u64_u32 v[28:29], s[4:5], s14, v10, v[8:9]
	;; [unrolled: 1-line block ×7, first 2 shown]
	v_mov_b64_e32 v[8:9], s[18:19]
	v_mul_lo_u32 v15, s14, v15
	v_mul_lo_u32 v48, s15, v14
	v_mad_u64_u32 v[46:47], s[4:5], s14, v14, v[8:9]
	v_add3_u32 v33, v48, v33, v15
	v_mul_lo_u32 v17, s14, v17
	v_mul_lo_u32 v50, s15, v16
	v_add3_u32 v47, v48, v47, v15
	v_mad_u64_u32 v[48:49], s[4:5], s14, v16, v[8:9]
	v_lshlrev_b32_e32 v20, 3, v88
	v_mov_b32_e32 v21, v3
	v_mul_lo_u32 v2, s14, v7
	v_mul_lo_u32 v7, s15, v6
	v_add3_u32 v35, v50, v35, v17
	v_mul_lo_u32 v19, s14, v19
	v_mul_lo_u32 v52, s15, v18
	v_mad_u64_u32 v[40:41], s[4:5], s14, v6, v[8:9]
	v_add3_u32 v49, v50, v49, v17
	v_mad_u64_u32 v[50:51], s[4:5], s14, v18, v[8:9]
	v_add3_u32 v25, v7, v25, v2
	v_add3_u32 v37, v52, v37, v19
	v_mul_lo_u32 v5, s14, v5
	v_mul_lo_u32 v54, s15, v4
	v_add3_u32 v41, v7, v41, v2
	v_lshl_add_u64 v[6:7], v[20:21], 0, s[10:11]
	v_add3_u32 v51, v52, v51, v19
	v_mad_u64_u32 v[52:53], s[4:5], s14, v4, v[8:9]
	v_add3_u32 v39, v54, v39, v5
	v_add3_u32 v53, v54, v53, v5
	v_lshl_add_u64 v[4:5], v[6:7], 0, 7
	v_mad_u64_u32 v[42:43], s[4:5], s14, v10, v[8:9]
	v_mad_u64_u32 v[44:45], s[4:5], s14, v12, v[8:9]
	v_mul_lo_u32 v8, s15, v4
	v_mul_lo_u32 v9, s14, v5
	v_mad_u64_u32 v[4:5], s[4:5], s14, v4, 0
	v_mul_lo_u32 v11, s14, v11
	v_mul_lo_u32 v26, s15, v10
	v_add3_u32 v5, v5, v9, v8
	v_lshl_add_u64 v[8:9], v[6:7], 0, 6
	v_add3_u32 v29, v26, v29, v11
	v_add3_u32 v43, v26, v43, v11
	v_mul_lo_u32 v10, s15, v8
	v_mul_lo_u32 v11, s14, v9
	v_mad_u64_u32 v[8:9], s[4:5], s14, v8, 0
	v_mul_lo_u32 v13, s14, v13
	v_mul_lo_u32 v27, s15, v12
	v_add3_u32 v9, v9, v11, v10
	v_lshl_add_u64 v[10:11], v[6:7], 0, 5
	v_add3_u32 v31, v27, v31, v13
	v_add3_u32 v45, v27, v45, v13
	v_mul_lo_u32 v12, s15, v10
	v_mul_lo_u32 v13, s14, v11
	v_mad_u64_u32 v[10:11], s[4:5], s14, v10, 0
	v_add3_u32 v11, v11, v13, v12
	v_lshl_add_u64 v[12:13], v[6:7], 0, 4
	v_mul_lo_u32 v14, s15, v12
	v_mul_lo_u32 v15, s14, v13
	v_mad_u64_u32 v[12:13], s[4:5], s14, v12, 0
	v_add3_u32 v13, v13, v15, v14
	v_lshl_add_u64 v[14:15], v[6:7], 0, 3
	;; [unrolled: 5-line block ×3, first 2 shown]
	s_load_dword s3, s[0:1], 0x44
	v_mul_lo_u32 v18, s15, v16
	v_mul_lo_u32 v19, s14, v17
	v_mad_u64_u32 v[16:17], s[4:5], s14, v16, 0
	v_lshlrev_b64 v[4:5], 2, v[4:5]
	v_add3_u32 v17, v17, v19, v18
	v_mov_b64_e32 v[18:19], s[14:15]
	v_lshl_add_u64 v[58:59], s[16:17], 0, v[4:5]
	v_lshl_add_u64 v[60:61], s[18:19], 0, v[4:5]
	v_lshlrev_b64 v[4:5], 2, v[8:9]
	v_mul_lo_u32 v2, s15, v6
	v_mad_u64_u32 v[18:19], s[4:5], s14, v6, v[18:19]
	v_mul_lo_u32 v26, s14, v7
	v_mad_u64_u32 v[6:7], s[4:5], s14, v6, 0
	v_lshl_add_u64 v[62:63], s[16:17], 0, v[4:5]
	v_lshl_add_u64 v[64:65], s[18:19], 0, v[4:5]
	v_lshlrev_b64 v[4:5], 2, v[10:11]
	s_add_u32 s4, s0, 64
	v_lshl_add_u64 v[66:67], s[16:17], 0, v[4:5]
	v_lshl_add_u64 v[68:69], s[18:19], 0, v[4:5]
	v_lshlrev_b64 v[4:5], 2, v[12:13]
	v_add3_u32 v7, v7, v26, v2
	v_add3_u32 v19, v2, v19, v26
	s_addc_u32 s5, s1, 0
	s_waitcnt lgkmcnt(0)
	s_lshl_b32 s6, s3, 3
	v_lshl_add_u64 v[70:71], s[16:17], 0, v[4:5]
	v_lshl_add_u64 v[72:73], s[18:19], 0, v[4:5]
	v_lshlrev_b64 v[4:5], 2, v[14:15]
	v_mbcnt_lo_u32_b32 v2, -1, 0
	s_mul_i32 s3, s15, s6
	s_mul_hi_u32 s9, s14, s6
	v_lshl_add_u64 v[74:75], s[16:17], 0, v[4:5]
	v_lshl_add_u64 v[76:77], s[18:19], 0, v[4:5]
	v_lshlrev_b64 v[4:5], 2, v[16:17]
	v_mbcnt_hi_u32_b32 v2, -1, v2
	s_add_i32 s23, s9, s3
	s_mul_i32 s22, s14, s6
	v_lshlrev_b64 v[6:7], 2, v[6:7]
	v_lshl_add_u64 v[78:79], s[16:17], 0, v[4:5]
	v_lshl_add_u64 v[80:81], s[18:19], 0, v[4:5]
	v_lshlrev_b64 v[4:5], 2, v[18:19]
	v_lshlrev_b32_e32 v2, 2, v2
	s_mov_b32 s7, s20
	s_lshl_b64 s[34:35], s[22:23], 2
	v_lshl_add_u64 v[54:55], s[16:17], 0, v[6:7]
	v_lshl_add_u64 v[56:57], s[18:19], 0, v[6:7]
	s_mov_b64 s[36:37], 7
	v_lshl_add_u64 v[82:83], s[16:17], 0, v[4:5]
	v_lshl_add_u64 v[84:85], s[18:19], 0, v[4:5]
	v_and_b32_e32 v89, 0x100, v2
	s_mov_b64 s[16:17], s[10:11]
	v_mov_b32_e32 v26, v3
	v_mov_b32_e32 v27, v3
	s_branch .LBB63_55
.LBB63_52:                              ;   in Loop: Header=BB63_55 Depth=1
	s_or_b64 exec, exec, s[22:23]
.LBB63_53:                              ;   in Loop: Header=BB63_55 Depth=1
	s_or_b64 exec, exec, s[18:19]
	v_lshl_add_u64 v[4:5], v[54:55], 0, v[22:23]
	v_lshl_add_u64 v[10:11], v[40:41], 0, v[22:23]
	global_load_dword v5, v[4:5], off
	v_lshl_add_u64 v[8:9], v[56:57], 0, v[22:23]
	global_load_dword v4, v[10:11], off
	;; [unrolled: 2-line block ×5, first 2 shown]
	s_waitcnt vmcnt(6)
	ds_bpermute_b32 v90, v89, v6
	global_load_dword v8, v[10:11], off
	v_lshl_add_u64 v[10:11], v[30:31], 0, v[22:23]
	global_load_dword v15, v[10:11], off
	v_lshl_add_u64 v[10:11], v[44:45], 0, v[22:23]
	;; [unrolled: 2-line block ×10, first 2 shown]
	global_load_dword v11, v[10:11], off
	ds_bpermute_b32 v92, v89, v6 offset:4
	s_waitcnt vmcnt(16)
	ds_bpermute_b32 v10, v89, v7
	ds_bpermute_b32 v94, v89, v6 offset:8
	ds_bpermute_b32 v96, v89, v6 offset:12
	;; [unrolled: 1-line block ×13, first 2 shown]
	s_waitcnt vmcnt(14) lgkmcnt(14)
	v_sub_f32_e32 v4, v4, v92
	s_waitcnt vmcnt(13)
	v_sub_f32_e32 v2, v2, v90
	v_mul_f32_e32 v2, v5, v2
	s_waitcnt vmcnt(10) lgkmcnt(12)
	v_sub_f32_e32 v8, v8, v94
	v_mul_f32_e32 v90, v13, v8
	s_waitcnt vmcnt(8) lgkmcnt(11)
	;; [unrolled: 3-line block ×3, first 2 shown]
	v_sub_f32_e32 v14, v14, v98
	s_waitcnt lgkmcnt(5)
	v_mul_f32_e32 v12, v90, v93
	s_waitcnt vmcnt(6)
	v_sub_f32_e32 v16, v16, v100
	s_waitcnt vmcnt(5)
	v_sub_f32_e32 v18, v18, v102
	;; [unrolled: 2-line block ×3, first 2 shown]
	v_mul_f32_e32 v86, v9, v4
	v_mul_f32_e32 v4, v2, v10
	;; [unrolled: 1-line block ×3, first 2 shown]
	v_pk_add_f32 v[4:5], v[26:27], v[4:5]
	s_waitcnt vmcnt(3)
	v_mul_f32_e32 v94, v17, v14
	v_pk_add_f32 v[4:5], v[4:5], v[8:9]
	s_waitcnt lgkmcnt(4)
	v_mul_f32_e32 v14, v92, v95
	v_pk_add_f32 v[4:5], v[4:5], v[12:13]
	s_waitcnt vmcnt(2)
	v_mul_f32_e32 v96, v19, v16
	s_waitcnt lgkmcnt(3)
	v_mul_f32_e32 v16, v94, v97
	v_pk_add_f32 v[4:5], v[4:5], v[14:15]
	s_waitcnt vmcnt(1)
	v_mul_f32_e32 v98, v87, v18
	;; [unrolled: 5-line block ×3, first 2 shown]
	s_waitcnt lgkmcnt(1)
	v_mul_f32_e32 v86, v98, v101
	v_pk_add_f32 v[4:5], v[4:5], v[18:19]
	s_waitcnt lgkmcnt(0)
	v_mul_f32_e32 v10, v6, v7
	v_pk_add_f32 v[4:5], v[4:5], v[86:87]
.LBB63_54:                              ;   in Loop: Header=BB63_55 Depth=1
	s_add_u32 s16, s16, s6
	v_pk_add_f32 v[26:27], v[4:5], v[10:11]
	s_addc_u32 s17, s17, 0
	v_mov_b64_e32 v[4:5], s[12:13]
	s_add_u32 s36, s36, s6
	v_cmp_ge_i64_e32 vcc, s[16:17], v[4:5]
	v_lshl_add_u64 v[20:21], v[20:21], 0, s[6:7]
	v_lshl_add_u64 v[24:25], v[24:25], 0, s[34:35]
	;; [unrolled: 1-line block ×31, first 2 shown]
	s_addc_u32 s37, s37, 0
	s_cbranch_vccnz .LBB63_81
.LBB63_55:                              ; =>This Inner Loop Header: Depth=1
	s_add_u32 s18, s10, s36
	s_addc_u32 s19, 0, s37
	v_mov_b64_e32 v[4:5], s[12:13]
	v_cmp_ge_i64_e32 vcc, s[18:19], v[4:5]
	v_lshl_add_u64 v[86:87], s[10:11], 0, v[20:21]
	s_cbranch_vccz .LBB63_77
; %bb.56:                               ;   in Loop: Header=BB63_55 Depth=1
	s_load_dword s3, s[4:5], 0xc
	v_mov_b32_e32 v90, 0
	v_mov_b32_e32 v91, 0
	s_waitcnt lgkmcnt(0)
	s_and_b32 s3, s3, 0xffff
	v_mad_u32_u24 v2, v88, s3, v1
	v_and_b32_e32 v2, 63, v2
	v_cmp_gt_u32_e32 vcc, 8, v2
	s_and_saveexec_b64 s[18:19], vcc
	s_cbranch_execz .LBB63_60
; %bb.57:                               ;   in Loop: Header=BB63_55 Depth=1
	v_lshl_add_u64 v[4:5], v[86:87], 0, v[2:3]
	v_cmp_gt_i64_e32 vcc, s[12:13], v[4:5]
	v_mov_b32_e32 v91, 0
	v_mov_b32_e32 v90, 0
	s_and_saveexec_b64 s[22:23], vcc
	s_cbranch_execz .LBB63_59
; %bb.58:                               ;   in Loop: Header=BB63_55 Depth=1
	v_lshlrev_b64 v[4:5], 2, v[4:5]
	v_lshl_add_u64 v[6:7], s[30:31], 0, v[4:5]
	v_lshl_add_u64 v[4:5], s[28:29], 0, v[4:5]
	global_load_dword v91, v[4:5], off
	global_load_dword v90, v[6:7], off
.LBB63_59:                              ;   in Loop: Header=BB63_55 Depth=1
	s_or_b64 exec, exec, s[22:23]
.LBB63_60:                              ;   in Loop: Header=BB63_55 Depth=1
	s_or_b64 exec, exec, s[18:19]
	s_mov_b32 s21, s20
	s_mov_b32 s22, s20
	;; [unrolled: 1-line block ×7, first 2 shown]
	v_mov_b64_e32 v[12:13], s[20:21]
	v_mov_b64_e32 v[14:15], s[22:23]
	;; [unrolled: 1-line block ×5, first 2 shown]
	v_cmp_gt_i64_e32 vcc, s[12:13], v[86:87]
	v_mov_b64_e32 v[6:7], v[14:15]
	v_mov_b64_e32 v[8:9], v[16:17]
	;; [unrolled: 1-line block ×3, first 2 shown]
	s_and_saveexec_b64 s[18:19], vcc
	s_cbranch_execz .LBB63_62
; %bb.61:                               ;   in Loop: Header=BB63_55 Depth=1
	v_lshl_add_u64 v[4:5], v[54:55], 0, v[22:23]
	global_load_dword v2, v[4:5], off
	v_lshl_add_u64 v[4:5], v[56:57], 0, v[22:23]
	global_load_dword v12, v[4:5], off
	v_mov_b32_e32 v4, v3
	v_mov_b32_e32 v5, v3
	;; [unrolled: 1-line block ×6, first 2 shown]
	s_waitcnt vmcnt(1)
	v_mov_b64_e32 v[10:11], v[8:9]
	v_mov_b32_e32 v13, v3
	v_mov_b32_e32 v14, v3
	;; [unrolled: 1-line block ×7, first 2 shown]
	v_mov_b64_e32 v[8:9], v[6:7]
	v_mov_b64_e32 v[6:7], v[4:5]
	;; [unrolled: 1-line block ×3, first 2 shown]
.LBB63_62:                              ;   in Loop: Header=BB63_55 Depth=1
	s_or_b64 exec, exec, s[18:19]
	v_lshl_add_u64 v[92:93], v[86:87], 0, 1
	v_cmp_gt_i64_e32 vcc, s[12:13], v[92:93]
	s_and_saveexec_b64 s[18:19], vcc
	s_cbranch_execz .LBB63_64
; %bb.63:                               ;   in Loop: Header=BB63_55 Depth=1
	v_lshl_add_u64 v[92:93], v[82:83], 0, v[22:23]
	global_load_dword v5, v[92:93], off
	v_lshl_add_u64 v[92:93], v[84:85], 0, v[22:23]
	global_load_dword v13, v[92:93], off
.LBB63_64:                              ;   in Loop: Header=BB63_55 Depth=1
	s_or_b64 exec, exec, s[18:19]
	v_lshl_add_u64 v[92:93], v[86:87], 0, 2
	v_cmp_gt_i64_e32 vcc, s[12:13], v[92:93]
	s_and_saveexec_b64 s[18:19], vcc
	s_cbranch_execz .LBB63_66
; %bb.65:                               ;   in Loop: Header=BB63_55 Depth=1
	v_lshl_add_u64 v[92:93], v[78:79], 0, v[22:23]
	global_load_dword v6, v[92:93], off
	v_lshl_add_u64 v[92:93], v[80:81], 0, v[22:23]
	global_load_dword v14, v[92:93], off
.LBB63_66:                              ;   in Loop: Header=BB63_55 Depth=1
	;; [unrolled: 11-line block ×7, first 2 shown]
	s_or_b64 exec, exec, s[18:19]
	s_waitcnt vmcnt(1)
	ds_bpermute_b32 v2, v89, v91
	ds_bpermute_b32 v92, v89, v91 offset:4
	s_waitcnt vmcnt(0)
	ds_bpermute_b32 v93, v89, v90
	ds_bpermute_b32 v94, v89, v90 offset:4
	v_mov_b32_e32 v95, v7
	s_waitcnt lgkmcnt(3)
	v_sub_f32_e32 v2, v12, v2
	v_mul_f32_e32 v2, v4, v2
	s_waitcnt lgkmcnt(2)
	v_sub_f32_e32 v13, v13, v92
	s_waitcnt lgkmcnt(1)
	v_mul_f32_e32 v12, v2, v93
	ds_bpermute_b32 v2, v89, v91 offset:8
	v_mul_f32_e32 v13, v5, v13
	s_waitcnt lgkmcnt(1)
	v_mul_f32_e32 v92, v13, v94
	ds_bpermute_b32 v13, v89, v90 offset:8
	ds_bpermute_b32 v93, v89, v91 offset:12
	;; [unrolled: 1-line block ×3, first 2 shown]
	s_waitcnt lgkmcnt(3)
	v_sub_f32_e32 v2, v14, v2
	v_mul_f32_e32 v2, v6, v2
	s_waitcnt lgkmcnt(2)
	v_mul_f32_e32 v14, v2, v13
	s_waitcnt lgkmcnt(1)
	v_sub_f32_e32 v2, v15, v93
	ds_bpermute_b32 v13, v89, v91 offset:16
	v_mul_f32_e32 v2, v7, v2
	s_waitcnt lgkmcnt(1)
	v_mul_f32_e32 v94, v2, v94
	ds_bpermute_b32 v2, v89, v90 offset:16
	ds_bpermute_b32 v15, v89, v91 offset:20
	;; [unrolled: 1-line block ×3, first 2 shown]
	s_waitcnt lgkmcnt(3)
	v_sub_f32_e32 v13, v16, v13
	v_mul_f32_e32 v13, v8, v13
	s_waitcnt lgkmcnt(2)
	v_mul_f32_e32 v16, v13, v2
	s_waitcnt lgkmcnt(1)
	v_sub_f32_e32 v2, v17, v15
	v_mul_f32_e32 v2, v9, v2
	s_waitcnt lgkmcnt(0)
	v_mul_f32_e32 v96, v2, v93
	ds_bpermute_b32 v2, v89, v91 offset:24
	v_mov_b32_e32 v15, v6
	ds_bpermute_b32 v6, v89, v90 offset:24
	v_mov_b32_e32 v13, v4
	v_pk_add_f32 v[12:13], v[26:27], v[12:13]
	v_mov_b32_e32 v93, v5
	v_pk_add_f32 v[4:5], v[92:93], v[12:13]
	v_mov_b32_e32 v17, v8
	s_waitcnt lgkmcnt(1)
	v_sub_f32_e32 v2, v18, v2
	ds_bpermute_b32 v8, v89, v91 offset:28
	v_pk_add_f32 v[4:5], v[14:15], v[4:5]
	v_mul_f32_e32 v2, v10, v2
	v_pk_add_f32 v[4:5], v[94:95], v[4:5]
	s_waitcnt lgkmcnt(1)
	v_mul_f32_e32 v6, v2, v6
	ds_bpermute_b32 v2, v89, v90 offset:28
	v_pk_add_f32 v[4:5], v[16:17], v[4:5]
	v_mov_b32_e32 v97, v9
	v_pk_add_f32 v[4:5], v[96:97], v[4:5]
	v_mov_b32_e32 v7, v10
	v_pk_add_f32 v[4:5], v[6:7], v[4:5]
	s_waitcnt lgkmcnt(1)
	v_sub_f32_e32 v6, v19, v8
	v_mul_f32_e32 v6, v11, v6
	s_waitcnt lgkmcnt(0)
	v_mul_f32_e32 v10, v6, v2
	s_branch .LBB63_54
.LBB63_77:                              ;   in Loop: Header=BB63_55 Depth=1
                                        ; implicit-def: $vgpr4_vgpr5
                                        ; implicit-def: $vgpr10_vgpr11
	s_cbranch_execz .LBB63_54
; %bb.78:                               ;   in Loop: Header=BB63_55 Depth=1
	s_load_dword s3, s[4:5], 0x0
	v_mov_b32_e32 v7, 0
	v_mov_b32_e32 v6, 0
	s_waitcnt lgkmcnt(0)
	s_cmp_lt_u32 s2, s3
	s_cselect_b32 s3, 12, 18
	s_add_u32 s18, s4, s3
	s_addc_u32 s19, s5, 0
	global_load_ushort v2, v3, s[18:19]
	s_waitcnt vmcnt(0)
	v_mad_u32_u24 v2, v88, v2, v1
	v_and_b32_e32 v2, 63, v2
	v_cmp_gt_u32_e32 vcc, 8, v2
	s_and_saveexec_b64 s[18:19], vcc
	s_cbranch_execz .LBB63_53
; %bb.79:                               ;   in Loop: Header=BB63_55 Depth=1
	v_lshl_add_u64 v[4:5], v[86:87], 0, v[2:3]
	v_cmp_gt_i64_e32 vcc, s[12:13], v[4:5]
	v_mov_b32_e32 v6, 0
	v_mov_b32_e32 v7, 0
	s_and_saveexec_b64 s[22:23], vcc
	s_cbranch_execz .LBB63_52
; %bb.80:                               ;   in Loop: Header=BB63_55 Depth=1
	v_lshlrev_b64 v[4:5], 2, v[4:5]
	v_lshl_add_u64 v[8:9], s[30:31], 0, v[4:5]
	v_lshl_add_u64 v[4:5], s[28:29], 0, v[4:5]
	global_load_dword v6, v[4:5], off
	global_load_dword v7, v[8:9], off
	s_branch .LBB63_52
.LBB63_81:
	s_mov_b32 s3, 0
	s_lshl_b64 s[2:3], s[2:3], 5
	v_and_b32_e32 v1, 0x3ff, v0
	v_or_b32_e32 v2, s2, v1
	v_mov_b32_e32 v3, s3
	v_cmp_gt_i64_e32 vcc, s[14:15], v[2:3]
	s_and_saveexec_b64 s[2:3], vcc
	s_cbranch_execz .LBB63_86
; %bb.82:
	s_load_dword s2, s[0:1], 0x4c
	s_load_dwordx4 s[4:7], s[0:1], 0x30
	v_bfe_u32 v0, v0, 10, 10
	v_mov_b32_e32 v1, 0
	v_mov_b32_e32 v4, s8
	s_waitcnt lgkmcnt(0)
	s_lshr_b32 s0, s2, 16
	v_mad_u64_u32 v[0:1], s[0:1], s0, v4, v[0:1]
	s_cmp_eq_u64 s[4:5], 0
	v_mul_lo_u32 v1, v1, s14
	v_mul_lo_u32 v4, v0, s15
	s_cbranch_scc1 .LBB63_84
; %bb.83:
	v_mad_u64_u32 v[6:7], s[0:1], v0, s14, 0
	v_add3_u32 v7, v7, v4, v1
	v_lshl_add_u64 v[6:7], v[6:7], 2, s[4:5]
	v_lshl_add_u64 v[6:7], v[2:3], 2, v[6:7]
	global_store_dword v[6:7], v26, off
.LBB63_84:
	s_cmp_eq_u64 s[6:7], 0
	s_cbranch_scc1 .LBB63_86
; %bb.85:
	v_mad_u64_u32 v[6:7], s[0:1], v0, s14, 0
	v_add3_u32 v7, v7, v4, v1
	v_lshl_add_u64 v[0:1], v[6:7], 2, s[6:7]
	v_lshl_add_u64 v[0:1], v[2:3], 2, v[0:1]
	global_store_dword v[0:1], v27, off
.LBB63_86:
	s_endpgm
	.section	.rodata,"a",@progbits
	.p2align	6, 0x0
	.amdhsa_kernel _ZN2at6native12_GLOBAL__N_135GammaBetaBackwardCUDAKernelTemplateIffLj32ELj1ELj8ELb1ELb0ELb0EEEvllPKT_S5_PKT0_S8_PS3_S9_
		.amdhsa_group_segment_fixed_size 0
		.amdhsa_private_segment_fixed_size 0
		.amdhsa_kernarg_size 320
		.amdhsa_user_sgpr_count 2
		.amdhsa_user_sgpr_dispatch_ptr 0
		.amdhsa_user_sgpr_queue_ptr 0
		.amdhsa_user_sgpr_kernarg_segment_ptr 1
		.amdhsa_user_sgpr_dispatch_id 0
		.amdhsa_user_sgpr_kernarg_preload_length 0
		.amdhsa_user_sgpr_kernarg_preload_offset 0
		.amdhsa_user_sgpr_private_segment_size 0
		.amdhsa_uses_dynamic_stack 0
		.amdhsa_enable_private_segment 0
		.amdhsa_system_sgpr_workgroup_id_x 1
		.amdhsa_system_sgpr_workgroup_id_y 1
		.amdhsa_system_sgpr_workgroup_id_z 0
		.amdhsa_system_sgpr_workgroup_info 0
		.amdhsa_system_vgpr_workitem_id 1
		.amdhsa_next_free_vgpr 103
		.amdhsa_next_free_sgpr 46
		.amdhsa_accum_offset 104
		.amdhsa_reserve_vcc 1
		.amdhsa_float_round_mode_32 0
		.amdhsa_float_round_mode_16_64 0
		.amdhsa_float_denorm_mode_32 3
		.amdhsa_float_denorm_mode_16_64 3
		.amdhsa_dx10_clamp 1
		.amdhsa_ieee_mode 1
		.amdhsa_fp16_overflow 0
		.amdhsa_tg_split 0
		.amdhsa_exception_fp_ieee_invalid_op 0
		.amdhsa_exception_fp_denorm_src 0
		.amdhsa_exception_fp_ieee_div_zero 0
		.amdhsa_exception_fp_ieee_overflow 0
		.amdhsa_exception_fp_ieee_underflow 0
		.amdhsa_exception_fp_ieee_inexact 0
		.amdhsa_exception_int_div_zero 0
	.end_amdhsa_kernel
	.section	.text._ZN2at6native12_GLOBAL__N_135GammaBetaBackwardCUDAKernelTemplateIffLj32ELj1ELj8ELb1ELb0ELb0EEEvllPKT_S5_PKT0_S8_PS3_S9_,"axG",@progbits,_ZN2at6native12_GLOBAL__N_135GammaBetaBackwardCUDAKernelTemplateIffLj32ELj1ELj8ELb1ELb0ELb0EEEvllPKT_S5_PKT0_S8_PS3_S9_,comdat
.Lfunc_end63:
	.size	_ZN2at6native12_GLOBAL__N_135GammaBetaBackwardCUDAKernelTemplateIffLj32ELj1ELj8ELb1ELb0ELb0EEEvllPKT_S5_PKT0_S8_PS3_S9_, .Lfunc_end63-_ZN2at6native12_GLOBAL__N_135GammaBetaBackwardCUDAKernelTemplateIffLj32ELj1ELj8ELb1ELb0ELb0EEEvllPKT_S5_PKT0_S8_PS3_S9_
                                        ; -- End function
	.section	.AMDGPU.csdata,"",@progbits
; Kernel info:
; codeLenInByte = 6572
; NumSgprs: 52
; NumVgprs: 103
; NumAgprs: 0
; TotalNumVgprs: 103
; ScratchSize: 0
; MemoryBound: 0
; FloatMode: 240
; IeeeMode: 1
; LDSByteSize: 0 bytes/workgroup (compile time only)
; SGPRBlocks: 6
; VGPRBlocks: 12
; NumSGPRsForWavesPerEU: 52
; NumVGPRsForWavesPerEU: 103
; AccumOffset: 104
; Occupancy: 4
; WaveLimiterHint : 0
; COMPUTE_PGM_RSRC2:SCRATCH_EN: 0
; COMPUTE_PGM_RSRC2:USER_SGPR: 2
; COMPUTE_PGM_RSRC2:TRAP_HANDLER: 0
; COMPUTE_PGM_RSRC2:TGID_X_EN: 1
; COMPUTE_PGM_RSRC2:TGID_Y_EN: 1
; COMPUTE_PGM_RSRC2:TGID_Z_EN: 0
; COMPUTE_PGM_RSRC2:TIDIG_COMP_CNT: 1
; COMPUTE_PGM_RSRC3_GFX90A:ACCUM_OFFSET: 25
; COMPUTE_PGM_RSRC3_GFX90A:TG_SPLIT: 0
	.section	.text._ZN2at6native12_GLOBAL__N_135GammaBetaBackwardCUDAKernelTemplateIffLj32ELj8ELj64ELb0ELb1ELb0EEEvllPKT_S5_PKT0_S8_PS3_S9_,"axG",@progbits,_ZN2at6native12_GLOBAL__N_135GammaBetaBackwardCUDAKernelTemplateIffLj32ELj8ELj64ELb0ELb1ELb0EEEvllPKT_S5_PKT0_S8_PS3_S9_,comdat
	.globl	_ZN2at6native12_GLOBAL__N_135GammaBetaBackwardCUDAKernelTemplateIffLj32ELj8ELj64ELb0ELb1ELb0EEEvllPKT_S5_PKT0_S8_PS3_S9_ ; -- Begin function _ZN2at6native12_GLOBAL__N_135GammaBetaBackwardCUDAKernelTemplateIffLj32ELj8ELj64ELb0ELb1ELb0EEEvllPKT_S5_PKT0_S8_PS3_S9_
	.p2align	8
	.type	_ZN2at6native12_GLOBAL__N_135GammaBetaBackwardCUDAKernelTemplateIffLj32ELj8ELj64ELb0ELb1ELb0EEEvllPKT_S5_PKT0_S8_PS3_S9_,@function
_ZN2at6native12_GLOBAL__N_135GammaBetaBackwardCUDAKernelTemplateIffLj32ELj8ELj64ELb0ELb1ELb0EEEvllPKT_S5_PKT0_S8_PS3_S9_: ; @_ZN2at6native12_GLOBAL__N_135GammaBetaBackwardCUDAKernelTemplateIffLj32ELj8ELj64ELb0ELb1ELb0EEEvllPKT_S5_PKT0_S8_PS3_S9_
; %bb.0:
	s_load_dwordx4 s[16:19], s[0:1], 0x0
	s_lshl_b32 s6, s3, 6
	s_mov_b32 s7, 0
	v_bfe_u32 v12, v0, 10, 10
	s_waitcnt lgkmcnt(0)
	v_mov_b64_e32 v[2:3], s[16:17]
	v_cmp_lt_i64_e32 vcc, s[6:7], v[2:3]
	s_cbranch_vccnz .LBB64_2
; %bb.1:
	s_mov_b64 s[4:5], 0
	v_bfe_u32 v2, v0, 10, 10
	s_branch .LBB64_3
.LBB64_2:
	s_mov_b64 s[4:5], -1
                                        ; implicit-def: $vgpr2
.LBB64_3:
	v_and_b32_e32 v10, 0x3ff, v0
	s_andn2_b64 vcc, exec, s[4:5]
	v_mov_b32_e32 v1, s7
	v_mbcnt_lo_u32_b32 v11, -1, 0
	v_mov_b32_e32 v0, s7
	s_cbranch_vccnz .LBB64_11
; %bb.4:
	s_load_dword s3, s[0:1], 0x4c
	s_load_dword s20, s[0:1], 0x44
	s_load_dwordx8 s[8:15], s[0:1], 0x10
	v_lshlrev_b32_e32 v0, 3, v12
	v_mbcnt_hi_u32_b32 v4, -1, v11
	s_waitcnt lgkmcnt(0)
	s_and_b32 s3, s3, 0xffff
	v_mad_u32_u24 v1, v12, s3, v10
	v_and_b32_e32 v2, 63, v1
	v_mov_b32_e32 v1, 0
	v_mov_b32_e32 v3, v1
	v_lshl_add_u64 v[8:9], v[0:1], 0, s[6:7]
	v_cmp_gt_u32_e64 s[4:5], 8, v2
	s_lshl_b32 s20, s20, 6
	v_lshl_add_u64 v[2:3], v[8:9], 0, v[2:3]
	v_mul_lo_u32 v0, s19, v8
	v_mul_lo_u32 v21, s18, v9
	v_mad_u64_u32 v[8:9], s[24:25], s18, v8, 0
	v_lshl_add_u32 v6, s2, 5, v10
	v_mov_b32_e32 v7, v1
	v_lshlrev_b32_e32 v4, 2, v4
	s_mul_i32 s3, s19, s20
	s_mul_hi_u32 s24, s18, s20
	s_mov_b32 s21, 0
	v_and_b32_e32 v13, 0x100, v4
	v_add3_u32 v9, v9, v21, v0
	v_lshlrev_b64 v[6:7], 2, v[6:7]
	s_add_i32 s25, s24, s3
	s_mul_i32 s24, s18, s20
	v_or_b32_e32 v14, 4, v13
	v_or_b32_e32 v15, 8, v13
	;; [unrolled: 1-line block ×7, first 2 shown]
	v_lshlrev_b64 v[4:5], 2, v[2:3]
	s_lshl_b64 s[22:23], s[20:21], 2
	v_lshl_add_u64 v[6:7], v[8:9], 2, v[6:7]
	s_lshl_b64 s[24:25], s[24:25], 2
	s_lshl_b64 s[18:19], s[18:19], 2
	v_mov_b64_e32 v[8:9], s[16:17]
	v_mov_b32_e32 v0, v1
	s_branch .LBB64_7
.LBB64_5:                               ;   in Loop: Header=BB64_7 Depth=1
	s_or_b64 exec, exec, s[28:29]
.LBB64_6:                               ;   in Loop: Header=BB64_7 Depth=1
	s_or_b64 exec, exec, s[26:27]
	v_lshl_add_u64 v[26:27], s[10:11], 0, v[6:7]
	v_lshl_add_u64 v[24:25], s[8:9], 0, v[6:7]
	global_load_dword v28, v[26:27], off
	v_lshl_add_u64 v[26:27], v[26:27], 0, s[18:19]
	global_load_dword v23, v[24:25], off
	;; [unrolled: 2-line block ×5, first 2 shown]
	global_load_dword v31, v[24:25], off
	v_lshl_add_u64 v[26:27], v[26:27], 0, s[18:19]
	global_load_dword v34, v[26:27], off
	v_lshl_add_u64 v[24:25], v[24:25], 0, s[18:19]
	v_lshl_add_u64 v[26:27], v[26:27], 0, s[18:19]
	global_load_dword v33, v[24:25], off
	global_load_dword v36, v[26:27], off
	v_lshl_add_u64 v[24:25], v[24:25], 0, s[18:19]
	v_lshl_add_u64 v[26:27], v[26:27], 0, s[18:19]
	global_load_dword v35, v[24:25], off
	;; [unrolled: 4-line block ×4, first 2 shown]
	v_lshl_add_u64 v[24:25], v[24:25], 0, s[18:19]
	global_load_dword v26, v[26:27], off
	s_waitcnt vmcnt(16)
	ds_bpermute_b32 v27, v13, v21
	global_load_dword v25, v[24:25], off
	ds_bpermute_b32 v42, v14, v21
	s_waitcnt vmcnt(16)
	ds_bpermute_b32 v24, v13, v22
	ds_bpermute_b32 v44, v15, v21
	;; [unrolled: 1-line block ×14, first 2 shown]
	s_add_u32 s6, s6, s20
	s_addc_u32 s7, s7, 0
	v_cmp_lt_i64_e32 vcc, s[6:7], v[8:9]
	v_lshl_add_u64 v[4:5], v[4:5], 0, s[22:23]
	v_lshl_add_u64 v[2:3], v[2:3], 0, s[20:21]
	;; [unrolled: 1-line block ×3, first 2 shown]
	s_and_b64 vcc, exec, vcc
	s_waitcnt vmcnt(15) lgkmcnt(14)
	v_sub_f32_e32 v22, v28, v27
	s_waitcnt vmcnt(14)
	v_mul_f32_e32 v22, v23, v22
	s_waitcnt lgkmcnt(13)
	v_mul_f32_e32 v22, v22, v24
	s_waitcnt vmcnt(13)
	v_sub_f32_e32 v27, v30, v42
	v_pk_add_f32 v[0:1], v[0:1], v[22:23]
	s_waitcnt vmcnt(12)
	v_mul_f32_e32 v24, v29, v27
	s_waitcnt vmcnt(11) lgkmcnt(12)
	v_sub_f32_e32 v27, v32, v44
	s_waitcnt lgkmcnt(11)
	v_mul_f32_e32 v28, v24, v41
	s_waitcnt vmcnt(10)
	v_mul_f32_e32 v24, v31, v27
	s_waitcnt vmcnt(9) lgkmcnt(10)
	v_sub_f32_e32 v27, v34, v46
	s_waitcnt lgkmcnt(9)
	v_mul_f32_e32 v30, v24, v43
	v_pk_add_f32 v[0:1], v[0:1], v[28:29]
	s_waitcnt vmcnt(8)
	v_mul_f32_e32 v22, v33, v27
	s_waitcnt vmcnt(7) lgkmcnt(8)
	v_sub_f32_e32 v23, v36, v48
	s_waitcnt lgkmcnt(7)
	v_mul_f32_e32 v32, v22, v45
	v_pk_add_f32 v[0:1], v[0:1], v[30:31]
	s_waitcnt vmcnt(6)
	v_mul_f32_e32 v22, v35, v23
	s_waitcnt vmcnt(5) lgkmcnt(4)
	v_sub_f32_e32 v23, v38, v50
	v_mul_f32_e32 v34, v22, v47
	v_pk_add_f32 v[0:1], v[0:1], v[32:33]
	s_waitcnt vmcnt(4)
	v_mul_f32_e32 v22, v37, v23
	s_waitcnt vmcnt(3) lgkmcnt(1)
	v_sub_f32_e32 v23, v40, v52
	v_mul_f32_e32 v36, v22, v49
	v_pk_add_f32 v[0:1], v[0:1], v[34:35]
	s_waitcnt vmcnt(2)
	v_mul_f32_e32 v22, v39, v23
	v_mul_f32_e32 v38, v22, v51
	s_waitcnt vmcnt(1) lgkmcnt(0)
	v_sub_f32_e32 v21, v26, v21
	v_pk_add_f32 v[0:1], v[0:1], v[36:37]
	s_waitcnt vmcnt(0)
	v_mul_f32_e32 v21, v25, v21
	v_pk_add_f32 v[0:1], v[0:1], v[38:39]
	v_mul_f32_e32 v24, v21, v53
	v_pk_add_f32 v[0:1], v[0:1], v[24:25]
	s_cbranch_vccz .LBB64_10
.LBB64_7:                               ; =>This Inner Loop Header: Depth=1
	v_mov_b32_e32 v22, 0
	v_mov_b32_e32 v21, 0
	s_and_saveexec_b64 s[26:27], s[4:5]
	s_cbranch_execz .LBB64_6
; %bb.8:                                ;   in Loop: Header=BB64_7 Depth=1
	v_cmp_gt_i64_e32 vcc, s[16:17], v[2:3]
	v_mov_b32_e32 v21, 0
	v_mov_b32_e32 v22, 0
	s_and_saveexec_b64 s[28:29], vcc
	s_cbranch_execz .LBB64_5
; %bb.9:                                ;   in Loop: Header=BB64_7 Depth=1
	v_lshl_add_u64 v[26:27], s[12:13], 0, v[4:5]
	v_lshl_add_u64 v[24:25], s[14:15], 0, v[4:5]
	global_load_dword v21, v[26:27], off
	global_load_dword v22, v[24:25], off
	s_branch .LBB64_5
.LBB64_10:
	v_mov_b32_e32 v2, v12
.LBB64_11:
	s_load_dwordx4 s[8:11], s[0:1], 0x30
	v_mad_u32_u24 v3, v2, 33, v10
	v_lshl_add_u32 v4, v3, 2, 0
	ds_write_b32 v4, v0
	ds_write_b32 v4, v1 offset:1056
	v_sub_u32_e32 v0, v3, v2
	s_movk_i32 s0, 0x800
	s_mov_b32 s3, 0
	v_cmp_gt_u32_e32 vcc, s0, v0
	s_waitcnt lgkmcnt(0)
	s_barrier
	s_and_saveexec_b64 s[0:1], vcc
	s_cbranch_execz .LBB64_21
; %bb.12:
	v_lshrrev_b32_e32 v4, 6, v0
	v_and_b32_e32 v5, 63, v0
	v_mbcnt_hi_u32_b32 v0, -1, v11
	v_and_b32_e32 v2, 64, v0
	v_add_u32_e32 v2, 64, v2
	v_xor_b32_e32 v3, 4, v0
	v_cmp_lt_i32_e32 vcc, v3, v2
	s_cmp_lg_u64 s[8:9], 0
	s_cselect_b64 s[6:7], -1, 0
	v_cndmask_b32_e32 v3, v0, v3, vcc
	v_lshlrev_b32_e32 v6, 2, v3
	v_xor_b32_e32 v3, 2, v0
	v_cmp_lt_i32_e32 vcc, v3, v2
	s_cmp_lg_u64 s[10:11], 0
	v_add_u32_e32 v9, -4, v4
	v_cndmask_b32_e32 v3, v0, v3, vcc
	v_lshlrev_b32_e32 v7, 2, v3
	v_xor_b32_e32 v3, 1, v0
	v_cmp_lt_i32_e32 vcc, v3, v2
	v_mov_b32_e32 v1, 0
	v_cmp_eq_u32_e64 s[4:5], 0, v10
	v_cndmask_b32_e32 v0, v0, v3, vcc
	v_lshlrev_b32_e32 v8, 2, v0
	v_lshlrev_b32_e32 v0, 2, v4
	v_mad_u32_u24 v4, v5, 33, v4
	s_cselect_b64 s[14:15], -1, 0
	s_lshl_b64 s[2:3], s[2:3], 7
	v_lshl_add_u32 v10, v4, 2, 0
	v_cndmask_b32_e64 v4, 0, 1, s[6:7]
	v_lshl_add_u64 v[2:3], s[2:3], 0, v[0:1]
	v_cmp_ne_u32_e64 s[2:3], 1, v4
	v_cndmask_b32_e64 v4, 0, 1, s[14:15]
	v_cmp_gt_u32_e64 s[0:1], 8, v5
	s_mov_b64 s[12:13], 0
	v_lshl_add_u64 v[0:1], s[10:11], 0, v[2:3]
	v_lshl_add_u64 v[2:3], s[8:9], 0, v[2:3]
	v_cmp_ne_u32_e64 s[6:7], 1, v4
                                        ; implicit-def: $vgpr4
	s_branch .LBB64_14
.LBB64_13:                              ;   in Loop: Header=BB64_14 Depth=1
	s_or_b64 exec, exec, s[8:9]
	v_add_u32_e32 v9, 4, v9
	v_cmp_lt_u32_e32 vcc, 27, v9
	v_lshl_add_u64 v[0:1], v[0:1], 0, 16
	v_lshl_add_u64 v[2:3], v[2:3], 0, 16
	s_or_b64 s[12:13], vcc, s[12:13]
	v_add_u32_e32 v10, 16, v10
	s_andn2_b64 exec, exec, s[12:13]
	s_cbranch_execz .LBB64_21
.LBB64_14:                              ; =>This Inner Loop Header: Depth=1
	s_and_saveexec_b64 s[8:9], s[0:1]
	s_cbranch_execz .LBB64_16
; %bb.15:                               ;   in Loop: Header=BB64_14 Depth=1
	ds_read_b32 v5, v10
	ds_read_b32 v4, v10 offset:1056
.LBB64_16:                              ;   in Loop: Header=BB64_14 Depth=1
	s_or_b64 exec, exec, s[8:9]
	s_waitcnt lgkmcnt(1)
	ds_bpermute_b32 v13, v6, v5
	s_waitcnt lgkmcnt(1)
	ds_bpermute_b32 v12, v6, v4
	s_waitcnt lgkmcnt(0)
	v_pk_add_f32 v[4:5], v[4:5], v[12:13]
	ds_bpermute_b32 v13, v7, v5
	ds_bpermute_b32 v12, v7, v4
	s_waitcnt lgkmcnt(0)
	v_pk_add_f32 v[4:5], v[4:5], v[12:13]
	ds_bpermute_b32 v13, v8, v5
	ds_bpermute_b32 v12, v8, v4
	s_waitcnt lgkmcnt(0)
	v_pk_add_f32 v[4:5], v[4:5], v[12:13]
	s_and_saveexec_b64 s[8:9], s[4:5]
	s_cbranch_execz .LBB64_13
; %bb.17:                               ;   in Loop: Header=BB64_14 Depth=1
	s_and_b64 vcc, exec, s[2:3]
	s_cbranch_vccnz .LBB64_19
; %bb.18:                               ;   in Loop: Header=BB64_14 Depth=1
	global_store_dword v[2:3], v5, off
.LBB64_19:                              ;   in Loop: Header=BB64_14 Depth=1
	s_and_b64 vcc, exec, s[6:7]
	s_cbranch_vccnz .LBB64_13
; %bb.20:                               ;   in Loop: Header=BB64_14 Depth=1
	global_store_dword v[0:1], v4, off
	s_branch .LBB64_13
.LBB64_21:
	s_endpgm
	.section	.rodata,"a",@progbits
	.p2align	6, 0x0
	.amdhsa_kernel _ZN2at6native12_GLOBAL__N_135GammaBetaBackwardCUDAKernelTemplateIffLj32ELj8ELj64ELb0ELb1ELb0EEEvllPKT_S5_PKT0_S8_PS3_S9_
		.amdhsa_group_segment_fixed_size 0
		.amdhsa_private_segment_fixed_size 0
		.amdhsa_kernarg_size 320
		.amdhsa_user_sgpr_count 2
		.amdhsa_user_sgpr_dispatch_ptr 0
		.amdhsa_user_sgpr_queue_ptr 0
		.amdhsa_user_sgpr_kernarg_segment_ptr 1
		.amdhsa_user_sgpr_dispatch_id 0
		.amdhsa_user_sgpr_kernarg_preload_length 0
		.amdhsa_user_sgpr_kernarg_preload_offset 0
		.amdhsa_user_sgpr_private_segment_size 0
		.amdhsa_uses_dynamic_stack 0
		.amdhsa_enable_private_segment 0
		.amdhsa_system_sgpr_workgroup_id_x 1
		.amdhsa_system_sgpr_workgroup_id_y 1
		.amdhsa_system_sgpr_workgroup_id_z 0
		.amdhsa_system_sgpr_workgroup_info 0
		.amdhsa_system_vgpr_workitem_id 1
		.amdhsa_next_free_vgpr 54
		.amdhsa_next_free_sgpr 30
		.amdhsa_accum_offset 56
		.amdhsa_reserve_vcc 1
		.amdhsa_float_round_mode_32 0
		.amdhsa_float_round_mode_16_64 0
		.amdhsa_float_denorm_mode_32 3
		.amdhsa_float_denorm_mode_16_64 3
		.amdhsa_dx10_clamp 1
		.amdhsa_ieee_mode 1
		.amdhsa_fp16_overflow 0
		.amdhsa_tg_split 0
		.amdhsa_exception_fp_ieee_invalid_op 0
		.amdhsa_exception_fp_denorm_src 0
		.amdhsa_exception_fp_ieee_div_zero 0
		.amdhsa_exception_fp_ieee_overflow 0
		.amdhsa_exception_fp_ieee_underflow 0
		.amdhsa_exception_fp_ieee_inexact 0
		.amdhsa_exception_int_div_zero 0
	.end_amdhsa_kernel
	.section	.text._ZN2at6native12_GLOBAL__N_135GammaBetaBackwardCUDAKernelTemplateIffLj32ELj8ELj64ELb0ELb1ELb0EEEvllPKT_S5_PKT0_S8_PS3_S9_,"axG",@progbits,_ZN2at6native12_GLOBAL__N_135GammaBetaBackwardCUDAKernelTemplateIffLj32ELj8ELj64ELb0ELb1ELb0EEEvllPKT_S5_PKT0_S8_PS3_S9_,comdat
.Lfunc_end64:
	.size	_ZN2at6native12_GLOBAL__N_135GammaBetaBackwardCUDAKernelTemplateIffLj32ELj8ELj64ELb0ELb1ELb0EEEvllPKT_S5_PKT0_S8_PS3_S9_, .Lfunc_end64-_ZN2at6native12_GLOBAL__N_135GammaBetaBackwardCUDAKernelTemplateIffLj32ELj8ELj64ELb0ELb1ELb0EEEvllPKT_S5_PKT0_S8_PS3_S9_
                                        ; -- End function
	.section	.AMDGPU.csdata,"",@progbits
; Kernel info:
; codeLenInByte = 1584
; NumSgprs: 36
; NumVgprs: 54
; NumAgprs: 0
; TotalNumVgprs: 54
; ScratchSize: 0
; MemoryBound: 0
; FloatMode: 240
; IeeeMode: 1
; LDSByteSize: 0 bytes/workgroup (compile time only)
; SGPRBlocks: 4
; VGPRBlocks: 6
; NumSGPRsForWavesPerEU: 36
; NumVGPRsForWavesPerEU: 54
; AccumOffset: 56
; Occupancy: 8
; WaveLimiterHint : 0
; COMPUTE_PGM_RSRC2:SCRATCH_EN: 0
; COMPUTE_PGM_RSRC2:USER_SGPR: 2
; COMPUTE_PGM_RSRC2:TRAP_HANDLER: 0
; COMPUTE_PGM_RSRC2:TGID_X_EN: 1
; COMPUTE_PGM_RSRC2:TGID_Y_EN: 1
; COMPUTE_PGM_RSRC2:TGID_Z_EN: 0
; COMPUTE_PGM_RSRC2:TIDIG_COMP_CNT: 1
; COMPUTE_PGM_RSRC3_GFX90A:ACCUM_OFFSET: 13
; COMPUTE_PGM_RSRC3_GFX90A:TG_SPLIT: 0
	.section	.text._ZN2at6native12_GLOBAL__N_135GammaBetaBackwardCUDAKernelTemplateIffLj32ELj8ELj64ELb0ELb0ELb0EEEvllPKT_S5_PKT0_S8_PS3_S9_,"axG",@progbits,_ZN2at6native12_GLOBAL__N_135GammaBetaBackwardCUDAKernelTemplateIffLj32ELj8ELj64ELb0ELb0ELb0EEEvllPKT_S5_PKT0_S8_PS3_S9_,comdat
	.globl	_ZN2at6native12_GLOBAL__N_135GammaBetaBackwardCUDAKernelTemplateIffLj32ELj8ELj64ELb0ELb0ELb0EEEvllPKT_S5_PKT0_S8_PS3_S9_ ; -- Begin function _ZN2at6native12_GLOBAL__N_135GammaBetaBackwardCUDAKernelTemplateIffLj32ELj8ELj64ELb0ELb0ELb0EEEvllPKT_S5_PKT0_S8_PS3_S9_
	.p2align	8
	.type	_ZN2at6native12_GLOBAL__N_135GammaBetaBackwardCUDAKernelTemplateIffLj32ELj8ELj64ELb0ELb0ELb0EEEvllPKT_S5_PKT0_S8_PS3_S9_,@function
_ZN2at6native12_GLOBAL__N_135GammaBetaBackwardCUDAKernelTemplateIffLj32ELj8ELj64ELb0ELb0ELb0EEEvllPKT_S5_PKT0_S8_PS3_S9_: ; @_ZN2at6native12_GLOBAL__N_135GammaBetaBackwardCUDAKernelTemplateIffLj32ELj8ELj64ELb0ELb0ELb0EEEvllPKT_S5_PKT0_S8_PS3_S9_
; %bb.0:
	s_load_dwordx8 s[8:15], s[0:1], 0x0
	s_load_dwordx4 s[24:27], s[0:1], 0x20
	s_lshl_b32 s33, s2, 5
	s_mov_b32 s16, 0
	s_or_b32 s4, s33, 31
	s_mov_b32 s5, s16
	s_waitcnt lgkmcnt(0)
	v_mov_b64_e32 v[2:3], s[10:11]
	v_cmp_ge_i64_e32 vcc, s[4:5], v[2:3]
	s_lshl_b32 s28, s3, 6
	s_mov_b32 s29, s16
	v_mov_b64_e32 v[2:3], s[8:9]
	v_cmp_lt_i64_e64 s[4:5], s[28:29], v[2:3]
	s_nop 1
	v_cndmask_b32_e64 v1, 0, 1, s[4:5]
	v_cmp_ne_u32_e64 s[4:5], 1, v1
	s_cbranch_vccz .LBB65_48
; %bb.1:
	v_mov_b32_e32 v27, 0
	s_and_b64 vcc, exec, s[4:5]
	v_mov_b32_e32 v26, v27
	s_cbranch_vccnz .LBB65_49
; %bb.2:
	v_mov_b32_e32 v3, 0
	v_bfe_u32 v66, v0, 10, 10
	s_load_dword s3, s[0:1], 0x44
	v_lshlrev_b32_e32 v28, 3, v66
	v_mov_b32_e32 v29, v3
	v_and_b32_e32 v1, 0x3ff, v0
	v_lshl_add_u64 v[4:5], v[28:29], 0, s[28:29]
	v_add_u32_e32 v2, s33, v1
	v_lshl_add_u64 v[6:7], v[4:5], 0, 7
	s_add_u32 s30, s0, 64
	v_cmp_gt_i64_e64 s[6:7], s[10:11], v[2:3]
	v_lshlrev_b64 v[30:31], 2, v[2:3]
	v_mul_lo_u32 v2, s11, v6
	v_mul_lo_u32 v8, s10, v7
	v_mad_u64_u32 v[6:7], s[18:19], s10, v6, 0
	s_addc_u32 s31, s1, 0
	s_waitcnt lgkmcnt(0)
	s_lshl_b32 s3, s3, 6
	v_add3_u32 v7, v7, v8, v2
	v_lshlrev_b64 v[6:7], 2, v[6:7]
	s_mul_i32 s17, s11, s3
	s_mul_hi_u32 s18, s10, s3
	v_lshl_add_u64 v[32:33], s[12:13], 0, v[6:7]
	s_add_i32 s19, s18, s17
	s_mul_i32 s18, s10, s3
	v_lshl_add_u64 v[34:35], s[14:15], 0, v[6:7]
	v_lshl_add_u64 v[6:7], v[4:5], 0, 6
	s_lshl_b64 s[34:35], s[18:19], 2
	v_mul_lo_u32 v2, s11, v6
	v_mul_lo_u32 v8, s10, v7
	v_mad_u64_u32 v[6:7], s[18:19], s10, v6, 0
	v_add3_u32 v7, v7, v8, v2
	v_lshlrev_b64 v[6:7], 2, v[6:7]
	v_lshl_add_u64 v[36:37], s[12:13], 0, v[6:7]
	v_lshl_add_u64 v[38:39], s[14:15], 0, v[6:7]
	v_lshl_add_u64 v[6:7], v[4:5], 0, 5
	v_mul_lo_u32 v2, s11, v6
	v_mul_lo_u32 v8, s10, v7
	v_mad_u64_u32 v[6:7], s[18:19], s10, v6, 0
	v_add3_u32 v7, v7, v8, v2
	v_lshlrev_b64 v[6:7], 2, v[6:7]
	v_lshl_add_u64 v[40:41], s[12:13], 0, v[6:7]
	v_lshl_add_u64 v[42:43], s[14:15], 0, v[6:7]
	v_lshl_add_u64 v[6:7], v[4:5], 0, 4
	;; [unrolled: 8-line block ×4, first 2 shown]
	v_mul_lo_u32 v2, s11, v6
	v_mul_lo_u32 v8, s10, v7
	v_mad_u64_u32 v[6:7], s[18:19], s10, v6, 0
	v_add3_u32 v7, v7, v8, v2
	v_lshlrev_b64 v[6:7], 2, v[6:7]
	v_lshl_add_u64 v[52:53], s[12:13], 0, v[6:7]
	v_lshl_add_u64 v[54:55], s[14:15], 0, v[6:7]
	v_mov_b64_e32 v[6:7], s[10:11]
	v_mad_u64_u32 v[6:7], s[18:19], s10, v4, v[6:7]
	v_mul_lo_u32 v2, s10, v5
	v_mul_lo_u32 v8, s11, v4
	v_mad_u64_u32 v[4:5], s[18:19], s10, v4, 0
	v_add3_u32 v7, v8, v7, v2
	v_add3_u32 v5, v5, v2, v8
	v_mbcnt_lo_u32_b32 v2, -1, 0
	v_mbcnt_hi_u32_b32 v2, -1, v2
	v_lshlrev_b64 v[6:7], 2, v[6:7]
	s_add_u32 s36, s28, 63
	v_lshlrev_b64 v[4:5], 2, v[4:5]
	s_movk_i32 s38, 0xffc1
	s_movk_i32 s40, 0xffc2
	;; [unrolled: 1-line block ×8, first 2 shown]
	v_lshlrev_b32_e32 v2, 2, v2
	v_lshl_add_u64 v[56:57], s[12:13], 0, v[6:7]
	v_lshl_add_u64 v[58:59], s[14:15], 0, v[6:7]
	s_addc_u32 s37, 0, 0
	v_lshl_add_u64 v[60:61], s[12:13], 0, v[4:5]
	v_lshl_add_u64 v[62:63], s[14:15], 0, v[4:5]
	s_mov_b32 s39, -1
	s_mov_b32 s41, -1
	;; [unrolled: 1-line block ×8, first 2 shown]
	v_and_b32_e32 v67, 0x100, v2
	s_mov_b64 s[54:55], s[28:29]
	v_mov_b32_e32 v26, v3
	v_mov_b32_e32 v27, v3
	s_branch .LBB65_5
.LBB65_3:                               ;   in Loop: Header=BB65_5 Depth=1
	s_or_b64 exec, exec, s[18:19]
	s_waitcnt vmcnt(1)
	ds_bpermute_b32 v2, v67, v69
	ds_bpermute_b32 v4, v67, v69 offset:4
	s_waitcnt vmcnt(0)
	ds_bpermute_b32 v5, v67, v68
	ds_bpermute_b32 v6, v67, v68 offset:4
	ds_bpermute_b32 v9, v67, v68 offset:12
	s_waitcnt lgkmcnt(4)
	v_sub_f32_e32 v2, v10, v2
	v_mul_f32_e32 v2, v18, v2
	s_waitcnt lgkmcnt(3)
	v_sub_f32_e32 v7, v11, v4
	s_waitcnt lgkmcnt(2)
	v_mul_f32_e32 v4, v2, v5
	ds_bpermute_b32 v2, v67, v69 offset:8
	v_mul_f32_e32 v5, v19, v7
	s_waitcnt lgkmcnt(2)
	v_mul_f32_e32 v6, v5, v6
	ds_bpermute_b32 v5, v67, v68 offset:8
	ds_bpermute_b32 v7, v67, v69 offset:12
	s_waitcnt lgkmcnt(2)
	v_sub_f32_e32 v2, v12, v2
	v_mul_f32_e32 v2, v20, v2
	v_mov_b32_e32 v11, v21
	s_waitcnt lgkmcnt(1)
	v_mul_f32_e32 v8, v2, v5
	s_waitcnt lgkmcnt(0)
	v_sub_f32_e32 v2, v13, v7
	ds_bpermute_b32 v5, v67, v69 offset:16
	v_mul_f32_e32 v2, v21, v2
	v_mul_f32_e32 v10, v2, v9
	ds_bpermute_b32 v2, v67, v68 offset:16
	ds_bpermute_b32 v7, v67, v69 offset:20
	;; [unrolled: 1-line block ×3, first 2 shown]
	s_waitcnt lgkmcnt(3)
	v_sub_f32_e32 v5, v14, v5
	v_mul_f32_e32 v5, v22, v5
	s_waitcnt lgkmcnt(2)
	v_mul_f32_e32 v12, v5, v2
	s_waitcnt lgkmcnt(1)
	v_sub_f32_e32 v2, v15, v7
	v_mul_f32_e32 v2, v23, v2
	s_waitcnt lgkmcnt(0)
	v_mul_f32_e32 v14, v2, v9
	v_mov_b32_e32 v5, v18
	ds_bpermute_b32 v2, v67, v69 offset:24
	v_pk_add_f32 v[4:5], v[26:27], v[4:5]
	v_mov_b32_e32 v7, v19
	v_pk_add_f32 v[4:5], v[6:7], v[4:5]
	ds_bpermute_b32 v7, v67, v68 offset:24
	v_mov_b32_e32 v9, v20
	v_pk_add_f32 v[4:5], v[8:9], v[4:5]
	v_mov_b32_e32 v13, v22
	v_pk_add_f32 v[4:5], v[10:11], v[4:5]
	s_waitcnt lgkmcnt(1)
	v_sub_f32_e32 v8, v16, v2
	v_pk_add_f32 v[4:5], v[12:13], v[4:5]
	v_mov_b32_e32 v15, v23
	v_mul_f32_e32 v8, v24, v8
	v_pk_add_f32 v[4:5], v[14:15], v[4:5]
	s_waitcnt lgkmcnt(0)
	v_mul_f32_e32 v8, v8, v7
	v_mov_b32_e32 v9, v24
	ds_bpermute_b32 v2, v67, v68 offset:28
	ds_bpermute_b32 v6, v67, v69 offset:28
	v_pk_add_f32 v[4:5], v[8:9], v[4:5]
.LBB65_4:                               ;   in Loop: Header=BB65_5 Depth=1
	s_waitcnt lgkmcnt(0)
	v_sub_f32_e32 v6, v17, v6
	v_mul_f32_e32 v6, v25, v6
	v_mul_f32_e32 v24, v6, v2
	s_add_u32 s54, s54, s3
	v_pk_add_f32 v[26:27], v[4:5], v[24:25]
	s_addc_u32 s55, s55, 0
	v_mov_b64_e32 v[4:5], s[8:9]
	s_add_u32 s36, s36, s3
	v_cmp_lt_i64_e32 vcc, s[54:55], v[4:5]
	v_lshl_add_u64 v[32:33], v[32:33], 0, s[34:35]
	v_lshl_add_u64 v[34:35], v[34:35], 0, s[34:35]
	v_lshl_add_u64 v[36:37], v[36:37], 0, s[34:35]
	v_lshl_add_u64 v[38:39], v[38:39], 0, s[34:35]
	v_lshl_add_u64 v[40:41], v[40:41], 0, s[34:35]
	v_lshl_add_u64 v[42:43], v[42:43], 0, s[34:35]
	v_lshl_add_u64 v[44:45], v[44:45], 0, s[34:35]
	v_lshl_add_u64 v[46:47], v[46:47], 0, s[34:35]
	v_lshl_add_u64 v[48:49], v[48:49], 0, s[34:35]
	v_lshl_add_u64 v[50:51], v[50:51], 0, s[34:35]
	v_lshl_add_u64 v[52:53], v[52:53], 0, s[34:35]
	v_lshl_add_u64 v[54:55], v[54:55], 0, s[34:35]
	v_lshl_add_u64 v[56:57], v[56:57], 0, s[34:35]
	v_lshl_add_u64 v[58:59], v[58:59], 0, s[34:35]
	s_addc_u32 s37, s37, 0
	v_lshl_add_u64 v[60:61], v[60:61], 0, s[34:35]
	v_lshl_add_u64 v[62:63], v[62:63], 0, s[34:35]
	s_cbranch_vccz .LBB65_49
.LBB65_5:                               ; =>This Inner Loop Header: Depth=1
	v_mov_b64_e32 v[4:5], s[8:9]
	v_cmp_ge_i64_e32 vcc, s[36:37], v[4:5]
	v_lshl_add_u64 v[64:65], v[28:29], 0, s[36:37]
	s_cbranch_vccz .LBB65_27
; %bb.6:                                ;   in Loop: Header=BB65_5 Depth=1
	s_load_dword s17, s[30:31], 0xc
	v_mov_b32_e32 v68, 0
	v_mov_b32_e32 v69, 0
	s_waitcnt lgkmcnt(0)
	s_and_b32 s17, s17, 0xffff
	v_mad_u32_u24 v2, v66, s17, v1
	v_and_b32_e32 v2, 63, v2
	v_cmp_gt_u32_e32 vcc, 8, v2
	s_and_saveexec_b64 s[18:19], vcc
	s_cbranch_execz .LBB65_10
; %bb.7:                                ;   in Loop: Header=BB65_5 Depth=1
	v_lshl_add_u64 v[4:5], v[64:65], 0, v[2:3]
	v_lshl_add_u64 v[4:5], v[4:5], 0, s[38:39]
	v_cmp_gt_i64_e32 vcc, s[8:9], v[4:5]
	v_mov_b32_e32 v69, 0
	v_mov_b32_e32 v68, 0
	s_and_saveexec_b64 s[20:21], vcc
	s_cbranch_execz .LBB65_9
; %bb.8:                                ;   in Loop: Header=BB65_5 Depth=1
	v_lshlrev_b64 v[4:5], 2, v[4:5]
	v_lshl_add_u64 v[6:7], s[26:27], 0, v[4:5]
	v_lshl_add_u64 v[4:5], s[24:25], 0, v[4:5]
	global_load_dword v69, v[4:5], off
	global_load_dword v68, v[6:7], off
.LBB65_9:                               ;   in Loop: Header=BB65_5 Depth=1
	s_or_b64 exec, exec, s[20:21]
.LBB65_10:                              ;   in Loop: Header=BB65_5 Depth=1
	s_or_b64 exec, exec, s[18:19]
	s_mov_b32 s17, s16
	s_mov_b32 s18, s16
	;; [unrolled: 1-line block ×7, first 2 shown]
	v_mov_b64_e32 v[10:11], s[16:17]
	v_lshl_add_u64 v[4:5], v[64:65], 0, s[38:39]
	v_mov_b64_e32 v[16:17], s[22:23]
	v_cmp_gt_i64_e32 vcc, s[8:9], v[4:5]
	v_mov_b64_e32 v[12:13], s[18:19]
	v_mov_b64_e32 v[14:15], s[20:21]
	;; [unrolled: 1-line block ×3, first 2 shown]
	s_and_b64 s[56:57], s[6:7], vcc
	v_mov_b64_e32 v[22:23], v[14:15]
	v_mov_b64_e32 v[20:21], v[12:13]
	;; [unrolled: 1-line block ×3, first 2 shown]
	s_and_saveexec_b64 s[18:19], s[56:57]
	s_cbranch_execz .LBB65_12
; %bb.11:                               ;   in Loop: Header=BB65_5 Depth=1
	v_lshl_add_u64 v[4:5], v[60:61], 0, v[30:31]
	global_load_dword v2, v[4:5], off
	v_lshl_add_u64 v[4:5], v[62:63], 0, v[30:31]
	global_load_dword v10, v[4:5], off
	v_mov_b32_e32 v8, v3
	v_mov_b32_e32 v9, v3
	;; [unrolled: 1-line block ×6, first 2 shown]
	s_waitcnt vmcnt(1)
	v_mov_b64_e32 v[24:25], v[8:9]
	v_mov_b32_e32 v11, v3
	v_mov_b32_e32 v12, v3
	;; [unrolled: 1-line block ×7, first 2 shown]
	v_mov_b64_e32 v[22:23], v[6:7]
	v_mov_b64_e32 v[20:21], v[4:5]
	;; [unrolled: 1-line block ×3, first 2 shown]
.LBB65_12:                              ;   in Loop: Header=BB65_5 Depth=1
	s_or_b64 exec, exec, s[18:19]
	v_lshl_add_u64 v[4:5], v[64:65], 0, s[40:41]
	v_cmp_gt_i64_e32 vcc, s[8:9], v[4:5]
	s_and_b64 s[20:21], s[6:7], vcc
	s_and_saveexec_b64 s[18:19], s[20:21]
	s_cbranch_execz .LBB65_14
; %bb.13:                               ;   in Loop: Header=BB65_5 Depth=1
	v_lshl_add_u64 v[4:5], v[56:57], 0, v[30:31]
	global_load_dword v19, v[4:5], off
	v_lshl_add_u64 v[4:5], v[58:59], 0, v[30:31]
	global_load_dword v11, v[4:5], off
.LBB65_14:                              ;   in Loop: Header=BB65_5 Depth=1
	s_or_b64 exec, exec, s[18:19]
	v_lshl_add_u64 v[4:5], v[64:65], 0, s[42:43]
	v_cmp_gt_i64_e32 vcc, s[8:9], v[4:5]
	s_and_b64 s[20:21], s[6:7], vcc
	s_and_saveexec_b64 s[18:19], s[20:21]
	s_cbranch_execz .LBB65_16
; %bb.15:                               ;   in Loop: Header=BB65_5 Depth=1
	v_lshl_add_u64 v[4:5], v[52:53], 0, v[30:31]
	global_load_dword v20, v[4:5], off
	v_lshl_add_u64 v[4:5], v[54:55], 0, v[30:31]
	global_load_dword v12, v[4:5], off
.LBB65_16:                              ;   in Loop: Header=BB65_5 Depth=1
	;; [unrolled: 12-line block ×7, first 2 shown]
	s_or_b64 exec, exec, s[18:19]
	s_waitcnt vmcnt(1)
	ds_bpermute_b32 v2, v67, v69
	ds_bpermute_b32 v4, v67, v69 offset:4
	s_waitcnt vmcnt(0)
	ds_bpermute_b32 v5, v67, v68
	ds_bpermute_b32 v6, v67, v68 offset:4
	ds_bpermute_b32 v9, v67, v68 offset:12
	s_waitcnt lgkmcnt(4)
	v_sub_f32_e32 v2, v10, v2
	v_mul_f32_e32 v2, v18, v2
	s_waitcnt lgkmcnt(3)
	v_sub_f32_e32 v7, v11, v4
	s_waitcnt lgkmcnt(2)
	v_mul_f32_e32 v4, v2, v5
	ds_bpermute_b32 v2, v67, v69 offset:8
	v_mul_f32_e32 v5, v19, v7
	s_waitcnt lgkmcnt(2)
	v_mul_f32_e32 v6, v5, v6
	ds_bpermute_b32 v5, v67, v68 offset:8
	ds_bpermute_b32 v7, v67, v69 offset:12
	s_waitcnt lgkmcnt(2)
	v_sub_f32_e32 v2, v12, v2
	v_mul_f32_e32 v2, v20, v2
	v_mov_b32_e32 v11, v21
	s_waitcnt lgkmcnt(1)
	v_mul_f32_e32 v8, v2, v5
	s_waitcnt lgkmcnt(0)
	v_sub_f32_e32 v2, v13, v7
	ds_bpermute_b32 v5, v67, v69 offset:16
	v_mul_f32_e32 v2, v21, v2
	v_mul_f32_e32 v10, v2, v9
	ds_bpermute_b32 v2, v67, v68 offset:16
	ds_bpermute_b32 v7, v67, v69 offset:20
	;; [unrolled: 1-line block ×3, first 2 shown]
	s_waitcnt lgkmcnt(3)
	v_sub_f32_e32 v5, v14, v5
	v_mul_f32_e32 v5, v22, v5
	s_waitcnt lgkmcnt(2)
	v_mul_f32_e32 v12, v5, v2
	s_waitcnt lgkmcnt(1)
	v_sub_f32_e32 v2, v15, v7
	v_mul_f32_e32 v2, v23, v2
	s_waitcnt lgkmcnt(0)
	v_mul_f32_e32 v14, v2, v9
	ds_bpermute_b32 v2, v67, v69 offset:24
	v_mov_b32_e32 v5, v18
	v_pk_add_f32 v[4:5], v[26:27], v[4:5]
	v_mov_b32_e32 v7, v19
	v_pk_add_f32 v[4:5], v[6:7], v[4:5]
	ds_bpermute_b32 v7, v67, v68 offset:24
	v_mov_b32_e32 v9, v20
	s_waitcnt lgkmcnt(1)
	v_sub_f32_e32 v2, v16, v2
	v_pk_add_f32 v[4:5], v[8:9], v[4:5]
	v_mul_f32_e32 v8, v24, v2
	ds_bpermute_b32 v2, v67, v68 offset:28
	ds_bpermute_b32 v6, v67, v69 offset:28
	v_pk_add_f32 v[4:5], v[10:11], v[4:5]
	v_mov_b32_e32 v13, v22
	v_pk_add_f32 v[4:5], v[12:13], v[4:5]
	v_mov_b32_e32 v15, v23
	v_pk_add_f32 v[4:5], v[14:15], v[4:5]
	s_waitcnt lgkmcnt(2)
	v_mul_f32_e32 v8, v8, v7
	v_mov_b32_e32 v9, v24
	v_pk_add_f32 v[4:5], v[8:9], v[4:5]
	s_branch .LBB65_4
.LBB65_27:                              ;   in Loop: Header=BB65_5 Depth=1
                                        ; implicit-def: $vgpr4_vgpr5
                                        ; implicit-def: $vgpr2
                                        ; implicit-def: $vgpr10_vgpr11_vgpr12_vgpr13_vgpr14_vgpr15_vgpr16_vgpr17
                                        ; implicit-def: $vgpr18_vgpr19_vgpr20_vgpr21_vgpr22_vgpr23_vgpr24_vgpr25
                                        ; implicit-def: $vgpr6
	s_cbranch_execz .LBB65_4
; %bb.28:                               ;   in Loop: Header=BB65_5 Depth=1
	s_load_dword s17, s[30:31], 0x0
	v_mov_b32_e32 v68, 0
	v_mov_b32_e32 v69, 0
	s_waitcnt lgkmcnt(0)
	s_cmp_lt_u32 s2, s17
	s_cselect_b32 s17, 12, 18
	s_add_u32 s18, s30, s17
	s_addc_u32 s19, s31, 0
	global_load_ushort v2, v3, s[18:19]
	s_waitcnt vmcnt(0)
	v_mad_u32_u24 v2, v66, v2, v1
	v_and_b32_e32 v2, 63, v2
	v_cmp_gt_u32_e32 vcc, 8, v2
	s_and_saveexec_b64 s[18:19], vcc
	s_cbranch_execz .LBB65_32
; %bb.29:                               ;   in Loop: Header=BB65_5 Depth=1
	v_lshl_add_u64 v[4:5], v[64:65], 0, v[2:3]
	v_lshl_add_u64 v[4:5], v[4:5], 0, s[38:39]
	v_cmp_gt_i64_e32 vcc, s[8:9], v[4:5]
	v_mov_b32_e32 v69, 0
	v_mov_b32_e32 v68, 0
	s_and_saveexec_b64 s[20:21], vcc
	s_cbranch_execz .LBB65_31
; %bb.30:                               ;   in Loop: Header=BB65_5 Depth=1
	v_lshlrev_b64 v[4:5], 2, v[4:5]
	v_lshl_add_u64 v[6:7], s[26:27], 0, v[4:5]
	v_lshl_add_u64 v[4:5], s[24:25], 0, v[4:5]
	global_load_dword v69, v[4:5], off
	global_load_dword v68, v[6:7], off
.LBB65_31:                              ;   in Loop: Header=BB65_5 Depth=1
	s_or_b64 exec, exec, s[20:21]
.LBB65_32:                              ;   in Loop: Header=BB65_5 Depth=1
	s_or_b64 exec, exec, s[18:19]
	s_mov_b32 s17, s16
	s_mov_b32 s18, s16
	;; [unrolled: 1-line block ×7, first 2 shown]
	v_mov_b64_e32 v[10:11], s[16:17]
	v_mov_b64_e32 v[16:17], s[22:23]
	;; [unrolled: 1-line block ×8, first 2 shown]
	s_and_saveexec_b64 s[18:19], s[6:7]
	s_cbranch_execnz .LBB65_40
; %bb.33:                               ;   in Loop: Header=BB65_5 Depth=1
	s_or_b64 exec, exec, s[18:19]
	s_and_saveexec_b64 s[18:19], s[6:7]
	s_cbranch_execnz .LBB65_41
.LBB65_34:                              ;   in Loop: Header=BB65_5 Depth=1
	s_or_b64 exec, exec, s[18:19]
	s_and_saveexec_b64 s[18:19], s[6:7]
	s_cbranch_execnz .LBB65_42
.LBB65_35:                              ;   in Loop: Header=BB65_5 Depth=1
	s_or_b64 exec, exec, s[18:19]
	s_and_saveexec_b64 s[18:19], s[6:7]
	s_cbranch_execnz .LBB65_43
.LBB65_36:                              ;   in Loop: Header=BB65_5 Depth=1
	s_or_b64 exec, exec, s[18:19]
	s_and_saveexec_b64 s[18:19], s[6:7]
	s_cbranch_execnz .LBB65_44
.LBB65_37:                              ;   in Loop: Header=BB65_5 Depth=1
	s_or_b64 exec, exec, s[18:19]
	s_and_saveexec_b64 s[18:19], s[6:7]
	s_cbranch_execnz .LBB65_45
.LBB65_38:                              ;   in Loop: Header=BB65_5 Depth=1
	s_or_b64 exec, exec, s[18:19]
	s_and_saveexec_b64 s[18:19], s[6:7]
	s_cbranch_execnz .LBB65_46
.LBB65_39:                              ;   in Loop: Header=BB65_5 Depth=1
	s_or_b64 exec, exec, s[18:19]
	s_and_saveexec_b64 s[18:19], s[6:7]
	s_cbranch_execz .LBB65_3
	s_branch .LBB65_47
.LBB65_40:                              ;   in Loop: Header=BB65_5 Depth=1
	v_lshl_add_u64 v[4:5], v[60:61], 0, v[30:31]
	global_load_dword v2, v[4:5], off
	v_lshl_add_u64 v[4:5], v[62:63], 0, v[30:31]
	global_load_dword v10, v[4:5], off
	v_mov_b32_e32 v8, v3
	v_mov_b32_e32 v9, v3
	;; [unrolled: 1-line block ×6, first 2 shown]
	s_waitcnt vmcnt(1)
	v_mov_b64_e32 v[24:25], v[8:9]
	v_mov_b32_e32 v11, v3
	v_mov_b32_e32 v12, v3
	;; [unrolled: 1-line block ×7, first 2 shown]
	v_mov_b64_e32 v[22:23], v[6:7]
	v_mov_b64_e32 v[20:21], v[4:5]
	;; [unrolled: 1-line block ×3, first 2 shown]
	s_or_b64 exec, exec, s[18:19]
	s_and_saveexec_b64 s[18:19], s[6:7]
	s_cbranch_execz .LBB65_34
.LBB65_41:                              ;   in Loop: Header=BB65_5 Depth=1
	v_lshl_add_u64 v[4:5], v[56:57], 0, v[30:31]
	global_load_dword v19, v[4:5], off
	v_lshl_add_u64 v[4:5], v[58:59], 0, v[30:31]
	global_load_dword v11, v[4:5], off
	s_or_b64 exec, exec, s[18:19]
	s_and_saveexec_b64 s[18:19], s[6:7]
	s_cbranch_execz .LBB65_35
.LBB65_42:                              ;   in Loop: Header=BB65_5 Depth=1
	v_lshl_add_u64 v[4:5], v[52:53], 0, v[30:31]
	global_load_dword v20, v[4:5], off
	v_lshl_add_u64 v[4:5], v[54:55], 0, v[30:31]
	global_load_dword v12, v[4:5], off
	s_or_b64 exec, exec, s[18:19]
	s_and_saveexec_b64 s[18:19], s[6:7]
	s_cbranch_execz .LBB65_36
.LBB65_43:                              ;   in Loop: Header=BB65_5 Depth=1
	v_lshl_add_u64 v[4:5], v[48:49], 0, v[30:31]
	global_load_dword v21, v[4:5], off
	v_lshl_add_u64 v[4:5], v[50:51], 0, v[30:31]
	global_load_dword v13, v[4:5], off
	s_or_b64 exec, exec, s[18:19]
	s_and_saveexec_b64 s[18:19], s[6:7]
	s_cbranch_execz .LBB65_37
.LBB65_44:                              ;   in Loop: Header=BB65_5 Depth=1
	v_lshl_add_u64 v[4:5], v[44:45], 0, v[30:31]
	global_load_dword v22, v[4:5], off
	v_lshl_add_u64 v[4:5], v[46:47], 0, v[30:31]
	global_load_dword v14, v[4:5], off
	s_or_b64 exec, exec, s[18:19]
	s_and_saveexec_b64 s[18:19], s[6:7]
	s_cbranch_execz .LBB65_38
.LBB65_45:                              ;   in Loop: Header=BB65_5 Depth=1
	v_lshl_add_u64 v[4:5], v[40:41], 0, v[30:31]
	global_load_dword v23, v[4:5], off
	v_lshl_add_u64 v[4:5], v[42:43], 0, v[30:31]
	global_load_dword v15, v[4:5], off
	s_or_b64 exec, exec, s[18:19]
	s_and_saveexec_b64 s[18:19], s[6:7]
	s_cbranch_execz .LBB65_39
.LBB65_46:                              ;   in Loop: Header=BB65_5 Depth=1
	v_lshl_add_u64 v[4:5], v[36:37], 0, v[30:31]
	global_load_dword v24, v[4:5], off
	v_lshl_add_u64 v[4:5], v[38:39], 0, v[30:31]
	global_load_dword v16, v[4:5], off
	s_or_b64 exec, exec, s[18:19]
	s_and_saveexec_b64 s[18:19], s[6:7]
	s_cbranch_execz .LBB65_3
.LBB65_47:                              ;   in Loop: Header=BB65_5 Depth=1
	v_lshl_add_u64 v[4:5], v[32:33], 0, v[30:31]
	global_load_dword v25, v[4:5], off
	v_lshl_add_u64 v[4:5], v[34:35], 0, v[30:31]
	global_load_dword v17, v[4:5], off
	s_branch .LBB65_3
.LBB65_48:
                                        ; implicit-def: $vgpr27
	s_branch .LBB65_50
.LBB65_49:
	s_cbranch_execnz .LBB65_81
.LBB65_50:
	v_mov_b32_e32 v27, 0
	s_mov_b32 s16, 0
	s_and_b64 vcc, exec, s[4:5]
	v_mov_b32_e32 v26, v27
	s_cbranch_vccnz .LBB65_81
; %bb.51:
	v_and_b32_e32 v1, 0x3ff, v0
	v_add_u32_e32 v2, s33, v1
	v_mov_b32_e32 v3, 0
	v_bfe_u32 v88, v0, 10, 10
	v_lshlrev_b64 v[22:23], 2, v[2:3]
	v_lshlrev_b32_e32 v2, 5, v88
	v_lshl_add_u64 v[4:5], s[28:29], 2, v[2:3]
	v_lshl_add_u64 v[6:7], v[4:5], 0, 4
	v_mov_b64_e32 v[8:9], s[12:13]
	v_lshl_add_u64 v[10:11], v[4:5], 0, 8
	v_lshl_add_u64 v[12:13], v[4:5], 0, 12
	;; [unrolled: 1-line block ×6, first 2 shown]
	v_mad_u64_u32 v[24:25], s[4:5], s10, v6, v[8:9]
	v_mad_u64_u32 v[28:29], s[4:5], s10, v10, v[8:9]
	;; [unrolled: 1-line block ×7, first 2 shown]
	v_mov_b64_e32 v[8:9], s[14:15]
	v_mul_lo_u32 v15, s10, v15
	v_mul_lo_u32 v48, s11, v14
	v_mad_u64_u32 v[46:47], s[4:5], s10, v14, v[8:9]
	v_add3_u32 v33, v48, v33, v15
	v_mul_lo_u32 v17, s10, v17
	v_mul_lo_u32 v50, s11, v16
	v_add3_u32 v47, v48, v47, v15
	v_mad_u64_u32 v[48:49], s[4:5], s10, v16, v[8:9]
	v_lshlrev_b32_e32 v20, 3, v88
	v_mov_b32_e32 v21, v3
	v_mul_lo_u32 v2, s10, v7
	v_mul_lo_u32 v7, s11, v6
	v_add3_u32 v35, v50, v35, v17
	v_mul_lo_u32 v19, s10, v19
	v_mul_lo_u32 v52, s11, v18
	v_mad_u64_u32 v[40:41], s[4:5], s10, v6, v[8:9]
	v_add3_u32 v49, v50, v49, v17
	v_mad_u64_u32 v[50:51], s[4:5], s10, v18, v[8:9]
	v_add3_u32 v25, v7, v25, v2
	v_add3_u32 v37, v52, v37, v19
	v_mul_lo_u32 v5, s10, v5
	v_mul_lo_u32 v54, s11, v4
	v_add3_u32 v41, v7, v41, v2
	v_lshl_add_u64 v[6:7], v[20:21], 0, s[28:29]
	v_add3_u32 v51, v52, v51, v19
	v_mad_u64_u32 v[52:53], s[4:5], s10, v4, v[8:9]
	v_add3_u32 v39, v54, v39, v5
	v_add3_u32 v53, v54, v53, v5
	v_lshl_add_u64 v[4:5], v[6:7], 0, 7
	v_mad_u64_u32 v[42:43], s[4:5], s10, v10, v[8:9]
	v_mad_u64_u32 v[44:45], s[4:5], s10, v12, v[8:9]
	v_mul_lo_u32 v8, s11, v4
	v_mul_lo_u32 v9, s10, v5
	v_mad_u64_u32 v[4:5], s[4:5], s10, v4, 0
	v_mul_lo_u32 v11, s10, v11
	v_mul_lo_u32 v26, s11, v10
	v_add3_u32 v5, v5, v9, v8
	v_lshl_add_u64 v[8:9], v[6:7], 0, 6
	v_add3_u32 v29, v26, v29, v11
	v_add3_u32 v43, v26, v43, v11
	v_mul_lo_u32 v10, s11, v8
	v_mul_lo_u32 v11, s10, v9
	v_mad_u64_u32 v[8:9], s[4:5], s10, v8, 0
	v_mul_lo_u32 v13, s10, v13
	v_mul_lo_u32 v27, s11, v12
	v_add3_u32 v9, v9, v11, v10
	v_lshl_add_u64 v[10:11], v[6:7], 0, 5
	v_add3_u32 v31, v27, v31, v13
	v_add3_u32 v45, v27, v45, v13
	v_mul_lo_u32 v12, s11, v10
	v_mul_lo_u32 v13, s10, v11
	v_mad_u64_u32 v[10:11], s[4:5], s10, v10, 0
	v_add3_u32 v11, v11, v13, v12
	v_lshl_add_u64 v[12:13], v[6:7], 0, 4
	v_mul_lo_u32 v14, s11, v12
	v_mul_lo_u32 v15, s10, v13
	v_mad_u64_u32 v[12:13], s[4:5], s10, v12, 0
	v_add3_u32 v13, v13, v15, v14
	v_lshl_add_u64 v[14:15], v[6:7], 0, 3
	;; [unrolled: 5-line block ×3, first 2 shown]
	s_load_dword s3, s[0:1], 0x44
	v_lshlrev_b64 v[4:5], 2, v[4:5]
	v_mul_lo_u32 v18, s11, v16
	v_mul_lo_u32 v19, s10, v17
	v_mad_u64_u32 v[16:17], s[4:5], s10, v16, 0
	v_lshl_add_u64 v[58:59], s[12:13], 0, v[4:5]
	v_lshl_add_u64 v[60:61], s[14:15], 0, v[4:5]
	v_lshlrev_b64 v[4:5], 2, v[8:9]
	v_add3_u32 v17, v17, v19, v18
	v_mov_b64_e32 v[18:19], s[10:11]
	v_lshl_add_u64 v[62:63], s[12:13], 0, v[4:5]
	v_lshl_add_u64 v[64:65], s[14:15], 0, v[4:5]
	v_lshlrev_b64 v[4:5], 2, v[10:11]
	v_mul_lo_u32 v2, s11, v6
	v_mad_u64_u32 v[18:19], s[4:5], s10, v6, v[18:19]
	v_mul_lo_u32 v26, s10, v7
	v_mad_u64_u32 v[6:7], s[4:5], s10, v6, 0
	v_lshl_add_u64 v[66:67], s[12:13], 0, v[4:5]
	v_lshl_add_u64 v[68:69], s[14:15], 0, v[4:5]
	v_lshlrev_b64 v[4:5], 2, v[12:13]
	s_add_u32 s4, s0, 64
	v_lshl_add_u64 v[70:71], s[12:13], 0, v[4:5]
	v_lshl_add_u64 v[72:73], s[14:15], 0, v[4:5]
	v_lshlrev_b64 v[4:5], 2, v[14:15]
	v_add3_u32 v7, v7, v26, v2
	v_add3_u32 v19, v2, v19, v26
	s_addc_u32 s5, s1, 0
	s_waitcnt lgkmcnt(0)
	s_lshl_b32 s3, s3, 6
	v_lshl_add_u64 v[74:75], s[12:13], 0, v[4:5]
	v_lshl_add_u64 v[76:77], s[14:15], 0, v[4:5]
	v_lshlrev_b64 v[4:5], 2, v[16:17]
	v_mbcnt_lo_u32_b32 v2, -1, 0
	s_add_u32 s6, s28, 63
	s_mul_i32 s17, s11, s3
	s_mul_hi_u32 s18, s10, s3
	v_lshlrev_b64 v[6:7], 2, v[6:7]
	v_lshl_add_u64 v[78:79], s[12:13], 0, v[4:5]
	v_lshl_add_u64 v[80:81], s[14:15], 0, v[4:5]
	v_lshlrev_b64 v[4:5], 2, v[18:19]
	v_mbcnt_hi_u32_b32 v2, -1, v2
	s_addc_u32 s7, 0, 0
	s_add_i32 s19, s18, s17
	s_mul_i32 s18, s10, s3
	v_lshl_add_u64 v[54:55], s[12:13], 0, v[6:7]
	v_lshl_add_u64 v[56:57], s[14:15], 0, v[6:7]
	;; [unrolled: 1-line block ×4, first 2 shown]
	s_movk_i32 s12, 0xffc1
	s_movk_i32 s14, 0xffc2
	s_movk_i32 s34, 0xffc3
	s_movk_i32 s36, 0xffc4
	s_movk_i32 s38, 0xffc5
	s_movk_i32 s40, 0xffc6
	s_movk_i32 s42, 0xffc7
	s_movk_i32 s44, 0xffc8
	v_lshlrev_b32_e32 v2, 2, v2
	s_lshl_b64 s[30:31], s[18:19], 2
	s_mov_b32 s13, -1
	s_mov_b32 s15, -1
	;; [unrolled: 1-line block ×8, first 2 shown]
	v_and_b32_e32 v89, 0x100, v2
	v_mov_b32_e32 v26, v3
	v_mov_b32_e32 v27, v3
	s_branch .LBB65_55
.LBB65_52:                              ;   in Loop: Header=BB65_55 Depth=1
	s_or_b64 exec, exec, s[20:21]
.LBB65_53:                              ;   in Loop: Header=BB65_55 Depth=1
	s_or_b64 exec, exec, s[18:19]
	v_lshl_add_u64 v[4:5], v[54:55], 0, v[22:23]
	v_lshl_add_u64 v[10:11], v[40:41], 0, v[22:23]
	global_load_dword v5, v[4:5], off
	v_lshl_add_u64 v[8:9], v[56:57], 0, v[22:23]
	global_load_dword v4, v[10:11], off
	;; [unrolled: 2-line block ×5, first 2 shown]
	s_waitcnt vmcnt(6)
	ds_bpermute_b32 v90, v89, v6
	global_load_dword v8, v[10:11], off
	v_lshl_add_u64 v[10:11], v[30:31], 0, v[22:23]
	global_load_dword v15, v[10:11], off
	v_lshl_add_u64 v[10:11], v[44:45], 0, v[22:23]
	;; [unrolled: 2-line block ×10, first 2 shown]
	global_load_dword v11, v[10:11], off
	ds_bpermute_b32 v92, v89, v6 offset:4
	s_waitcnt vmcnt(16)
	ds_bpermute_b32 v10, v89, v7
	ds_bpermute_b32 v94, v89, v6 offset:8
	ds_bpermute_b32 v96, v89, v6 offset:12
	;; [unrolled: 1-line block ×13, first 2 shown]
	s_waitcnt vmcnt(14) lgkmcnt(14)
	v_sub_f32_e32 v4, v4, v92
	s_waitcnt vmcnt(13)
	v_sub_f32_e32 v2, v2, v90
	v_mul_f32_e32 v2, v5, v2
	s_waitcnt vmcnt(10) lgkmcnt(12)
	v_sub_f32_e32 v8, v8, v94
	v_mul_f32_e32 v90, v13, v8
	s_waitcnt vmcnt(8) lgkmcnt(11)
	;; [unrolled: 3-line block ×3, first 2 shown]
	v_sub_f32_e32 v14, v14, v98
	s_waitcnt lgkmcnt(5)
	v_mul_f32_e32 v12, v90, v93
	s_waitcnt vmcnt(6)
	v_sub_f32_e32 v16, v16, v100
	s_waitcnt vmcnt(5)
	v_sub_f32_e32 v18, v18, v102
	;; [unrolled: 2-line block ×3, first 2 shown]
	v_mul_f32_e32 v86, v9, v4
	v_mul_f32_e32 v4, v2, v10
	;; [unrolled: 1-line block ×3, first 2 shown]
	v_pk_add_f32 v[4:5], v[26:27], v[4:5]
	s_waitcnt vmcnt(3)
	v_mul_f32_e32 v94, v17, v14
	v_pk_add_f32 v[4:5], v[4:5], v[8:9]
	s_waitcnt lgkmcnt(4)
	v_mul_f32_e32 v14, v92, v95
	v_pk_add_f32 v[4:5], v[4:5], v[12:13]
	s_waitcnt vmcnt(2)
	v_mul_f32_e32 v96, v19, v16
	s_waitcnt lgkmcnt(3)
	v_mul_f32_e32 v16, v94, v97
	v_pk_add_f32 v[4:5], v[4:5], v[14:15]
	s_waitcnt vmcnt(1)
	v_mul_f32_e32 v98, v87, v18
	s_waitcnt lgkmcnt(2)
	v_mul_f32_e32 v18, v96, v99
	v_pk_add_f32 v[4:5], v[4:5], v[16:17]
	s_waitcnt vmcnt(0)
	v_mul_f32_e32 v6, v11, v6
	s_waitcnt lgkmcnt(1)
	v_mul_f32_e32 v86, v98, v101
	v_pk_add_f32 v[4:5], v[4:5], v[18:19]
	s_waitcnt lgkmcnt(0)
	v_mul_f32_e32 v10, v6, v7
	v_pk_add_f32 v[4:5], v[4:5], v[86:87]
.LBB65_54:                              ;   in Loop: Header=BB65_55 Depth=1
	s_add_u32 s28, s28, s3
	v_pk_add_f32 v[26:27], v[4:5], v[10:11]
	s_addc_u32 s29, s29, 0
	v_mov_b64_e32 v[4:5], s[8:9]
	s_add_u32 s6, s6, s3
	v_cmp_ge_i64_e32 vcc, s[28:29], v[4:5]
	s_addc_u32 s7, s7, 0
	v_lshl_add_u64 v[24:25], v[24:25], 0, s[30:31]
	v_lshl_add_u64 v[28:29], v[28:29], 0, s[30:31]
	;; [unrolled: 1-line block ×30, first 2 shown]
	s_cbranch_vccnz .LBB65_81
.LBB65_55:                              ; =>This Inner Loop Header: Depth=1
	v_mov_b64_e32 v[4:5], s[8:9]
	v_cmp_ge_i64_e32 vcc, s[6:7], v[4:5]
	v_lshl_add_u64 v[86:87], v[20:21], 0, s[6:7]
	s_cbranch_vccz .LBB65_77
; %bb.56:                               ;   in Loop: Header=BB65_55 Depth=1
	s_load_dword s17, s[4:5], 0xc
	v_mov_b32_e32 v90, 0
	v_mov_b32_e32 v91, 0
	s_waitcnt lgkmcnt(0)
	s_and_b32 s17, s17, 0xffff
	v_mad_u32_u24 v2, v88, s17, v1
	v_and_b32_e32 v2, 63, v2
	v_cmp_gt_u32_e32 vcc, 8, v2
	s_and_saveexec_b64 s[18:19], vcc
	s_cbranch_execz .LBB65_60
; %bb.57:                               ;   in Loop: Header=BB65_55 Depth=1
	v_lshl_add_u64 v[4:5], v[86:87], 0, v[2:3]
	v_lshl_add_u64 v[4:5], v[4:5], 0, s[12:13]
	v_cmp_gt_i64_e32 vcc, s[8:9], v[4:5]
	v_mov_b32_e32 v91, 0
	v_mov_b32_e32 v90, 0
	s_and_saveexec_b64 s[20:21], vcc
	s_cbranch_execz .LBB65_59
; %bb.58:                               ;   in Loop: Header=BB65_55 Depth=1
	v_lshlrev_b64 v[4:5], 2, v[4:5]
	v_lshl_add_u64 v[6:7], s[26:27], 0, v[4:5]
	v_lshl_add_u64 v[4:5], s[24:25], 0, v[4:5]
	global_load_dword v91, v[4:5], off
	global_load_dword v90, v[6:7], off
.LBB65_59:                              ;   in Loop: Header=BB65_55 Depth=1
	s_or_b64 exec, exec, s[20:21]
.LBB65_60:                              ;   in Loop: Header=BB65_55 Depth=1
	s_or_b64 exec, exec, s[18:19]
	s_mov_b32 s17, s16
	v_lshl_add_u64 v[4:5], v[86:87], 0, s[12:13]
	s_mov_b32 s18, s16
	s_mov_b32 s19, s16
	;; [unrolled: 1-line block ×6, first 2 shown]
	v_mov_b64_e32 v[12:13], s[16:17]
	v_cmp_gt_i64_e32 vcc, s[8:9], v[4:5]
	v_mov_b64_e32 v[14:15], s[18:19]
	v_mov_b64_e32 v[16:17], s[20:21]
	;; [unrolled: 1-line block ×7, first 2 shown]
	s_and_saveexec_b64 s[18:19], vcc
	s_cbranch_execz .LBB65_62
; %bb.61:                               ;   in Loop: Header=BB65_55 Depth=1
	v_lshl_add_u64 v[4:5], v[54:55], 0, v[22:23]
	global_load_dword v2, v[4:5], off
	v_lshl_add_u64 v[4:5], v[56:57], 0, v[22:23]
	global_load_dword v12, v[4:5], off
	v_mov_b32_e32 v4, v3
	v_mov_b32_e32 v5, v3
	;; [unrolled: 1-line block ×6, first 2 shown]
	s_waitcnt vmcnt(1)
	v_mov_b64_e32 v[10:11], v[8:9]
	v_mov_b32_e32 v13, v3
	v_mov_b32_e32 v14, v3
	;; [unrolled: 1-line block ×7, first 2 shown]
	v_mov_b64_e32 v[8:9], v[6:7]
	v_mov_b64_e32 v[6:7], v[4:5]
	;; [unrolled: 1-line block ×3, first 2 shown]
.LBB65_62:                              ;   in Loop: Header=BB65_55 Depth=1
	s_or_b64 exec, exec, s[18:19]
	v_lshl_add_u64 v[92:93], v[86:87], 0, s[14:15]
	v_cmp_gt_i64_e32 vcc, s[8:9], v[92:93]
	s_and_saveexec_b64 s[18:19], vcc
	s_cbranch_execz .LBB65_64
; %bb.63:                               ;   in Loop: Header=BB65_55 Depth=1
	v_lshl_add_u64 v[92:93], v[82:83], 0, v[22:23]
	global_load_dword v5, v[92:93], off
	v_lshl_add_u64 v[92:93], v[84:85], 0, v[22:23]
	global_load_dword v13, v[92:93], off
.LBB65_64:                              ;   in Loop: Header=BB65_55 Depth=1
	s_or_b64 exec, exec, s[18:19]
	v_lshl_add_u64 v[92:93], v[86:87], 0, s[34:35]
	v_cmp_gt_i64_e32 vcc, s[8:9], v[92:93]
	s_and_saveexec_b64 s[18:19], vcc
	s_cbranch_execz .LBB65_66
; %bb.65:                               ;   in Loop: Header=BB65_55 Depth=1
	v_lshl_add_u64 v[92:93], v[78:79], 0, v[22:23]
	global_load_dword v6, v[92:93], off
	v_lshl_add_u64 v[92:93], v[80:81], 0, v[22:23]
	global_load_dword v14, v[92:93], off
.LBB65_66:                              ;   in Loop: Header=BB65_55 Depth=1
	;; [unrolled: 11-line block ×7, first 2 shown]
	s_or_b64 exec, exec, s[18:19]
	s_waitcnt vmcnt(1)
	ds_bpermute_b32 v2, v89, v91
	ds_bpermute_b32 v92, v89, v91 offset:4
	s_waitcnt vmcnt(0)
	ds_bpermute_b32 v93, v89, v90
	ds_bpermute_b32 v94, v89, v90 offset:4
	v_mov_b32_e32 v95, v7
	s_waitcnt lgkmcnt(3)
	v_sub_f32_e32 v2, v12, v2
	v_mul_f32_e32 v2, v4, v2
	s_waitcnt lgkmcnt(2)
	v_sub_f32_e32 v13, v13, v92
	s_waitcnt lgkmcnt(1)
	v_mul_f32_e32 v12, v2, v93
	ds_bpermute_b32 v2, v89, v91 offset:8
	v_mul_f32_e32 v13, v5, v13
	s_waitcnt lgkmcnt(1)
	v_mul_f32_e32 v92, v13, v94
	ds_bpermute_b32 v13, v89, v90 offset:8
	ds_bpermute_b32 v93, v89, v91 offset:12
	;; [unrolled: 1-line block ×3, first 2 shown]
	s_waitcnt lgkmcnt(3)
	v_sub_f32_e32 v2, v14, v2
	v_mul_f32_e32 v2, v6, v2
	s_waitcnt lgkmcnt(2)
	v_mul_f32_e32 v14, v2, v13
	s_waitcnt lgkmcnt(1)
	v_sub_f32_e32 v2, v15, v93
	ds_bpermute_b32 v13, v89, v91 offset:16
	v_mul_f32_e32 v2, v7, v2
	s_waitcnt lgkmcnt(1)
	v_mul_f32_e32 v94, v2, v94
	ds_bpermute_b32 v2, v89, v90 offset:16
	ds_bpermute_b32 v15, v89, v91 offset:20
	;; [unrolled: 1-line block ×3, first 2 shown]
	s_waitcnt lgkmcnt(3)
	v_sub_f32_e32 v13, v16, v13
	v_mul_f32_e32 v13, v8, v13
	s_waitcnt lgkmcnt(2)
	v_mul_f32_e32 v16, v13, v2
	s_waitcnt lgkmcnt(1)
	v_sub_f32_e32 v2, v17, v15
	v_mul_f32_e32 v2, v9, v2
	s_waitcnt lgkmcnt(0)
	v_mul_f32_e32 v96, v2, v93
	ds_bpermute_b32 v2, v89, v91 offset:24
	v_mov_b32_e32 v15, v6
	ds_bpermute_b32 v6, v89, v90 offset:24
	v_mov_b32_e32 v13, v4
	v_pk_add_f32 v[12:13], v[26:27], v[12:13]
	v_mov_b32_e32 v93, v5
	v_pk_add_f32 v[4:5], v[92:93], v[12:13]
	v_mov_b32_e32 v17, v8
	s_waitcnt lgkmcnt(1)
	v_sub_f32_e32 v2, v18, v2
	ds_bpermute_b32 v8, v89, v91 offset:28
	v_pk_add_f32 v[4:5], v[14:15], v[4:5]
	v_mul_f32_e32 v2, v10, v2
	v_pk_add_f32 v[4:5], v[94:95], v[4:5]
	s_waitcnt lgkmcnt(1)
	v_mul_f32_e32 v6, v2, v6
	ds_bpermute_b32 v2, v89, v90 offset:28
	v_pk_add_f32 v[4:5], v[16:17], v[4:5]
	v_mov_b32_e32 v97, v9
	v_pk_add_f32 v[4:5], v[96:97], v[4:5]
	v_mov_b32_e32 v7, v10
	v_pk_add_f32 v[4:5], v[6:7], v[4:5]
	s_waitcnt lgkmcnt(1)
	v_sub_f32_e32 v6, v19, v8
	v_mul_f32_e32 v6, v11, v6
	s_waitcnt lgkmcnt(0)
	v_mul_f32_e32 v10, v6, v2
	s_branch .LBB65_54
.LBB65_77:                              ;   in Loop: Header=BB65_55 Depth=1
                                        ; implicit-def: $vgpr4_vgpr5
                                        ; implicit-def: $vgpr10_vgpr11
	s_cbranch_execz .LBB65_54
; %bb.78:                               ;   in Loop: Header=BB65_55 Depth=1
	s_load_dword s17, s[4:5], 0x0
	v_mov_b32_e32 v7, 0
	v_mov_b32_e32 v6, 0
	s_waitcnt lgkmcnt(0)
	s_cmp_lt_u32 s2, s17
	s_cselect_b32 s17, 12, 18
	s_add_u32 s18, s4, s17
	s_addc_u32 s19, s5, 0
	global_load_ushort v2, v3, s[18:19]
	s_waitcnt vmcnt(0)
	v_mad_u32_u24 v2, v88, v2, v1
	v_and_b32_e32 v2, 63, v2
	v_cmp_gt_u32_e32 vcc, 8, v2
	s_and_saveexec_b64 s[18:19], vcc
	s_cbranch_execz .LBB65_53
; %bb.79:                               ;   in Loop: Header=BB65_55 Depth=1
	v_lshl_add_u64 v[4:5], v[86:87], 0, v[2:3]
	v_lshl_add_u64 v[4:5], v[4:5], 0, s[12:13]
	v_cmp_gt_i64_e32 vcc, s[8:9], v[4:5]
	v_mov_b32_e32 v6, 0
	v_mov_b32_e32 v7, 0
	s_and_saveexec_b64 s[20:21], vcc
	s_cbranch_execz .LBB65_52
; %bb.80:                               ;   in Loop: Header=BB65_55 Depth=1
	v_lshlrev_b64 v[4:5], 2, v[4:5]
	v_lshl_add_u64 v[8:9], s[26:27], 0, v[4:5]
	v_lshl_add_u64 v[4:5], s[24:25], 0, v[4:5]
	global_load_dword v6, v[4:5], off
	global_load_dword v7, v[8:9], off
	s_branch .LBB65_52
.LBB65_81:
	v_and_b32_e32 v2, 0x3ff, v0
	v_bfe_u32 v0, v0, 10, 10
	v_mad_u32_u24 v1, v0, 33, v2
	v_lshl_add_u32 v3, v1, 2, 0
	v_sub_u32_e32 v1, v1, v0
	s_movk_i32 s4, 0x800
	s_mov_b32 s3, 0
	v_cmp_gt_u32_e32 vcc, s4, v1
	ds_write_b32 v3, v26
	ds_write_b32 v3, v27 offset:1056
	s_waitcnt lgkmcnt(0)
	s_barrier
	s_and_saveexec_b64 s[4:5], vcc
	s_cbranch_execz .LBB65_91
; %bb.82:
	v_mbcnt_lo_u32_b32 v3, -1, 0
	v_mbcnt_hi_u32_b32 v3, -1, v3
	v_and_b32_e32 v4, 64, v3
	v_add_u32_e32 v4, 64, v4
	v_cmp_eq_u32_e64 s[4:5], 0, v2
	v_xor_b32_e32 v2, 4, v3
	v_cmp_lt_i32_e32 vcc, v2, v4
	s_load_dwordx4 s[16:19], s[0:1], 0x30
	s_lshl_b64 s[8:9], s[2:3], 5
	v_cndmask_b32_e32 v2, v3, v2, vcc
	v_lshlrev_b32_e32 v8, 2, v2
	v_xor_b32_e32 v2, 2, v3
	v_cmp_lt_i32_e32 vcc, v2, v4
	v_lshrrev_b32_e32 v0, 6, v1
	v_and_b32_e32 v6, 63, v1
	v_cndmask_b32_e32 v2, v3, v2, vcc
	v_lshlrev_b32_e32 v9, 2, v2
	v_xor_b32_e32 v2, 1, v3
	s_waitcnt lgkmcnt(0)
	s_cmp_lg_u64 s[16:17], 0
	v_cmp_lt_i32_e32 vcc, v2, v4
	v_cmp_gt_u32_e64 s[0:1], 8, v6
	v_mov_b32_e32 v1, 0
	s_cselect_b64 s[6:7], -1, 0
	s_cmp_lg_u64 s[18:19], 0
	v_cndmask_b32_e32 v2, v3, v2, vcc
	v_mad_u32_u24 v6, v6, 33, v0
	s_cselect_b64 s[14:15], -1, 0
	v_lshlrev_b32_e32 v10, 2, v2
	s_lshl_b64 s[2:3], s[2:3], 7
	v_lshlrev_b32_e32 v2, 2, v0
	v_mov_b32_e32 v3, v1
	v_lshl_add_u32 v11, v6, 2, 0
	v_cndmask_b32_e64 v6, 0, 1, s[6:7]
	v_lshl_add_u64 v[4:5], s[2:3], 0, v[2:3]
	v_cmp_ne_u32_e64 s[2:3], 1, v6
	v_cndmask_b32_e64 v6, 0, 1, s[14:15]
	s_mov_b64 s[12:13], 0
	v_lshl_add_u64 v[2:3], s[18:19], 0, v[4:5]
	v_lshl_add_u64 v[4:5], s[16:17], 0, v[4:5]
	v_cmp_ne_u32_e64 s[6:7], 1, v6
                                        ; implicit-def: $vgpr6
	s_branch .LBB65_84
.LBB65_83:                              ;   in Loop: Header=BB65_84 Depth=1
	s_or_b64 exec, exec, s[14:15]
	v_lshl_add_u64 v[0:1], v[0:1], 0, 4
	v_add_u32_e32 v12, -4, v0
	v_cmp_lt_u32_e32 vcc, 27, v12
	v_lshl_add_u64 v[2:3], v[2:3], 0, 16
	v_lshl_add_u64 v[4:5], v[4:5], 0, 16
	s_or_b64 s[12:13], vcc, s[12:13]
	v_add_u32_e32 v11, 16, v11
	s_andn2_b64 exec, exec, s[12:13]
	s_cbranch_execz .LBB65_91
.LBB65_84:                              ; =>This Inner Loop Header: Depth=1
	s_and_saveexec_b64 s[14:15], s[0:1]
	s_cbranch_execz .LBB65_86
; %bb.85:                               ;   in Loop: Header=BB65_84 Depth=1
	ds_read_b32 v7, v11
	ds_read_b32 v6, v11 offset:1056
.LBB65_86:                              ;   in Loop: Header=BB65_84 Depth=1
	s_or_b64 exec, exec, s[14:15]
	s_waitcnt lgkmcnt(1)
	ds_bpermute_b32 v13, v8, v7
	s_waitcnt lgkmcnt(1)
	ds_bpermute_b32 v12, v8, v6
	v_lshl_add_u64 v[14:15], s[8:9], 0, v[0:1]
	v_cmp_gt_i64_e32 vcc, s[10:11], v[14:15]
	s_and_b64 s[16:17], s[4:5], vcc
	s_waitcnt lgkmcnt(0)
	v_pk_add_f32 v[6:7], v[6:7], v[12:13]
	ds_bpermute_b32 v13, v9, v7
	ds_bpermute_b32 v12, v9, v6
	s_waitcnt lgkmcnt(0)
	v_pk_add_f32 v[6:7], v[6:7], v[12:13]
	ds_bpermute_b32 v13, v10, v7
	ds_bpermute_b32 v12, v10, v6
	s_waitcnt lgkmcnt(0)
	v_pk_add_f32 v[6:7], v[6:7], v[12:13]
	s_and_saveexec_b64 s[14:15], s[16:17]
	s_cbranch_execz .LBB65_83
; %bb.87:                               ;   in Loop: Header=BB65_84 Depth=1
	s_and_b64 vcc, exec, s[2:3]
	s_cbranch_vccnz .LBB65_89
; %bb.88:                               ;   in Loop: Header=BB65_84 Depth=1
	global_store_dword v[4:5], v7, off
.LBB65_89:                              ;   in Loop: Header=BB65_84 Depth=1
	s_and_b64 vcc, exec, s[6:7]
	s_cbranch_vccnz .LBB65_83
; %bb.90:                               ;   in Loop: Header=BB65_84 Depth=1
	global_store_dword v[2:3], v6, off
	s_branch .LBB65_83
.LBB65_91:
	s_endpgm
	.section	.rodata,"a",@progbits
	.p2align	6, 0x0
	.amdhsa_kernel _ZN2at6native12_GLOBAL__N_135GammaBetaBackwardCUDAKernelTemplateIffLj32ELj8ELj64ELb0ELb0ELb0EEEvllPKT_S5_PKT0_S8_PS3_S9_
		.amdhsa_group_segment_fixed_size 0
		.amdhsa_private_segment_fixed_size 0
		.amdhsa_kernarg_size 320
		.amdhsa_user_sgpr_count 2
		.amdhsa_user_sgpr_dispatch_ptr 0
		.amdhsa_user_sgpr_queue_ptr 0
		.amdhsa_user_sgpr_kernarg_segment_ptr 1
		.amdhsa_user_sgpr_dispatch_id 0
		.amdhsa_user_sgpr_kernarg_preload_length 0
		.amdhsa_user_sgpr_kernarg_preload_offset 0
		.amdhsa_user_sgpr_private_segment_size 0
		.amdhsa_uses_dynamic_stack 0
		.amdhsa_enable_private_segment 0
		.amdhsa_system_sgpr_workgroup_id_x 1
		.amdhsa_system_sgpr_workgroup_id_y 1
		.amdhsa_system_sgpr_workgroup_id_z 0
		.amdhsa_system_sgpr_workgroup_info 0
		.amdhsa_system_vgpr_workitem_id 1
		.amdhsa_next_free_vgpr 103
		.amdhsa_next_free_sgpr 58
		.amdhsa_accum_offset 104
		.amdhsa_reserve_vcc 1
		.amdhsa_float_round_mode_32 0
		.amdhsa_float_round_mode_16_64 0
		.amdhsa_float_denorm_mode_32 3
		.amdhsa_float_denorm_mode_16_64 3
		.amdhsa_dx10_clamp 1
		.amdhsa_ieee_mode 1
		.amdhsa_fp16_overflow 0
		.amdhsa_tg_split 0
		.amdhsa_exception_fp_ieee_invalid_op 0
		.amdhsa_exception_fp_denorm_src 0
		.amdhsa_exception_fp_ieee_div_zero 0
		.amdhsa_exception_fp_ieee_overflow 0
		.amdhsa_exception_fp_ieee_underflow 0
		.amdhsa_exception_fp_ieee_inexact 0
		.amdhsa_exception_int_div_zero 0
	.end_amdhsa_kernel
	.section	.text._ZN2at6native12_GLOBAL__N_135GammaBetaBackwardCUDAKernelTemplateIffLj32ELj8ELj64ELb0ELb0ELb0EEEvllPKT_S5_PKT0_S8_PS3_S9_,"axG",@progbits,_ZN2at6native12_GLOBAL__N_135GammaBetaBackwardCUDAKernelTemplateIffLj32ELj8ELj64ELb0ELb0ELb0EEEvllPKT_S5_PKT0_S8_PS3_S9_,comdat
.Lfunc_end65:
	.size	_ZN2at6native12_GLOBAL__N_135GammaBetaBackwardCUDAKernelTemplateIffLj32ELj8ELj64ELb0ELb0ELb0EEEvllPKT_S5_PKT0_S8_PS3_S9_, .Lfunc_end65-_ZN2at6native12_GLOBAL__N_135GammaBetaBackwardCUDAKernelTemplateIffLj32ELj8ELj64ELb0ELb0ELb0EEEvllPKT_S5_PKT0_S8_PS3_S9_
                                        ; -- End function
	.section	.AMDGPU.csdata,"",@progbits
; Kernel info:
; codeLenInByte = 7048
; NumSgprs: 64
; NumVgprs: 103
; NumAgprs: 0
; TotalNumVgprs: 103
; ScratchSize: 0
; MemoryBound: 0
; FloatMode: 240
; IeeeMode: 1
; LDSByteSize: 0 bytes/workgroup (compile time only)
; SGPRBlocks: 7
; VGPRBlocks: 12
; NumSGPRsForWavesPerEU: 64
; NumVGPRsForWavesPerEU: 103
; AccumOffset: 104
; Occupancy: 4
; WaveLimiterHint : 0
; COMPUTE_PGM_RSRC2:SCRATCH_EN: 0
; COMPUTE_PGM_RSRC2:USER_SGPR: 2
; COMPUTE_PGM_RSRC2:TRAP_HANDLER: 0
; COMPUTE_PGM_RSRC2:TGID_X_EN: 1
; COMPUTE_PGM_RSRC2:TGID_Y_EN: 1
; COMPUTE_PGM_RSRC2:TGID_Z_EN: 0
; COMPUTE_PGM_RSRC2:TIDIG_COMP_CNT: 1
; COMPUTE_PGM_RSRC3_GFX90A:ACCUM_OFFSET: 25
; COMPUTE_PGM_RSRC3_GFX90A:TG_SPLIT: 0
	.section	.text._ZN2at6native12_GLOBAL__N_135GammaBetaBackwardCUDAKernelTemplateIffLj32ELj16ELj128ELb0ELb1ELb0EEEvllPKT_S5_PKT0_S8_PS3_S9_,"axG",@progbits,_ZN2at6native12_GLOBAL__N_135GammaBetaBackwardCUDAKernelTemplateIffLj32ELj16ELj128ELb0ELb1ELb0EEEvllPKT_S5_PKT0_S8_PS3_S9_,comdat
	.globl	_ZN2at6native12_GLOBAL__N_135GammaBetaBackwardCUDAKernelTemplateIffLj32ELj16ELj128ELb0ELb1ELb0EEEvllPKT_S5_PKT0_S8_PS3_S9_ ; -- Begin function _ZN2at6native12_GLOBAL__N_135GammaBetaBackwardCUDAKernelTemplateIffLj32ELj16ELj128ELb0ELb1ELb0EEEvllPKT_S5_PKT0_S8_PS3_S9_
	.p2align	8
	.type	_ZN2at6native12_GLOBAL__N_135GammaBetaBackwardCUDAKernelTemplateIffLj32ELj16ELj128ELb0ELb1ELb0EEEvllPKT_S5_PKT0_S8_PS3_S9_,@function
_ZN2at6native12_GLOBAL__N_135GammaBetaBackwardCUDAKernelTemplateIffLj32ELj16ELj128ELb0ELb1ELb0EEEvllPKT_S5_PKT0_S8_PS3_S9_: ; @_ZN2at6native12_GLOBAL__N_135GammaBetaBackwardCUDAKernelTemplateIffLj32ELj16ELj128ELb0ELb1ELb0EEEvllPKT_S5_PKT0_S8_PS3_S9_
; %bb.0:
	s_load_dwordx4 s[16:19], s[0:1], 0x0
	s_lshl_b32 s6, s3, 7
	s_mov_b32 s7, 0
	v_bfe_u32 v12, v0, 10, 10
	s_waitcnt lgkmcnt(0)
	v_mov_b64_e32 v[2:3], s[16:17]
	v_cmp_lt_i64_e32 vcc, s[6:7], v[2:3]
	s_cbranch_vccnz .LBB66_2
; %bb.1:
	s_mov_b64 s[4:5], 0
	v_bfe_u32 v2, v0, 10, 10
	s_branch .LBB66_3
.LBB66_2:
	s_mov_b64 s[4:5], -1
                                        ; implicit-def: $vgpr2
.LBB66_3:
	v_and_b32_e32 v10, 0x3ff, v0
	s_andn2_b64 vcc, exec, s[4:5]
	v_mov_b32_e32 v1, s7
	v_mbcnt_lo_u32_b32 v11, -1, 0
	v_mov_b32_e32 v0, s7
	s_cbranch_vccnz .LBB66_11
; %bb.4:
	s_load_dword s3, s[0:1], 0x4c
	s_load_dword s20, s[0:1], 0x44
	s_load_dwordx8 s[8:15], s[0:1], 0x10
	v_lshlrev_b32_e32 v0, 3, v12
	v_mbcnt_hi_u32_b32 v4, -1, v11
	s_waitcnt lgkmcnt(0)
	s_and_b32 s3, s3, 0xffff
	v_mad_u32_u24 v1, v12, s3, v10
	v_and_b32_e32 v2, 63, v1
	v_mov_b32_e32 v1, 0
	v_mov_b32_e32 v3, v1
	v_lshl_add_u64 v[8:9], v[0:1], 0, s[6:7]
	v_cmp_gt_u32_e64 s[4:5], 8, v2
	s_lshl_b32 s20, s20, 7
	v_lshl_add_u64 v[2:3], v[8:9], 0, v[2:3]
	v_mul_lo_u32 v0, s19, v8
	v_mul_lo_u32 v21, s18, v9
	v_mad_u64_u32 v[8:9], s[24:25], s18, v8, 0
	v_lshl_add_u32 v6, s2, 5, v10
	v_mov_b32_e32 v7, v1
	v_lshlrev_b32_e32 v4, 2, v4
	s_mul_i32 s3, s19, s20
	s_mul_hi_u32 s24, s18, s20
	s_mov_b32 s21, 0
	v_and_b32_e32 v13, 0x100, v4
	v_add3_u32 v9, v9, v21, v0
	v_lshlrev_b64 v[6:7], 2, v[6:7]
	s_add_i32 s25, s24, s3
	s_mul_i32 s24, s18, s20
	v_or_b32_e32 v14, 4, v13
	v_or_b32_e32 v15, 8, v13
	;; [unrolled: 1-line block ×7, first 2 shown]
	v_lshlrev_b64 v[4:5], 2, v[2:3]
	s_lshl_b64 s[22:23], s[20:21], 2
	v_lshl_add_u64 v[6:7], v[8:9], 2, v[6:7]
	s_lshl_b64 s[24:25], s[24:25], 2
	s_lshl_b64 s[18:19], s[18:19], 2
	v_mov_b64_e32 v[8:9], s[16:17]
	v_mov_b32_e32 v0, v1
	s_branch .LBB66_7
.LBB66_5:                               ;   in Loop: Header=BB66_7 Depth=1
	s_or_b64 exec, exec, s[28:29]
.LBB66_6:                               ;   in Loop: Header=BB66_7 Depth=1
	s_or_b64 exec, exec, s[26:27]
	v_lshl_add_u64 v[26:27], s[10:11], 0, v[6:7]
	v_lshl_add_u64 v[24:25], s[8:9], 0, v[6:7]
	global_load_dword v28, v[26:27], off
	v_lshl_add_u64 v[26:27], v[26:27], 0, s[18:19]
	global_load_dword v23, v[24:25], off
	;; [unrolled: 2-line block ×5, first 2 shown]
	global_load_dword v31, v[24:25], off
	v_lshl_add_u64 v[26:27], v[26:27], 0, s[18:19]
	global_load_dword v34, v[26:27], off
	v_lshl_add_u64 v[24:25], v[24:25], 0, s[18:19]
	v_lshl_add_u64 v[26:27], v[26:27], 0, s[18:19]
	global_load_dword v33, v[24:25], off
	global_load_dword v36, v[26:27], off
	v_lshl_add_u64 v[24:25], v[24:25], 0, s[18:19]
	v_lshl_add_u64 v[26:27], v[26:27], 0, s[18:19]
	global_load_dword v35, v[24:25], off
	;; [unrolled: 4-line block ×4, first 2 shown]
	v_lshl_add_u64 v[24:25], v[24:25], 0, s[18:19]
	global_load_dword v26, v[26:27], off
	s_waitcnt vmcnt(16)
	ds_bpermute_b32 v27, v13, v21
	global_load_dword v25, v[24:25], off
	ds_bpermute_b32 v42, v14, v21
	s_waitcnt vmcnt(16)
	ds_bpermute_b32 v24, v13, v22
	ds_bpermute_b32 v44, v15, v21
	;; [unrolled: 1-line block ×14, first 2 shown]
	s_add_u32 s6, s6, s20
	s_addc_u32 s7, s7, 0
	v_cmp_lt_i64_e32 vcc, s[6:7], v[8:9]
	v_lshl_add_u64 v[4:5], v[4:5], 0, s[22:23]
	v_lshl_add_u64 v[2:3], v[2:3], 0, s[20:21]
	;; [unrolled: 1-line block ×3, first 2 shown]
	s_and_b64 vcc, exec, vcc
	s_waitcnt vmcnt(15) lgkmcnt(14)
	v_sub_f32_e32 v22, v28, v27
	s_waitcnt vmcnt(14)
	v_mul_f32_e32 v22, v23, v22
	s_waitcnt lgkmcnt(13)
	v_mul_f32_e32 v22, v22, v24
	s_waitcnt vmcnt(13)
	v_sub_f32_e32 v27, v30, v42
	v_pk_add_f32 v[0:1], v[0:1], v[22:23]
	s_waitcnt vmcnt(12)
	v_mul_f32_e32 v24, v29, v27
	s_waitcnt vmcnt(11) lgkmcnt(12)
	v_sub_f32_e32 v27, v32, v44
	s_waitcnt lgkmcnt(11)
	v_mul_f32_e32 v28, v24, v41
	s_waitcnt vmcnt(10)
	v_mul_f32_e32 v24, v31, v27
	s_waitcnt vmcnt(9) lgkmcnt(10)
	v_sub_f32_e32 v27, v34, v46
	s_waitcnt lgkmcnt(9)
	v_mul_f32_e32 v30, v24, v43
	v_pk_add_f32 v[0:1], v[0:1], v[28:29]
	s_waitcnt vmcnt(8)
	v_mul_f32_e32 v22, v33, v27
	s_waitcnt vmcnt(7) lgkmcnt(8)
	v_sub_f32_e32 v23, v36, v48
	s_waitcnt lgkmcnt(7)
	v_mul_f32_e32 v32, v22, v45
	v_pk_add_f32 v[0:1], v[0:1], v[30:31]
	s_waitcnt vmcnt(6)
	v_mul_f32_e32 v22, v35, v23
	s_waitcnt vmcnt(5) lgkmcnt(4)
	v_sub_f32_e32 v23, v38, v50
	v_mul_f32_e32 v34, v22, v47
	v_pk_add_f32 v[0:1], v[0:1], v[32:33]
	s_waitcnt vmcnt(4)
	v_mul_f32_e32 v22, v37, v23
	s_waitcnt vmcnt(3) lgkmcnt(1)
	v_sub_f32_e32 v23, v40, v52
	v_mul_f32_e32 v36, v22, v49
	v_pk_add_f32 v[0:1], v[0:1], v[34:35]
	s_waitcnt vmcnt(2)
	v_mul_f32_e32 v22, v39, v23
	v_mul_f32_e32 v38, v22, v51
	s_waitcnt vmcnt(1) lgkmcnt(0)
	v_sub_f32_e32 v21, v26, v21
	v_pk_add_f32 v[0:1], v[0:1], v[36:37]
	s_waitcnt vmcnt(0)
	v_mul_f32_e32 v21, v25, v21
	v_pk_add_f32 v[0:1], v[0:1], v[38:39]
	v_mul_f32_e32 v24, v21, v53
	v_pk_add_f32 v[0:1], v[0:1], v[24:25]
	s_cbranch_vccz .LBB66_10
.LBB66_7:                               ; =>This Inner Loop Header: Depth=1
	v_mov_b32_e32 v22, 0
	v_mov_b32_e32 v21, 0
	s_and_saveexec_b64 s[26:27], s[4:5]
	s_cbranch_execz .LBB66_6
; %bb.8:                                ;   in Loop: Header=BB66_7 Depth=1
	v_cmp_gt_i64_e32 vcc, s[16:17], v[2:3]
	v_mov_b32_e32 v21, 0
	v_mov_b32_e32 v22, 0
	s_and_saveexec_b64 s[28:29], vcc
	s_cbranch_execz .LBB66_5
; %bb.9:                                ;   in Loop: Header=BB66_7 Depth=1
	v_lshl_add_u64 v[26:27], s[12:13], 0, v[4:5]
	v_lshl_add_u64 v[24:25], s[14:15], 0, v[4:5]
	global_load_dword v21, v[26:27], off
	global_load_dword v22, v[24:25], off
	s_branch .LBB66_5
.LBB66_10:
	v_mov_b32_e32 v2, v12
.LBB66_11:
	s_load_dwordx4 s[8:11], s[0:1], 0x30
	v_mad_u32_u24 v3, v2, 33, v10
	v_lshl_add_u32 v4, v3, 2, 0
	ds_write_b32 v4, v0
	ds_write_b32 v4, v1 offset:2112
	v_sub_u32_e32 v0, v3, v2
	s_movk_i32 s0, 0x800
	s_mov_b32 s3, 0
	v_cmp_gt_u32_e32 vcc, s0, v0
	s_waitcnt lgkmcnt(0)
	s_barrier
	s_and_saveexec_b64 s[0:1], vcc
	s_cbranch_execz .LBB66_21
; %bb.12:
	v_lshrrev_b32_e32 v4, 6, v0
	v_and_b32_e32 v5, 63, v0
	v_mbcnt_hi_u32_b32 v0, -1, v11
	v_and_b32_e32 v2, 64, v0
	v_add_u32_e32 v2, 64, v2
	v_xor_b32_e32 v3, 8, v0
	v_cmp_lt_i32_e32 vcc, v3, v2
	s_cmp_lg_u64 s[8:9], 0
	v_cmp_eq_u32_e64 s[4:5], 0, v10
	v_cndmask_b32_e32 v3, v0, v3, vcc
	v_lshlrev_b32_e32 v6, 2, v3
	v_xor_b32_e32 v3, 4, v0
	v_cmp_lt_i32_e32 vcc, v3, v2
	s_cselect_b64 s[6:7], -1, 0
	s_cmp_lg_u64 s[10:11], 0
	v_cndmask_b32_e32 v3, v0, v3, vcc
	v_lshlrev_b32_e32 v7, 2, v3
	v_xor_b32_e32 v3, 2, v0
	v_cmp_lt_i32_e32 vcc, v3, v2
	v_add_u32_e32 v10, -8, v4
	v_mov_b32_e32 v1, 0
	v_cndmask_b32_e32 v3, v0, v3, vcc
	v_lshlrev_b32_e32 v8, 2, v3
	v_xor_b32_e32 v3, 1, v0
	v_cmp_lt_i32_e32 vcc, v3, v2
	s_cselect_b64 s[14:15], -1, 0
	s_lshl_b64 s[2:3], s[2:3], 7
	v_cndmask_b32_e32 v0, v0, v3, vcc
	v_lshlrev_b32_e32 v9, 2, v0
	v_lshlrev_b32_e32 v0, 2, v4
	v_mad_u32_u24 v4, v5, 33, v4
	v_lshl_add_u32 v11, v4, 2, 0
	v_cndmask_b32_e64 v4, 0, 1, s[6:7]
	v_lshl_add_u64 v[2:3], s[2:3], 0, v[0:1]
	v_cmp_ne_u32_e64 s[2:3], 1, v4
	v_cndmask_b32_e64 v4, 0, 1, s[14:15]
	v_cmp_gt_u32_e64 s[0:1], 16, v5
	s_mov_b64 s[12:13], 0
	v_lshl_add_u64 v[0:1], s[10:11], 0, v[2:3]
	v_lshl_add_u64 v[2:3], s[8:9], 0, v[2:3]
	v_cmp_ne_u32_e64 s[6:7], 1, v4
                                        ; implicit-def: $vgpr4
	s_branch .LBB66_14
.LBB66_13:                              ;   in Loop: Header=BB66_14 Depth=1
	s_or_b64 exec, exec, s[8:9]
	v_add_u32_e32 v10, 8, v10
	v_cmp_lt_u32_e32 vcc, 23, v10
	v_lshl_add_u64 v[0:1], v[0:1], 0, 32
	v_lshl_add_u64 v[2:3], v[2:3], 0, 32
	s_or_b64 s[12:13], vcc, s[12:13]
	v_add_u32_e32 v11, 32, v11
	s_andn2_b64 exec, exec, s[12:13]
	s_cbranch_execz .LBB66_21
.LBB66_14:                              ; =>This Inner Loop Header: Depth=1
	s_and_saveexec_b64 s[8:9], s[0:1]
	s_cbranch_execz .LBB66_16
; %bb.15:                               ;   in Loop: Header=BB66_14 Depth=1
	ds_read_b32 v5, v11
	ds_read_b32 v4, v11 offset:2112
.LBB66_16:                              ;   in Loop: Header=BB66_14 Depth=1
	s_or_b64 exec, exec, s[8:9]
	s_waitcnt lgkmcnt(1)
	ds_bpermute_b32 v13, v6, v5
	s_waitcnt lgkmcnt(1)
	ds_bpermute_b32 v12, v6, v4
	s_waitcnt lgkmcnt(0)
	v_pk_add_f32 v[4:5], v[4:5], v[12:13]
	ds_bpermute_b32 v13, v7, v5
	ds_bpermute_b32 v12, v7, v4
	s_waitcnt lgkmcnt(0)
	v_pk_add_f32 v[4:5], v[4:5], v[12:13]
	ds_bpermute_b32 v13, v8, v5
	;; [unrolled: 4-line block ×3, first 2 shown]
	ds_bpermute_b32 v12, v9, v4
	s_waitcnt lgkmcnt(0)
	v_pk_add_f32 v[4:5], v[4:5], v[12:13]
	s_and_saveexec_b64 s[8:9], s[4:5]
	s_cbranch_execz .LBB66_13
; %bb.17:                               ;   in Loop: Header=BB66_14 Depth=1
	s_and_b64 vcc, exec, s[2:3]
	s_cbranch_vccnz .LBB66_19
; %bb.18:                               ;   in Loop: Header=BB66_14 Depth=1
	global_store_dword v[2:3], v5, off
.LBB66_19:                              ;   in Loop: Header=BB66_14 Depth=1
	s_and_b64 vcc, exec, s[6:7]
	s_cbranch_vccnz .LBB66_13
; %bb.20:                               ;   in Loop: Header=BB66_14 Depth=1
	global_store_dword v[0:1], v4, off
	s_branch .LBB66_13
.LBB66_21:
	s_endpgm
	.section	.rodata,"a",@progbits
	.p2align	6, 0x0
	.amdhsa_kernel _ZN2at6native12_GLOBAL__N_135GammaBetaBackwardCUDAKernelTemplateIffLj32ELj16ELj128ELb0ELb1ELb0EEEvllPKT_S5_PKT0_S8_PS3_S9_
		.amdhsa_group_segment_fixed_size 0
		.amdhsa_private_segment_fixed_size 0
		.amdhsa_kernarg_size 320
		.amdhsa_user_sgpr_count 2
		.amdhsa_user_sgpr_dispatch_ptr 0
		.amdhsa_user_sgpr_queue_ptr 0
		.amdhsa_user_sgpr_kernarg_segment_ptr 1
		.amdhsa_user_sgpr_dispatch_id 0
		.amdhsa_user_sgpr_kernarg_preload_length 0
		.amdhsa_user_sgpr_kernarg_preload_offset 0
		.amdhsa_user_sgpr_private_segment_size 0
		.amdhsa_uses_dynamic_stack 0
		.amdhsa_enable_private_segment 0
		.amdhsa_system_sgpr_workgroup_id_x 1
		.amdhsa_system_sgpr_workgroup_id_y 1
		.amdhsa_system_sgpr_workgroup_id_z 0
		.amdhsa_system_sgpr_workgroup_info 0
		.amdhsa_system_vgpr_workitem_id 1
		.amdhsa_next_free_vgpr 54
		.amdhsa_next_free_sgpr 30
		.amdhsa_accum_offset 56
		.amdhsa_reserve_vcc 1
		.amdhsa_float_round_mode_32 0
		.amdhsa_float_round_mode_16_64 0
		.amdhsa_float_denorm_mode_32 3
		.amdhsa_float_denorm_mode_16_64 3
		.amdhsa_dx10_clamp 1
		.amdhsa_ieee_mode 1
		.amdhsa_fp16_overflow 0
		.amdhsa_tg_split 0
		.amdhsa_exception_fp_ieee_invalid_op 0
		.amdhsa_exception_fp_denorm_src 0
		.amdhsa_exception_fp_ieee_div_zero 0
		.amdhsa_exception_fp_ieee_overflow 0
		.amdhsa_exception_fp_ieee_underflow 0
		.amdhsa_exception_fp_ieee_inexact 0
		.amdhsa_exception_int_div_zero 0
	.end_amdhsa_kernel
	.section	.text._ZN2at6native12_GLOBAL__N_135GammaBetaBackwardCUDAKernelTemplateIffLj32ELj16ELj128ELb0ELb1ELb0EEEvllPKT_S5_PKT0_S8_PS3_S9_,"axG",@progbits,_ZN2at6native12_GLOBAL__N_135GammaBetaBackwardCUDAKernelTemplateIffLj32ELj16ELj128ELb0ELb1ELb0EEEvllPKT_S5_PKT0_S8_PS3_S9_,comdat
.Lfunc_end66:
	.size	_ZN2at6native12_GLOBAL__N_135GammaBetaBackwardCUDAKernelTemplateIffLj32ELj16ELj128ELb0ELb1ELb0EEEvllPKT_S5_PKT0_S8_PS3_S9_, .Lfunc_end66-_ZN2at6native12_GLOBAL__N_135GammaBetaBackwardCUDAKernelTemplateIffLj32ELj16ELj128ELb0ELb1ELb0EEEvllPKT_S5_PKT0_S8_PS3_S9_
                                        ; -- End function
	.section	.AMDGPU.csdata,"",@progbits
; Kernel info:
; codeLenInByte = 1628
; NumSgprs: 36
; NumVgprs: 54
; NumAgprs: 0
; TotalNumVgprs: 54
; ScratchSize: 0
; MemoryBound: 0
; FloatMode: 240
; IeeeMode: 1
; LDSByteSize: 0 bytes/workgroup (compile time only)
; SGPRBlocks: 4
; VGPRBlocks: 6
; NumSGPRsForWavesPerEU: 36
; NumVGPRsForWavesPerEU: 54
; AccumOffset: 56
; Occupancy: 8
; WaveLimiterHint : 0
; COMPUTE_PGM_RSRC2:SCRATCH_EN: 0
; COMPUTE_PGM_RSRC2:USER_SGPR: 2
; COMPUTE_PGM_RSRC2:TRAP_HANDLER: 0
; COMPUTE_PGM_RSRC2:TGID_X_EN: 1
; COMPUTE_PGM_RSRC2:TGID_Y_EN: 1
; COMPUTE_PGM_RSRC2:TGID_Z_EN: 0
; COMPUTE_PGM_RSRC2:TIDIG_COMP_CNT: 1
; COMPUTE_PGM_RSRC3_GFX90A:ACCUM_OFFSET: 13
; COMPUTE_PGM_RSRC3_GFX90A:TG_SPLIT: 0
	.section	.text._ZN2at6native12_GLOBAL__N_135GammaBetaBackwardCUDAKernelTemplateIffLj32ELj16ELj128ELb0ELb0ELb0EEEvllPKT_S5_PKT0_S8_PS3_S9_,"axG",@progbits,_ZN2at6native12_GLOBAL__N_135GammaBetaBackwardCUDAKernelTemplateIffLj32ELj16ELj128ELb0ELb0ELb0EEEvllPKT_S5_PKT0_S8_PS3_S9_,comdat
	.globl	_ZN2at6native12_GLOBAL__N_135GammaBetaBackwardCUDAKernelTemplateIffLj32ELj16ELj128ELb0ELb0ELb0EEEvllPKT_S5_PKT0_S8_PS3_S9_ ; -- Begin function _ZN2at6native12_GLOBAL__N_135GammaBetaBackwardCUDAKernelTemplateIffLj32ELj16ELj128ELb0ELb0ELb0EEEvllPKT_S5_PKT0_S8_PS3_S9_
	.p2align	8
	.type	_ZN2at6native12_GLOBAL__N_135GammaBetaBackwardCUDAKernelTemplateIffLj32ELj16ELj128ELb0ELb0ELb0EEEvllPKT_S5_PKT0_S8_PS3_S9_,@function
_ZN2at6native12_GLOBAL__N_135GammaBetaBackwardCUDAKernelTemplateIffLj32ELj16ELj128ELb0ELb0ELb0EEEvllPKT_S5_PKT0_S8_PS3_S9_: ; @_ZN2at6native12_GLOBAL__N_135GammaBetaBackwardCUDAKernelTemplateIffLj32ELj16ELj128ELb0ELb0ELb0EEEvllPKT_S5_PKT0_S8_PS3_S9_
; %bb.0:
	s_load_dwordx8 s[8:15], s[0:1], 0x0
	s_load_dwordx4 s[24:27], s[0:1], 0x20
	s_lshl_b32 s33, s2, 5
	s_mov_b32 s16, 0
	s_or_b32 s4, s33, 31
	s_mov_b32 s5, s16
	s_waitcnt lgkmcnt(0)
	v_mov_b64_e32 v[2:3], s[10:11]
	v_cmp_ge_i64_e32 vcc, s[4:5], v[2:3]
	s_lshl_b32 s28, s3, 7
	s_mov_b32 s29, s16
	v_mov_b64_e32 v[2:3], s[8:9]
	v_cmp_lt_i64_e64 s[4:5], s[28:29], v[2:3]
	s_nop 1
	v_cndmask_b32_e64 v1, 0, 1, s[4:5]
	v_cmp_ne_u32_e64 s[4:5], 1, v1
	s_cbranch_vccz .LBB67_48
; %bb.1:
	v_mov_b32_e32 v27, 0
	s_and_b64 vcc, exec, s[4:5]
	v_mov_b32_e32 v26, v27
	s_cbranch_vccnz .LBB67_49
; %bb.2:
	v_mov_b32_e32 v3, 0
	v_bfe_u32 v66, v0, 10, 10
	s_load_dword s3, s[0:1], 0x44
	v_lshlrev_b32_e32 v28, 3, v66
	v_mov_b32_e32 v29, v3
	v_and_b32_e32 v1, 0x3ff, v0
	v_lshl_add_u64 v[4:5], v[28:29], 0, s[28:29]
	v_add_u32_e32 v2, s33, v1
	v_lshl_add_u64 v[6:7], v[4:5], 0, 7
	s_add_u32 s30, s0, 64
	v_cmp_gt_i64_e64 s[6:7], s[10:11], v[2:3]
	v_lshlrev_b64 v[30:31], 2, v[2:3]
	v_mul_lo_u32 v2, s11, v6
	v_mul_lo_u32 v8, s10, v7
	v_mad_u64_u32 v[6:7], s[18:19], s10, v6, 0
	s_addc_u32 s31, s1, 0
	s_waitcnt lgkmcnt(0)
	s_lshl_b32 s3, s3, 7
	v_add3_u32 v7, v7, v8, v2
	v_lshlrev_b64 v[6:7], 2, v[6:7]
	s_mul_i32 s17, s11, s3
	s_mul_hi_u32 s18, s10, s3
	v_lshl_add_u64 v[32:33], s[12:13], 0, v[6:7]
	s_add_i32 s19, s18, s17
	s_mul_i32 s18, s10, s3
	v_lshl_add_u64 v[34:35], s[14:15], 0, v[6:7]
	v_lshl_add_u64 v[6:7], v[4:5], 0, 6
	s_lshl_b64 s[34:35], s[18:19], 2
	v_mul_lo_u32 v2, s11, v6
	v_mul_lo_u32 v8, s10, v7
	v_mad_u64_u32 v[6:7], s[18:19], s10, v6, 0
	v_add3_u32 v7, v7, v8, v2
	v_lshlrev_b64 v[6:7], 2, v[6:7]
	v_lshl_add_u64 v[36:37], s[12:13], 0, v[6:7]
	v_lshl_add_u64 v[38:39], s[14:15], 0, v[6:7]
	v_lshl_add_u64 v[6:7], v[4:5], 0, 5
	v_mul_lo_u32 v2, s11, v6
	v_mul_lo_u32 v8, s10, v7
	v_mad_u64_u32 v[6:7], s[18:19], s10, v6, 0
	v_add3_u32 v7, v7, v8, v2
	v_lshlrev_b64 v[6:7], 2, v[6:7]
	v_lshl_add_u64 v[40:41], s[12:13], 0, v[6:7]
	v_lshl_add_u64 v[42:43], s[14:15], 0, v[6:7]
	v_lshl_add_u64 v[6:7], v[4:5], 0, 4
	;; [unrolled: 8-line block ×4, first 2 shown]
	v_mul_lo_u32 v2, s11, v6
	v_mul_lo_u32 v8, s10, v7
	v_mad_u64_u32 v[6:7], s[18:19], s10, v6, 0
	v_add3_u32 v7, v7, v8, v2
	v_lshlrev_b64 v[6:7], 2, v[6:7]
	v_lshl_add_u64 v[52:53], s[12:13], 0, v[6:7]
	v_lshl_add_u64 v[54:55], s[14:15], 0, v[6:7]
	v_mov_b64_e32 v[6:7], s[10:11]
	v_mad_u64_u32 v[6:7], s[18:19], s10, v4, v[6:7]
	v_mul_lo_u32 v2, s10, v5
	v_mul_lo_u32 v8, s11, v4
	v_mad_u64_u32 v[4:5], s[18:19], s10, v4, 0
	v_add3_u32 v7, v8, v7, v2
	v_add3_u32 v5, v5, v2, v8
	v_mbcnt_lo_u32_b32 v2, -1, 0
	v_mbcnt_hi_u32_b32 v2, -1, v2
	v_lshlrev_b64 v[6:7], 2, v[6:7]
	s_add_u32 s36, s28, 0x7f
	v_lshlrev_b64 v[4:5], 2, v[4:5]
	s_movk_i32 s38, 0xff81
	s_movk_i32 s40, 0xff82
	;; [unrolled: 1-line block ×8, first 2 shown]
	v_lshlrev_b32_e32 v2, 2, v2
	v_lshl_add_u64 v[56:57], s[12:13], 0, v[6:7]
	v_lshl_add_u64 v[58:59], s[14:15], 0, v[6:7]
	s_addc_u32 s37, 0, 0
	v_lshl_add_u64 v[60:61], s[12:13], 0, v[4:5]
	v_lshl_add_u64 v[62:63], s[14:15], 0, v[4:5]
	s_mov_b32 s39, -1
	s_mov_b32 s41, -1
	;; [unrolled: 1-line block ×8, first 2 shown]
	v_and_b32_e32 v67, 0x100, v2
	s_mov_b64 s[54:55], s[28:29]
	v_mov_b32_e32 v26, v3
	v_mov_b32_e32 v27, v3
	s_branch .LBB67_5
.LBB67_3:                               ;   in Loop: Header=BB67_5 Depth=1
	s_or_b64 exec, exec, s[18:19]
	s_waitcnt vmcnt(1)
	ds_bpermute_b32 v2, v67, v69
	ds_bpermute_b32 v4, v67, v69 offset:4
	s_waitcnt vmcnt(0)
	ds_bpermute_b32 v5, v67, v68
	ds_bpermute_b32 v6, v67, v68 offset:4
	ds_bpermute_b32 v9, v67, v68 offset:12
	s_waitcnt lgkmcnt(4)
	v_sub_f32_e32 v2, v10, v2
	v_mul_f32_e32 v2, v18, v2
	s_waitcnt lgkmcnt(3)
	v_sub_f32_e32 v7, v11, v4
	s_waitcnt lgkmcnt(2)
	v_mul_f32_e32 v4, v2, v5
	ds_bpermute_b32 v2, v67, v69 offset:8
	v_mul_f32_e32 v5, v19, v7
	s_waitcnt lgkmcnt(2)
	v_mul_f32_e32 v6, v5, v6
	ds_bpermute_b32 v5, v67, v68 offset:8
	ds_bpermute_b32 v7, v67, v69 offset:12
	s_waitcnt lgkmcnt(2)
	v_sub_f32_e32 v2, v12, v2
	v_mul_f32_e32 v2, v20, v2
	v_mov_b32_e32 v11, v21
	s_waitcnt lgkmcnt(1)
	v_mul_f32_e32 v8, v2, v5
	s_waitcnt lgkmcnt(0)
	v_sub_f32_e32 v2, v13, v7
	ds_bpermute_b32 v5, v67, v69 offset:16
	v_mul_f32_e32 v2, v21, v2
	v_mul_f32_e32 v10, v2, v9
	ds_bpermute_b32 v2, v67, v68 offset:16
	ds_bpermute_b32 v7, v67, v69 offset:20
	;; [unrolled: 1-line block ×3, first 2 shown]
	s_waitcnt lgkmcnt(3)
	v_sub_f32_e32 v5, v14, v5
	v_mul_f32_e32 v5, v22, v5
	s_waitcnt lgkmcnt(2)
	v_mul_f32_e32 v12, v5, v2
	s_waitcnt lgkmcnt(1)
	v_sub_f32_e32 v2, v15, v7
	v_mul_f32_e32 v2, v23, v2
	s_waitcnt lgkmcnt(0)
	v_mul_f32_e32 v14, v2, v9
	v_mov_b32_e32 v5, v18
	ds_bpermute_b32 v2, v67, v69 offset:24
	v_pk_add_f32 v[4:5], v[26:27], v[4:5]
	v_mov_b32_e32 v7, v19
	v_pk_add_f32 v[4:5], v[6:7], v[4:5]
	ds_bpermute_b32 v7, v67, v68 offset:24
	v_mov_b32_e32 v9, v20
	v_pk_add_f32 v[4:5], v[8:9], v[4:5]
	v_mov_b32_e32 v13, v22
	v_pk_add_f32 v[4:5], v[10:11], v[4:5]
	s_waitcnt lgkmcnt(1)
	v_sub_f32_e32 v8, v16, v2
	v_pk_add_f32 v[4:5], v[12:13], v[4:5]
	v_mov_b32_e32 v15, v23
	v_mul_f32_e32 v8, v24, v8
	v_pk_add_f32 v[4:5], v[14:15], v[4:5]
	s_waitcnt lgkmcnt(0)
	v_mul_f32_e32 v8, v8, v7
	v_mov_b32_e32 v9, v24
	ds_bpermute_b32 v2, v67, v68 offset:28
	ds_bpermute_b32 v6, v67, v69 offset:28
	v_pk_add_f32 v[4:5], v[8:9], v[4:5]
.LBB67_4:                               ;   in Loop: Header=BB67_5 Depth=1
	s_waitcnt lgkmcnt(0)
	v_sub_f32_e32 v6, v17, v6
	v_mul_f32_e32 v6, v25, v6
	v_mul_f32_e32 v24, v6, v2
	s_add_u32 s54, s54, s3
	v_pk_add_f32 v[26:27], v[4:5], v[24:25]
	s_addc_u32 s55, s55, 0
	v_mov_b64_e32 v[4:5], s[8:9]
	s_add_u32 s36, s36, s3
	v_cmp_lt_i64_e32 vcc, s[54:55], v[4:5]
	v_lshl_add_u64 v[32:33], v[32:33], 0, s[34:35]
	v_lshl_add_u64 v[34:35], v[34:35], 0, s[34:35]
	;; [unrolled: 1-line block ×14, first 2 shown]
	s_addc_u32 s37, s37, 0
	v_lshl_add_u64 v[60:61], v[60:61], 0, s[34:35]
	v_lshl_add_u64 v[62:63], v[62:63], 0, s[34:35]
	s_cbranch_vccz .LBB67_49
.LBB67_5:                               ; =>This Inner Loop Header: Depth=1
	v_mov_b64_e32 v[4:5], s[8:9]
	v_cmp_ge_i64_e32 vcc, s[36:37], v[4:5]
	v_lshl_add_u64 v[64:65], v[28:29], 0, s[36:37]
	s_cbranch_vccz .LBB67_27
; %bb.6:                                ;   in Loop: Header=BB67_5 Depth=1
	s_load_dword s17, s[30:31], 0xc
	v_mov_b32_e32 v68, 0
	v_mov_b32_e32 v69, 0
	s_waitcnt lgkmcnt(0)
	s_and_b32 s17, s17, 0xffff
	v_mad_u32_u24 v2, v66, s17, v1
	v_and_b32_e32 v2, 63, v2
	v_cmp_gt_u32_e32 vcc, 8, v2
	s_and_saveexec_b64 s[18:19], vcc
	s_cbranch_execz .LBB67_10
; %bb.7:                                ;   in Loop: Header=BB67_5 Depth=1
	v_lshl_add_u64 v[4:5], v[64:65], 0, v[2:3]
	v_lshl_add_u64 v[4:5], v[4:5], 0, s[38:39]
	v_cmp_gt_i64_e32 vcc, s[8:9], v[4:5]
	v_mov_b32_e32 v69, 0
	v_mov_b32_e32 v68, 0
	s_and_saveexec_b64 s[20:21], vcc
	s_cbranch_execz .LBB67_9
; %bb.8:                                ;   in Loop: Header=BB67_5 Depth=1
	v_lshlrev_b64 v[4:5], 2, v[4:5]
	v_lshl_add_u64 v[6:7], s[26:27], 0, v[4:5]
	v_lshl_add_u64 v[4:5], s[24:25], 0, v[4:5]
	global_load_dword v69, v[4:5], off
	global_load_dword v68, v[6:7], off
.LBB67_9:                               ;   in Loop: Header=BB67_5 Depth=1
	s_or_b64 exec, exec, s[20:21]
.LBB67_10:                              ;   in Loop: Header=BB67_5 Depth=1
	s_or_b64 exec, exec, s[18:19]
	s_mov_b32 s17, s16
	s_mov_b32 s18, s16
	;; [unrolled: 1-line block ×7, first 2 shown]
	v_mov_b64_e32 v[10:11], s[16:17]
	v_lshl_add_u64 v[4:5], v[64:65], 0, s[38:39]
	v_mov_b64_e32 v[16:17], s[22:23]
	v_cmp_gt_i64_e32 vcc, s[8:9], v[4:5]
	v_mov_b64_e32 v[12:13], s[18:19]
	v_mov_b64_e32 v[14:15], s[20:21]
	;; [unrolled: 1-line block ×3, first 2 shown]
	s_and_b64 s[56:57], s[6:7], vcc
	v_mov_b64_e32 v[22:23], v[14:15]
	v_mov_b64_e32 v[20:21], v[12:13]
	;; [unrolled: 1-line block ×3, first 2 shown]
	s_and_saveexec_b64 s[18:19], s[56:57]
	s_cbranch_execz .LBB67_12
; %bb.11:                               ;   in Loop: Header=BB67_5 Depth=1
	v_lshl_add_u64 v[4:5], v[60:61], 0, v[30:31]
	global_load_dword v2, v[4:5], off
	v_lshl_add_u64 v[4:5], v[62:63], 0, v[30:31]
	global_load_dword v10, v[4:5], off
	v_mov_b32_e32 v8, v3
	v_mov_b32_e32 v9, v3
	v_mov_b32_e32 v4, v3
	v_mov_b32_e32 v5, v3
	v_mov_b32_e32 v6, v3
	v_mov_b32_e32 v7, v3
	s_waitcnt vmcnt(1)
	v_mov_b64_e32 v[24:25], v[8:9]
	v_mov_b32_e32 v11, v3
	v_mov_b32_e32 v12, v3
	;; [unrolled: 1-line block ×7, first 2 shown]
	v_mov_b64_e32 v[22:23], v[6:7]
	v_mov_b64_e32 v[20:21], v[4:5]
	;; [unrolled: 1-line block ×3, first 2 shown]
.LBB67_12:                              ;   in Loop: Header=BB67_5 Depth=1
	s_or_b64 exec, exec, s[18:19]
	v_lshl_add_u64 v[4:5], v[64:65], 0, s[40:41]
	v_cmp_gt_i64_e32 vcc, s[8:9], v[4:5]
	s_and_b64 s[20:21], s[6:7], vcc
	s_and_saveexec_b64 s[18:19], s[20:21]
	s_cbranch_execz .LBB67_14
; %bb.13:                               ;   in Loop: Header=BB67_5 Depth=1
	v_lshl_add_u64 v[4:5], v[56:57], 0, v[30:31]
	global_load_dword v19, v[4:5], off
	v_lshl_add_u64 v[4:5], v[58:59], 0, v[30:31]
	global_load_dword v11, v[4:5], off
.LBB67_14:                              ;   in Loop: Header=BB67_5 Depth=1
	s_or_b64 exec, exec, s[18:19]
	v_lshl_add_u64 v[4:5], v[64:65], 0, s[42:43]
	v_cmp_gt_i64_e32 vcc, s[8:9], v[4:5]
	s_and_b64 s[20:21], s[6:7], vcc
	s_and_saveexec_b64 s[18:19], s[20:21]
	s_cbranch_execz .LBB67_16
; %bb.15:                               ;   in Loop: Header=BB67_5 Depth=1
	v_lshl_add_u64 v[4:5], v[52:53], 0, v[30:31]
	global_load_dword v20, v[4:5], off
	v_lshl_add_u64 v[4:5], v[54:55], 0, v[30:31]
	global_load_dword v12, v[4:5], off
.LBB67_16:                              ;   in Loop: Header=BB67_5 Depth=1
	s_or_b64 exec, exec, s[18:19]
	v_lshl_add_u64 v[4:5], v[64:65], 0, s[44:45]
	v_cmp_gt_i64_e32 vcc, s[8:9], v[4:5]
	s_and_b64 s[20:21], s[6:7], vcc
	s_and_saveexec_b64 s[18:19], s[20:21]
	s_cbranch_execz .LBB67_18
; %bb.17:                               ;   in Loop: Header=BB67_5 Depth=1
	v_lshl_add_u64 v[4:5], v[48:49], 0, v[30:31]
	global_load_dword v21, v[4:5], off
	v_lshl_add_u64 v[4:5], v[50:51], 0, v[30:31]
	global_load_dword v13, v[4:5], off
.LBB67_18:                              ;   in Loop: Header=BB67_5 Depth=1
	s_or_b64 exec, exec, s[18:19]
	v_lshl_add_u64 v[4:5], v[64:65], 0, s[46:47]
	v_cmp_gt_i64_e32 vcc, s[8:9], v[4:5]
	s_and_b64 s[20:21], s[6:7], vcc
	s_and_saveexec_b64 s[18:19], s[20:21]
	s_cbranch_execz .LBB67_20
; %bb.19:                               ;   in Loop: Header=BB67_5 Depth=1
	v_lshl_add_u64 v[4:5], v[44:45], 0, v[30:31]
	global_load_dword v22, v[4:5], off
	v_lshl_add_u64 v[4:5], v[46:47], 0, v[30:31]
	global_load_dword v14, v[4:5], off
.LBB67_20:                              ;   in Loop: Header=BB67_5 Depth=1
	s_or_b64 exec, exec, s[18:19]
	v_lshl_add_u64 v[4:5], v[64:65], 0, s[48:49]
	v_cmp_gt_i64_e32 vcc, s[8:9], v[4:5]
	s_and_b64 s[20:21], s[6:7], vcc
	s_and_saveexec_b64 s[18:19], s[20:21]
	s_cbranch_execz .LBB67_22
; %bb.21:                               ;   in Loop: Header=BB67_5 Depth=1
	v_lshl_add_u64 v[4:5], v[40:41], 0, v[30:31]
	global_load_dword v23, v[4:5], off
	v_lshl_add_u64 v[4:5], v[42:43], 0, v[30:31]
	global_load_dword v15, v[4:5], off
.LBB67_22:                              ;   in Loop: Header=BB67_5 Depth=1
	s_or_b64 exec, exec, s[18:19]
	v_lshl_add_u64 v[4:5], v[64:65], 0, s[50:51]
	v_cmp_gt_i64_e32 vcc, s[8:9], v[4:5]
	s_and_b64 s[20:21], s[6:7], vcc
	s_and_saveexec_b64 s[18:19], s[20:21]
	s_cbranch_execz .LBB67_24
; %bb.23:                               ;   in Loop: Header=BB67_5 Depth=1
	v_lshl_add_u64 v[4:5], v[36:37], 0, v[30:31]
	global_load_dword v24, v[4:5], off
	v_lshl_add_u64 v[4:5], v[38:39], 0, v[30:31]
	global_load_dword v16, v[4:5], off
.LBB67_24:                              ;   in Loop: Header=BB67_5 Depth=1
	s_or_b64 exec, exec, s[18:19]
	v_lshl_add_u64 v[4:5], v[64:65], 0, s[52:53]
	v_cmp_gt_i64_e32 vcc, s[8:9], v[4:5]
	s_and_b64 s[20:21], s[6:7], vcc
	s_and_saveexec_b64 s[18:19], s[20:21]
	s_cbranch_execz .LBB67_26
; %bb.25:                               ;   in Loop: Header=BB67_5 Depth=1
	v_lshl_add_u64 v[4:5], v[32:33], 0, v[30:31]
	global_load_dword v25, v[4:5], off
	v_lshl_add_u64 v[4:5], v[34:35], 0, v[30:31]
	global_load_dword v17, v[4:5], off
.LBB67_26:                              ;   in Loop: Header=BB67_5 Depth=1
	s_or_b64 exec, exec, s[18:19]
	s_waitcnt vmcnt(1)
	ds_bpermute_b32 v2, v67, v69
	ds_bpermute_b32 v4, v67, v69 offset:4
	s_waitcnt vmcnt(0)
	ds_bpermute_b32 v5, v67, v68
	ds_bpermute_b32 v6, v67, v68 offset:4
	ds_bpermute_b32 v9, v67, v68 offset:12
	s_waitcnt lgkmcnt(4)
	v_sub_f32_e32 v2, v10, v2
	v_mul_f32_e32 v2, v18, v2
	s_waitcnt lgkmcnt(3)
	v_sub_f32_e32 v7, v11, v4
	s_waitcnt lgkmcnt(2)
	v_mul_f32_e32 v4, v2, v5
	ds_bpermute_b32 v2, v67, v69 offset:8
	v_mul_f32_e32 v5, v19, v7
	s_waitcnt lgkmcnt(2)
	v_mul_f32_e32 v6, v5, v6
	ds_bpermute_b32 v5, v67, v68 offset:8
	ds_bpermute_b32 v7, v67, v69 offset:12
	s_waitcnt lgkmcnt(2)
	v_sub_f32_e32 v2, v12, v2
	v_mul_f32_e32 v2, v20, v2
	v_mov_b32_e32 v11, v21
	s_waitcnt lgkmcnt(1)
	v_mul_f32_e32 v8, v2, v5
	s_waitcnt lgkmcnt(0)
	v_sub_f32_e32 v2, v13, v7
	ds_bpermute_b32 v5, v67, v69 offset:16
	v_mul_f32_e32 v2, v21, v2
	v_mul_f32_e32 v10, v2, v9
	ds_bpermute_b32 v2, v67, v68 offset:16
	ds_bpermute_b32 v7, v67, v69 offset:20
	;; [unrolled: 1-line block ×3, first 2 shown]
	s_waitcnt lgkmcnt(3)
	v_sub_f32_e32 v5, v14, v5
	v_mul_f32_e32 v5, v22, v5
	s_waitcnt lgkmcnt(2)
	v_mul_f32_e32 v12, v5, v2
	s_waitcnt lgkmcnt(1)
	v_sub_f32_e32 v2, v15, v7
	v_mul_f32_e32 v2, v23, v2
	s_waitcnt lgkmcnt(0)
	v_mul_f32_e32 v14, v2, v9
	ds_bpermute_b32 v2, v67, v69 offset:24
	v_mov_b32_e32 v5, v18
	v_pk_add_f32 v[4:5], v[26:27], v[4:5]
	v_mov_b32_e32 v7, v19
	v_pk_add_f32 v[4:5], v[6:7], v[4:5]
	ds_bpermute_b32 v7, v67, v68 offset:24
	v_mov_b32_e32 v9, v20
	s_waitcnt lgkmcnt(1)
	v_sub_f32_e32 v2, v16, v2
	v_pk_add_f32 v[4:5], v[8:9], v[4:5]
	v_mul_f32_e32 v8, v24, v2
	ds_bpermute_b32 v2, v67, v68 offset:28
	ds_bpermute_b32 v6, v67, v69 offset:28
	v_pk_add_f32 v[4:5], v[10:11], v[4:5]
	v_mov_b32_e32 v13, v22
	v_pk_add_f32 v[4:5], v[12:13], v[4:5]
	v_mov_b32_e32 v15, v23
	v_pk_add_f32 v[4:5], v[14:15], v[4:5]
	s_waitcnt lgkmcnt(2)
	v_mul_f32_e32 v8, v8, v7
	v_mov_b32_e32 v9, v24
	v_pk_add_f32 v[4:5], v[8:9], v[4:5]
	s_branch .LBB67_4
.LBB67_27:                              ;   in Loop: Header=BB67_5 Depth=1
                                        ; implicit-def: $vgpr4_vgpr5
                                        ; implicit-def: $vgpr2
                                        ; implicit-def: $vgpr10_vgpr11_vgpr12_vgpr13_vgpr14_vgpr15_vgpr16_vgpr17
                                        ; implicit-def: $vgpr18_vgpr19_vgpr20_vgpr21_vgpr22_vgpr23_vgpr24_vgpr25
                                        ; implicit-def: $vgpr6
	s_cbranch_execz .LBB67_4
; %bb.28:                               ;   in Loop: Header=BB67_5 Depth=1
	s_load_dword s17, s[30:31], 0x0
	v_mov_b32_e32 v68, 0
	v_mov_b32_e32 v69, 0
	s_waitcnt lgkmcnt(0)
	s_cmp_lt_u32 s2, s17
	s_cselect_b32 s17, 12, 18
	s_add_u32 s18, s30, s17
	s_addc_u32 s19, s31, 0
	global_load_ushort v2, v3, s[18:19]
	s_waitcnt vmcnt(0)
	v_mad_u32_u24 v2, v66, v2, v1
	v_and_b32_e32 v2, 63, v2
	v_cmp_gt_u32_e32 vcc, 8, v2
	s_and_saveexec_b64 s[18:19], vcc
	s_cbranch_execz .LBB67_32
; %bb.29:                               ;   in Loop: Header=BB67_5 Depth=1
	v_lshl_add_u64 v[4:5], v[64:65], 0, v[2:3]
	v_lshl_add_u64 v[4:5], v[4:5], 0, s[38:39]
	v_cmp_gt_i64_e32 vcc, s[8:9], v[4:5]
	v_mov_b32_e32 v69, 0
	v_mov_b32_e32 v68, 0
	s_and_saveexec_b64 s[20:21], vcc
	s_cbranch_execz .LBB67_31
; %bb.30:                               ;   in Loop: Header=BB67_5 Depth=1
	v_lshlrev_b64 v[4:5], 2, v[4:5]
	v_lshl_add_u64 v[6:7], s[26:27], 0, v[4:5]
	v_lshl_add_u64 v[4:5], s[24:25], 0, v[4:5]
	global_load_dword v69, v[4:5], off
	global_load_dword v68, v[6:7], off
.LBB67_31:                              ;   in Loop: Header=BB67_5 Depth=1
	s_or_b64 exec, exec, s[20:21]
.LBB67_32:                              ;   in Loop: Header=BB67_5 Depth=1
	s_or_b64 exec, exec, s[18:19]
	s_mov_b32 s17, s16
	s_mov_b32 s18, s16
	;; [unrolled: 1-line block ×7, first 2 shown]
	v_mov_b64_e32 v[10:11], s[16:17]
	v_mov_b64_e32 v[16:17], s[22:23]
	;; [unrolled: 1-line block ×8, first 2 shown]
	s_and_saveexec_b64 s[18:19], s[6:7]
	s_cbranch_execnz .LBB67_40
; %bb.33:                               ;   in Loop: Header=BB67_5 Depth=1
	s_or_b64 exec, exec, s[18:19]
	s_and_saveexec_b64 s[18:19], s[6:7]
	s_cbranch_execnz .LBB67_41
.LBB67_34:                              ;   in Loop: Header=BB67_5 Depth=1
	s_or_b64 exec, exec, s[18:19]
	s_and_saveexec_b64 s[18:19], s[6:7]
	s_cbranch_execnz .LBB67_42
.LBB67_35:                              ;   in Loop: Header=BB67_5 Depth=1
	s_or_b64 exec, exec, s[18:19]
	s_and_saveexec_b64 s[18:19], s[6:7]
	s_cbranch_execnz .LBB67_43
.LBB67_36:                              ;   in Loop: Header=BB67_5 Depth=1
	s_or_b64 exec, exec, s[18:19]
	s_and_saveexec_b64 s[18:19], s[6:7]
	s_cbranch_execnz .LBB67_44
.LBB67_37:                              ;   in Loop: Header=BB67_5 Depth=1
	s_or_b64 exec, exec, s[18:19]
	s_and_saveexec_b64 s[18:19], s[6:7]
	s_cbranch_execnz .LBB67_45
.LBB67_38:                              ;   in Loop: Header=BB67_5 Depth=1
	s_or_b64 exec, exec, s[18:19]
	s_and_saveexec_b64 s[18:19], s[6:7]
	s_cbranch_execnz .LBB67_46
.LBB67_39:                              ;   in Loop: Header=BB67_5 Depth=1
	s_or_b64 exec, exec, s[18:19]
	s_and_saveexec_b64 s[18:19], s[6:7]
	s_cbranch_execz .LBB67_3
	s_branch .LBB67_47
.LBB67_40:                              ;   in Loop: Header=BB67_5 Depth=1
	v_lshl_add_u64 v[4:5], v[60:61], 0, v[30:31]
	global_load_dword v2, v[4:5], off
	v_lshl_add_u64 v[4:5], v[62:63], 0, v[30:31]
	global_load_dword v10, v[4:5], off
	v_mov_b32_e32 v8, v3
	v_mov_b32_e32 v9, v3
	;; [unrolled: 1-line block ×6, first 2 shown]
	s_waitcnt vmcnt(1)
	v_mov_b64_e32 v[24:25], v[8:9]
	v_mov_b32_e32 v11, v3
	v_mov_b32_e32 v12, v3
	v_mov_b32_e32 v13, v3
	v_mov_b32_e32 v14, v3
	v_mov_b32_e32 v15, v3
	v_mov_b32_e32 v16, v3
	v_mov_b32_e32 v17, v3
	v_mov_b64_e32 v[22:23], v[6:7]
	v_mov_b64_e32 v[20:21], v[4:5]
	;; [unrolled: 1-line block ×3, first 2 shown]
	s_or_b64 exec, exec, s[18:19]
	s_and_saveexec_b64 s[18:19], s[6:7]
	s_cbranch_execz .LBB67_34
.LBB67_41:                              ;   in Loop: Header=BB67_5 Depth=1
	v_lshl_add_u64 v[4:5], v[56:57], 0, v[30:31]
	global_load_dword v19, v[4:5], off
	v_lshl_add_u64 v[4:5], v[58:59], 0, v[30:31]
	global_load_dword v11, v[4:5], off
	s_or_b64 exec, exec, s[18:19]
	s_and_saveexec_b64 s[18:19], s[6:7]
	s_cbranch_execz .LBB67_35
.LBB67_42:                              ;   in Loop: Header=BB67_5 Depth=1
	v_lshl_add_u64 v[4:5], v[52:53], 0, v[30:31]
	global_load_dword v20, v[4:5], off
	v_lshl_add_u64 v[4:5], v[54:55], 0, v[30:31]
	global_load_dword v12, v[4:5], off
	s_or_b64 exec, exec, s[18:19]
	s_and_saveexec_b64 s[18:19], s[6:7]
	s_cbranch_execz .LBB67_36
.LBB67_43:                              ;   in Loop: Header=BB67_5 Depth=1
	v_lshl_add_u64 v[4:5], v[48:49], 0, v[30:31]
	global_load_dword v21, v[4:5], off
	v_lshl_add_u64 v[4:5], v[50:51], 0, v[30:31]
	global_load_dword v13, v[4:5], off
	s_or_b64 exec, exec, s[18:19]
	s_and_saveexec_b64 s[18:19], s[6:7]
	s_cbranch_execz .LBB67_37
.LBB67_44:                              ;   in Loop: Header=BB67_5 Depth=1
	v_lshl_add_u64 v[4:5], v[44:45], 0, v[30:31]
	global_load_dword v22, v[4:5], off
	v_lshl_add_u64 v[4:5], v[46:47], 0, v[30:31]
	global_load_dword v14, v[4:5], off
	s_or_b64 exec, exec, s[18:19]
	s_and_saveexec_b64 s[18:19], s[6:7]
	s_cbranch_execz .LBB67_38
.LBB67_45:                              ;   in Loop: Header=BB67_5 Depth=1
	v_lshl_add_u64 v[4:5], v[40:41], 0, v[30:31]
	global_load_dword v23, v[4:5], off
	v_lshl_add_u64 v[4:5], v[42:43], 0, v[30:31]
	global_load_dword v15, v[4:5], off
	s_or_b64 exec, exec, s[18:19]
	s_and_saveexec_b64 s[18:19], s[6:7]
	s_cbranch_execz .LBB67_39
.LBB67_46:                              ;   in Loop: Header=BB67_5 Depth=1
	v_lshl_add_u64 v[4:5], v[36:37], 0, v[30:31]
	global_load_dword v24, v[4:5], off
	v_lshl_add_u64 v[4:5], v[38:39], 0, v[30:31]
	global_load_dword v16, v[4:5], off
	s_or_b64 exec, exec, s[18:19]
	s_and_saveexec_b64 s[18:19], s[6:7]
	s_cbranch_execz .LBB67_3
.LBB67_47:                              ;   in Loop: Header=BB67_5 Depth=1
	v_lshl_add_u64 v[4:5], v[32:33], 0, v[30:31]
	global_load_dword v25, v[4:5], off
	v_lshl_add_u64 v[4:5], v[34:35], 0, v[30:31]
	global_load_dword v17, v[4:5], off
	s_branch .LBB67_3
.LBB67_48:
                                        ; implicit-def: $vgpr27
	s_branch .LBB67_50
.LBB67_49:
	s_cbranch_execnz .LBB67_81
.LBB67_50:
	v_mov_b32_e32 v27, 0
	s_mov_b32 s16, 0
	s_and_b64 vcc, exec, s[4:5]
	v_mov_b32_e32 v26, v27
	s_cbranch_vccnz .LBB67_81
; %bb.51:
	v_and_b32_e32 v1, 0x3ff, v0
	v_add_u32_e32 v2, s33, v1
	v_mov_b32_e32 v3, 0
	v_bfe_u32 v88, v0, 10, 10
	v_lshlrev_b64 v[22:23], 2, v[2:3]
	v_lshlrev_b32_e32 v2, 5, v88
	v_lshl_add_u64 v[4:5], s[28:29], 2, v[2:3]
	v_lshl_add_u64 v[6:7], v[4:5], 0, 4
	v_mov_b64_e32 v[8:9], s[12:13]
	v_lshl_add_u64 v[10:11], v[4:5], 0, 8
	v_lshl_add_u64 v[12:13], v[4:5], 0, 12
	v_lshl_add_u64 v[14:15], v[4:5], 0, 16
	v_lshl_add_u64 v[16:17], v[4:5], 0, 20
	v_lshl_add_u64 v[18:19], v[4:5], 0, 24
	v_lshl_add_u64 v[4:5], v[4:5], 0, 28
	v_mad_u64_u32 v[24:25], s[4:5], s10, v6, v[8:9]
	v_mad_u64_u32 v[28:29], s[4:5], s10, v10, v[8:9]
	;; [unrolled: 1-line block ×7, first 2 shown]
	v_mov_b64_e32 v[8:9], s[14:15]
	v_mul_lo_u32 v15, s10, v15
	v_mul_lo_u32 v48, s11, v14
	v_mad_u64_u32 v[46:47], s[4:5], s10, v14, v[8:9]
	v_add3_u32 v33, v48, v33, v15
	v_mul_lo_u32 v17, s10, v17
	v_mul_lo_u32 v50, s11, v16
	v_add3_u32 v47, v48, v47, v15
	v_mad_u64_u32 v[48:49], s[4:5], s10, v16, v[8:9]
	v_lshlrev_b32_e32 v20, 3, v88
	v_mov_b32_e32 v21, v3
	v_mul_lo_u32 v2, s10, v7
	v_mul_lo_u32 v7, s11, v6
	v_add3_u32 v35, v50, v35, v17
	v_mul_lo_u32 v19, s10, v19
	v_mul_lo_u32 v52, s11, v18
	v_mad_u64_u32 v[40:41], s[4:5], s10, v6, v[8:9]
	v_add3_u32 v49, v50, v49, v17
	v_mad_u64_u32 v[50:51], s[4:5], s10, v18, v[8:9]
	v_add3_u32 v25, v7, v25, v2
	v_add3_u32 v37, v52, v37, v19
	v_mul_lo_u32 v5, s10, v5
	v_mul_lo_u32 v54, s11, v4
	v_add3_u32 v41, v7, v41, v2
	v_lshl_add_u64 v[6:7], v[20:21], 0, s[28:29]
	v_add3_u32 v51, v52, v51, v19
	v_mad_u64_u32 v[52:53], s[4:5], s10, v4, v[8:9]
	v_add3_u32 v39, v54, v39, v5
	v_add3_u32 v53, v54, v53, v5
	v_lshl_add_u64 v[4:5], v[6:7], 0, 7
	v_mad_u64_u32 v[42:43], s[4:5], s10, v10, v[8:9]
	v_mad_u64_u32 v[44:45], s[4:5], s10, v12, v[8:9]
	v_mul_lo_u32 v8, s11, v4
	v_mul_lo_u32 v9, s10, v5
	v_mad_u64_u32 v[4:5], s[4:5], s10, v4, 0
	v_mul_lo_u32 v11, s10, v11
	v_mul_lo_u32 v26, s11, v10
	v_add3_u32 v5, v5, v9, v8
	v_lshl_add_u64 v[8:9], v[6:7], 0, 6
	v_add3_u32 v29, v26, v29, v11
	v_add3_u32 v43, v26, v43, v11
	v_mul_lo_u32 v10, s11, v8
	v_mul_lo_u32 v11, s10, v9
	v_mad_u64_u32 v[8:9], s[4:5], s10, v8, 0
	v_mul_lo_u32 v13, s10, v13
	v_mul_lo_u32 v27, s11, v12
	v_add3_u32 v9, v9, v11, v10
	v_lshl_add_u64 v[10:11], v[6:7], 0, 5
	v_add3_u32 v31, v27, v31, v13
	v_add3_u32 v45, v27, v45, v13
	v_mul_lo_u32 v12, s11, v10
	v_mul_lo_u32 v13, s10, v11
	v_mad_u64_u32 v[10:11], s[4:5], s10, v10, 0
	v_add3_u32 v11, v11, v13, v12
	v_lshl_add_u64 v[12:13], v[6:7], 0, 4
	v_mul_lo_u32 v14, s11, v12
	v_mul_lo_u32 v15, s10, v13
	v_mad_u64_u32 v[12:13], s[4:5], s10, v12, 0
	v_add3_u32 v13, v13, v15, v14
	v_lshl_add_u64 v[14:15], v[6:7], 0, 3
	;; [unrolled: 5-line block ×3, first 2 shown]
	s_load_dword s3, s[0:1], 0x44
	v_lshlrev_b64 v[4:5], 2, v[4:5]
	v_mul_lo_u32 v18, s11, v16
	v_mul_lo_u32 v19, s10, v17
	v_mad_u64_u32 v[16:17], s[4:5], s10, v16, 0
	v_lshl_add_u64 v[58:59], s[12:13], 0, v[4:5]
	v_lshl_add_u64 v[60:61], s[14:15], 0, v[4:5]
	v_lshlrev_b64 v[4:5], 2, v[8:9]
	v_add3_u32 v17, v17, v19, v18
	v_mov_b64_e32 v[18:19], s[10:11]
	v_lshl_add_u64 v[62:63], s[12:13], 0, v[4:5]
	v_lshl_add_u64 v[64:65], s[14:15], 0, v[4:5]
	v_lshlrev_b64 v[4:5], 2, v[10:11]
	v_mul_lo_u32 v2, s11, v6
	v_mad_u64_u32 v[18:19], s[4:5], s10, v6, v[18:19]
	v_mul_lo_u32 v26, s10, v7
	v_mad_u64_u32 v[6:7], s[4:5], s10, v6, 0
	v_lshl_add_u64 v[66:67], s[12:13], 0, v[4:5]
	v_lshl_add_u64 v[68:69], s[14:15], 0, v[4:5]
	v_lshlrev_b64 v[4:5], 2, v[12:13]
	s_add_u32 s4, s0, 64
	v_lshl_add_u64 v[70:71], s[12:13], 0, v[4:5]
	v_lshl_add_u64 v[72:73], s[14:15], 0, v[4:5]
	v_lshlrev_b64 v[4:5], 2, v[14:15]
	v_add3_u32 v7, v7, v26, v2
	v_add3_u32 v19, v2, v19, v26
	s_addc_u32 s5, s1, 0
	s_waitcnt lgkmcnt(0)
	s_lshl_b32 s3, s3, 7
	v_lshl_add_u64 v[74:75], s[12:13], 0, v[4:5]
	v_lshl_add_u64 v[76:77], s[14:15], 0, v[4:5]
	v_lshlrev_b64 v[4:5], 2, v[16:17]
	v_mbcnt_lo_u32_b32 v2, -1, 0
	s_add_u32 s6, s28, 0x7f
	s_mul_i32 s17, s11, s3
	s_mul_hi_u32 s18, s10, s3
	v_lshlrev_b64 v[6:7], 2, v[6:7]
	v_lshl_add_u64 v[78:79], s[12:13], 0, v[4:5]
	v_lshl_add_u64 v[80:81], s[14:15], 0, v[4:5]
	v_lshlrev_b64 v[4:5], 2, v[18:19]
	v_mbcnt_hi_u32_b32 v2, -1, v2
	s_addc_u32 s7, 0, 0
	s_add_i32 s19, s18, s17
	s_mul_i32 s18, s10, s3
	v_lshl_add_u64 v[54:55], s[12:13], 0, v[6:7]
	v_lshl_add_u64 v[56:57], s[14:15], 0, v[6:7]
	;; [unrolled: 1-line block ×4, first 2 shown]
	s_movk_i32 s12, 0xff81
	s_movk_i32 s14, 0xff82
	;; [unrolled: 1-line block ×8, first 2 shown]
	v_lshlrev_b32_e32 v2, 2, v2
	s_lshl_b64 s[30:31], s[18:19], 2
	s_mov_b32 s13, -1
	s_mov_b32 s15, -1
	;; [unrolled: 1-line block ×8, first 2 shown]
	v_and_b32_e32 v89, 0x100, v2
	v_mov_b32_e32 v26, v3
	v_mov_b32_e32 v27, v3
	s_branch .LBB67_55
.LBB67_52:                              ;   in Loop: Header=BB67_55 Depth=1
	s_or_b64 exec, exec, s[20:21]
.LBB67_53:                              ;   in Loop: Header=BB67_55 Depth=1
	s_or_b64 exec, exec, s[18:19]
	v_lshl_add_u64 v[4:5], v[54:55], 0, v[22:23]
	v_lshl_add_u64 v[10:11], v[40:41], 0, v[22:23]
	global_load_dword v5, v[4:5], off
	v_lshl_add_u64 v[8:9], v[56:57], 0, v[22:23]
	global_load_dword v4, v[10:11], off
	;; [unrolled: 2-line block ×5, first 2 shown]
	s_waitcnt vmcnt(6)
	ds_bpermute_b32 v90, v89, v6
	global_load_dword v8, v[10:11], off
	v_lshl_add_u64 v[10:11], v[30:31], 0, v[22:23]
	global_load_dword v15, v[10:11], off
	v_lshl_add_u64 v[10:11], v[44:45], 0, v[22:23]
	;; [unrolled: 2-line block ×10, first 2 shown]
	global_load_dword v11, v[10:11], off
	ds_bpermute_b32 v92, v89, v6 offset:4
	s_waitcnt vmcnt(16)
	ds_bpermute_b32 v10, v89, v7
	ds_bpermute_b32 v94, v89, v6 offset:8
	ds_bpermute_b32 v96, v89, v6 offset:12
	;; [unrolled: 1-line block ×13, first 2 shown]
	s_waitcnt vmcnt(14) lgkmcnt(14)
	v_sub_f32_e32 v4, v4, v92
	s_waitcnt vmcnt(13)
	v_sub_f32_e32 v2, v2, v90
	v_mul_f32_e32 v2, v5, v2
	s_waitcnt vmcnt(10) lgkmcnt(12)
	v_sub_f32_e32 v8, v8, v94
	v_mul_f32_e32 v90, v13, v8
	s_waitcnt vmcnt(8) lgkmcnt(11)
	v_sub_f32_e32 v12, v12, v96
	v_mul_f32_e32 v92, v15, v12
	s_waitcnt vmcnt(7) lgkmcnt(10)
	v_sub_f32_e32 v14, v14, v98
	s_waitcnt lgkmcnt(5)
	v_mul_f32_e32 v12, v90, v93
	s_waitcnt vmcnt(6)
	v_sub_f32_e32 v16, v16, v100
	s_waitcnt vmcnt(5)
	v_sub_f32_e32 v18, v18, v102
	;; [unrolled: 2-line block ×3, first 2 shown]
	v_mul_f32_e32 v86, v9, v4
	v_mul_f32_e32 v4, v2, v10
	;; [unrolled: 1-line block ×3, first 2 shown]
	v_pk_add_f32 v[4:5], v[26:27], v[4:5]
	s_waitcnt vmcnt(3)
	v_mul_f32_e32 v94, v17, v14
	v_pk_add_f32 v[4:5], v[4:5], v[8:9]
	s_waitcnt lgkmcnt(4)
	v_mul_f32_e32 v14, v92, v95
	v_pk_add_f32 v[4:5], v[4:5], v[12:13]
	s_waitcnt vmcnt(2)
	v_mul_f32_e32 v96, v19, v16
	s_waitcnt lgkmcnt(3)
	v_mul_f32_e32 v16, v94, v97
	v_pk_add_f32 v[4:5], v[4:5], v[14:15]
	s_waitcnt vmcnt(1)
	v_mul_f32_e32 v98, v87, v18
	;; [unrolled: 5-line block ×3, first 2 shown]
	s_waitcnt lgkmcnt(1)
	v_mul_f32_e32 v86, v98, v101
	v_pk_add_f32 v[4:5], v[4:5], v[18:19]
	s_waitcnt lgkmcnt(0)
	v_mul_f32_e32 v10, v6, v7
	v_pk_add_f32 v[4:5], v[4:5], v[86:87]
.LBB67_54:                              ;   in Loop: Header=BB67_55 Depth=1
	s_add_u32 s28, s28, s3
	v_pk_add_f32 v[26:27], v[4:5], v[10:11]
	s_addc_u32 s29, s29, 0
	v_mov_b64_e32 v[4:5], s[8:9]
	s_add_u32 s6, s6, s3
	v_cmp_ge_i64_e32 vcc, s[28:29], v[4:5]
	s_addc_u32 s7, s7, 0
	v_lshl_add_u64 v[24:25], v[24:25], 0, s[30:31]
	v_lshl_add_u64 v[28:29], v[28:29], 0, s[30:31]
	;; [unrolled: 1-line block ×30, first 2 shown]
	s_cbranch_vccnz .LBB67_81
.LBB67_55:                              ; =>This Inner Loop Header: Depth=1
	v_mov_b64_e32 v[4:5], s[8:9]
	v_cmp_ge_i64_e32 vcc, s[6:7], v[4:5]
	v_lshl_add_u64 v[86:87], v[20:21], 0, s[6:7]
	s_cbranch_vccz .LBB67_77
; %bb.56:                               ;   in Loop: Header=BB67_55 Depth=1
	s_load_dword s17, s[4:5], 0xc
	v_mov_b32_e32 v90, 0
	v_mov_b32_e32 v91, 0
	s_waitcnt lgkmcnt(0)
	s_and_b32 s17, s17, 0xffff
	v_mad_u32_u24 v2, v88, s17, v1
	v_and_b32_e32 v2, 63, v2
	v_cmp_gt_u32_e32 vcc, 8, v2
	s_and_saveexec_b64 s[18:19], vcc
	s_cbranch_execz .LBB67_60
; %bb.57:                               ;   in Loop: Header=BB67_55 Depth=1
	v_lshl_add_u64 v[4:5], v[86:87], 0, v[2:3]
	v_lshl_add_u64 v[4:5], v[4:5], 0, s[12:13]
	v_cmp_gt_i64_e32 vcc, s[8:9], v[4:5]
	v_mov_b32_e32 v91, 0
	v_mov_b32_e32 v90, 0
	s_and_saveexec_b64 s[20:21], vcc
	s_cbranch_execz .LBB67_59
; %bb.58:                               ;   in Loop: Header=BB67_55 Depth=1
	v_lshlrev_b64 v[4:5], 2, v[4:5]
	v_lshl_add_u64 v[6:7], s[26:27], 0, v[4:5]
	v_lshl_add_u64 v[4:5], s[24:25], 0, v[4:5]
	global_load_dword v91, v[4:5], off
	global_load_dword v90, v[6:7], off
.LBB67_59:                              ;   in Loop: Header=BB67_55 Depth=1
	s_or_b64 exec, exec, s[20:21]
.LBB67_60:                              ;   in Loop: Header=BB67_55 Depth=1
	s_or_b64 exec, exec, s[18:19]
	s_mov_b32 s17, s16
	v_lshl_add_u64 v[4:5], v[86:87], 0, s[12:13]
	s_mov_b32 s18, s16
	s_mov_b32 s19, s16
	s_mov_b32 s20, s16
	s_mov_b32 s21, s16
	s_mov_b32 s22, s16
	s_mov_b32 s23, s16
	v_mov_b64_e32 v[12:13], s[16:17]
	v_cmp_gt_i64_e32 vcc, s[8:9], v[4:5]
	v_mov_b64_e32 v[14:15], s[18:19]
	v_mov_b64_e32 v[16:17], s[20:21]
	;; [unrolled: 1-line block ×7, first 2 shown]
	s_and_saveexec_b64 s[18:19], vcc
	s_cbranch_execz .LBB67_62
; %bb.61:                               ;   in Loop: Header=BB67_55 Depth=1
	v_lshl_add_u64 v[4:5], v[54:55], 0, v[22:23]
	global_load_dword v2, v[4:5], off
	v_lshl_add_u64 v[4:5], v[56:57], 0, v[22:23]
	global_load_dword v12, v[4:5], off
	v_mov_b32_e32 v4, v3
	v_mov_b32_e32 v5, v3
	;; [unrolled: 1-line block ×6, first 2 shown]
	s_waitcnt vmcnt(1)
	v_mov_b64_e32 v[10:11], v[8:9]
	v_mov_b32_e32 v13, v3
	v_mov_b32_e32 v14, v3
	;; [unrolled: 1-line block ×7, first 2 shown]
	v_mov_b64_e32 v[8:9], v[6:7]
	v_mov_b64_e32 v[6:7], v[4:5]
	;; [unrolled: 1-line block ×3, first 2 shown]
.LBB67_62:                              ;   in Loop: Header=BB67_55 Depth=1
	s_or_b64 exec, exec, s[18:19]
	v_lshl_add_u64 v[92:93], v[86:87], 0, s[14:15]
	v_cmp_gt_i64_e32 vcc, s[8:9], v[92:93]
	s_and_saveexec_b64 s[18:19], vcc
	s_cbranch_execz .LBB67_64
; %bb.63:                               ;   in Loop: Header=BB67_55 Depth=1
	v_lshl_add_u64 v[92:93], v[82:83], 0, v[22:23]
	global_load_dword v5, v[92:93], off
	v_lshl_add_u64 v[92:93], v[84:85], 0, v[22:23]
	global_load_dword v13, v[92:93], off
.LBB67_64:                              ;   in Loop: Header=BB67_55 Depth=1
	s_or_b64 exec, exec, s[18:19]
	v_lshl_add_u64 v[92:93], v[86:87], 0, s[34:35]
	v_cmp_gt_i64_e32 vcc, s[8:9], v[92:93]
	s_and_saveexec_b64 s[18:19], vcc
	s_cbranch_execz .LBB67_66
; %bb.65:                               ;   in Loop: Header=BB67_55 Depth=1
	v_lshl_add_u64 v[92:93], v[78:79], 0, v[22:23]
	global_load_dword v6, v[92:93], off
	v_lshl_add_u64 v[92:93], v[80:81], 0, v[22:23]
	global_load_dword v14, v[92:93], off
.LBB67_66:                              ;   in Loop: Header=BB67_55 Depth=1
	;; [unrolled: 11-line block ×7, first 2 shown]
	s_or_b64 exec, exec, s[18:19]
	s_waitcnt vmcnt(1)
	ds_bpermute_b32 v2, v89, v91
	ds_bpermute_b32 v92, v89, v91 offset:4
	s_waitcnt vmcnt(0)
	ds_bpermute_b32 v93, v89, v90
	ds_bpermute_b32 v94, v89, v90 offset:4
	v_mov_b32_e32 v95, v7
	s_waitcnt lgkmcnt(3)
	v_sub_f32_e32 v2, v12, v2
	v_mul_f32_e32 v2, v4, v2
	s_waitcnt lgkmcnt(2)
	v_sub_f32_e32 v13, v13, v92
	s_waitcnt lgkmcnt(1)
	v_mul_f32_e32 v12, v2, v93
	ds_bpermute_b32 v2, v89, v91 offset:8
	v_mul_f32_e32 v13, v5, v13
	s_waitcnt lgkmcnt(1)
	v_mul_f32_e32 v92, v13, v94
	ds_bpermute_b32 v13, v89, v90 offset:8
	ds_bpermute_b32 v93, v89, v91 offset:12
	;; [unrolled: 1-line block ×3, first 2 shown]
	s_waitcnt lgkmcnt(3)
	v_sub_f32_e32 v2, v14, v2
	v_mul_f32_e32 v2, v6, v2
	s_waitcnt lgkmcnt(2)
	v_mul_f32_e32 v14, v2, v13
	s_waitcnt lgkmcnt(1)
	v_sub_f32_e32 v2, v15, v93
	ds_bpermute_b32 v13, v89, v91 offset:16
	v_mul_f32_e32 v2, v7, v2
	s_waitcnt lgkmcnt(1)
	v_mul_f32_e32 v94, v2, v94
	ds_bpermute_b32 v2, v89, v90 offset:16
	ds_bpermute_b32 v15, v89, v91 offset:20
	;; [unrolled: 1-line block ×3, first 2 shown]
	s_waitcnt lgkmcnt(3)
	v_sub_f32_e32 v13, v16, v13
	v_mul_f32_e32 v13, v8, v13
	s_waitcnt lgkmcnt(2)
	v_mul_f32_e32 v16, v13, v2
	s_waitcnt lgkmcnt(1)
	v_sub_f32_e32 v2, v17, v15
	v_mul_f32_e32 v2, v9, v2
	s_waitcnt lgkmcnt(0)
	v_mul_f32_e32 v96, v2, v93
	ds_bpermute_b32 v2, v89, v91 offset:24
	v_mov_b32_e32 v15, v6
	ds_bpermute_b32 v6, v89, v90 offset:24
	v_mov_b32_e32 v13, v4
	v_pk_add_f32 v[12:13], v[26:27], v[12:13]
	v_mov_b32_e32 v93, v5
	v_pk_add_f32 v[4:5], v[92:93], v[12:13]
	v_mov_b32_e32 v17, v8
	s_waitcnt lgkmcnt(1)
	v_sub_f32_e32 v2, v18, v2
	ds_bpermute_b32 v8, v89, v91 offset:28
	v_pk_add_f32 v[4:5], v[14:15], v[4:5]
	v_mul_f32_e32 v2, v10, v2
	v_pk_add_f32 v[4:5], v[94:95], v[4:5]
	s_waitcnt lgkmcnt(1)
	v_mul_f32_e32 v6, v2, v6
	ds_bpermute_b32 v2, v89, v90 offset:28
	v_pk_add_f32 v[4:5], v[16:17], v[4:5]
	v_mov_b32_e32 v97, v9
	v_pk_add_f32 v[4:5], v[96:97], v[4:5]
	v_mov_b32_e32 v7, v10
	v_pk_add_f32 v[4:5], v[6:7], v[4:5]
	s_waitcnt lgkmcnt(1)
	v_sub_f32_e32 v6, v19, v8
	v_mul_f32_e32 v6, v11, v6
	s_waitcnt lgkmcnt(0)
	v_mul_f32_e32 v10, v6, v2
	s_branch .LBB67_54
.LBB67_77:                              ;   in Loop: Header=BB67_55 Depth=1
                                        ; implicit-def: $vgpr4_vgpr5
                                        ; implicit-def: $vgpr10_vgpr11
	s_cbranch_execz .LBB67_54
; %bb.78:                               ;   in Loop: Header=BB67_55 Depth=1
	s_load_dword s17, s[4:5], 0x0
	v_mov_b32_e32 v7, 0
	v_mov_b32_e32 v6, 0
	s_waitcnt lgkmcnt(0)
	s_cmp_lt_u32 s2, s17
	s_cselect_b32 s17, 12, 18
	s_add_u32 s18, s4, s17
	s_addc_u32 s19, s5, 0
	global_load_ushort v2, v3, s[18:19]
	s_waitcnt vmcnt(0)
	v_mad_u32_u24 v2, v88, v2, v1
	v_and_b32_e32 v2, 63, v2
	v_cmp_gt_u32_e32 vcc, 8, v2
	s_and_saveexec_b64 s[18:19], vcc
	s_cbranch_execz .LBB67_53
; %bb.79:                               ;   in Loop: Header=BB67_55 Depth=1
	v_lshl_add_u64 v[4:5], v[86:87], 0, v[2:3]
	v_lshl_add_u64 v[4:5], v[4:5], 0, s[12:13]
	v_cmp_gt_i64_e32 vcc, s[8:9], v[4:5]
	v_mov_b32_e32 v6, 0
	v_mov_b32_e32 v7, 0
	s_and_saveexec_b64 s[20:21], vcc
	s_cbranch_execz .LBB67_52
; %bb.80:                               ;   in Loop: Header=BB67_55 Depth=1
	v_lshlrev_b64 v[4:5], 2, v[4:5]
	v_lshl_add_u64 v[8:9], s[26:27], 0, v[4:5]
	v_lshl_add_u64 v[4:5], s[24:25], 0, v[4:5]
	global_load_dword v6, v[4:5], off
	global_load_dword v7, v[8:9], off
	s_branch .LBB67_52
.LBB67_81:
	v_and_b32_e32 v2, 0x3ff, v0
	v_bfe_u32 v0, v0, 10, 10
	v_mad_u32_u24 v1, v0, 33, v2
	v_lshl_add_u32 v3, v1, 2, 0
	v_sub_u32_e32 v1, v1, v0
	s_movk_i32 s4, 0x800
	s_mov_b32 s3, 0
	v_cmp_gt_u32_e32 vcc, s4, v1
	ds_write_b32 v3, v26
	ds_write_b32 v3, v27 offset:2112
	s_waitcnt lgkmcnt(0)
	s_barrier
	s_and_saveexec_b64 s[4:5], vcc
	s_cbranch_execz .LBB67_91
; %bb.82:
	v_mbcnt_lo_u32_b32 v3, -1, 0
	v_mbcnt_hi_u32_b32 v3, -1, v3
	v_and_b32_e32 v4, 64, v3
	v_add_u32_e32 v4, 64, v4
	v_cmp_eq_u32_e64 s[4:5], 0, v2
	v_xor_b32_e32 v2, 8, v3
	v_cmp_lt_i32_e32 vcc, v2, v4
	s_load_dwordx4 s[16:19], s[0:1], 0x30
	s_lshl_b64 s[8:9], s[2:3], 5
	v_cndmask_b32_e32 v2, v3, v2, vcc
	v_lshlrev_b32_e32 v8, 2, v2
	v_xor_b32_e32 v2, 4, v3
	v_cmp_lt_i32_e32 vcc, v2, v4
	v_lshrrev_b32_e32 v0, 6, v1
	v_and_b32_e32 v6, 63, v1
	v_cndmask_b32_e32 v2, v3, v2, vcc
	v_lshlrev_b32_e32 v9, 2, v2
	v_xor_b32_e32 v2, 2, v3
	v_cmp_lt_i32_e32 vcc, v2, v4
	s_waitcnt lgkmcnt(0)
	s_cmp_lg_u64 s[16:17], 0
	v_cmp_gt_u32_e64 s[0:1], 16, v6
	v_cndmask_b32_e32 v2, v3, v2, vcc
	v_lshlrev_b32_e32 v10, 2, v2
	v_xor_b32_e32 v2, 1, v3
	v_cmp_lt_i32_e32 vcc, v2, v4
	v_mov_b32_e32 v1, 0
	s_cselect_b64 s[6:7], -1, 0
	s_cmp_lg_u64 s[18:19], 0
	v_cndmask_b32_e32 v2, v3, v2, vcc
	v_mad_u32_u24 v6, v6, 33, v0
	s_cselect_b64 s[14:15], -1, 0
	v_lshlrev_b32_e32 v11, 2, v2
	s_lshl_b64 s[2:3], s[2:3], 7
	v_lshlrev_b32_e32 v2, 2, v0
	v_mov_b32_e32 v3, v1
	v_lshl_add_u32 v12, v6, 2, 0
	v_cndmask_b32_e64 v6, 0, 1, s[6:7]
	v_lshl_add_u64 v[4:5], s[2:3], 0, v[2:3]
	v_cmp_ne_u32_e64 s[2:3], 1, v6
	v_cndmask_b32_e64 v6, 0, 1, s[14:15]
	s_mov_b64 s[12:13], 0
	v_lshl_add_u64 v[2:3], s[18:19], 0, v[4:5]
	v_lshl_add_u64 v[4:5], s[16:17], 0, v[4:5]
	v_cmp_ne_u32_e64 s[6:7], 1, v6
                                        ; implicit-def: $vgpr6
	s_branch .LBB67_84
.LBB67_83:                              ;   in Loop: Header=BB67_84 Depth=1
	s_or_b64 exec, exec, s[14:15]
	v_lshl_add_u64 v[0:1], v[0:1], 0, 8
	v_add_u32_e32 v13, -8, v0
	v_cmp_lt_u32_e32 vcc, 23, v13
	v_lshl_add_u64 v[2:3], v[2:3], 0, 32
	v_lshl_add_u64 v[4:5], v[4:5], 0, 32
	s_or_b64 s[12:13], vcc, s[12:13]
	v_add_u32_e32 v12, 32, v12
	s_andn2_b64 exec, exec, s[12:13]
	s_cbranch_execz .LBB67_91
.LBB67_84:                              ; =>This Inner Loop Header: Depth=1
	s_and_saveexec_b64 s[14:15], s[0:1]
	s_cbranch_execz .LBB67_86
; %bb.85:                               ;   in Loop: Header=BB67_84 Depth=1
	ds_read_b32 v7, v12
	ds_read_b32 v6, v12 offset:2112
.LBB67_86:                              ;   in Loop: Header=BB67_84 Depth=1
	s_or_b64 exec, exec, s[14:15]
	s_waitcnt lgkmcnt(1)
	ds_bpermute_b32 v15, v8, v7
	s_waitcnt lgkmcnt(1)
	ds_bpermute_b32 v14, v8, v6
	v_lshl_add_u64 v[16:17], s[8:9], 0, v[0:1]
	v_cmp_gt_i64_e32 vcc, s[10:11], v[16:17]
	s_and_b64 s[16:17], s[4:5], vcc
	s_waitcnt lgkmcnt(0)
	v_pk_add_f32 v[6:7], v[6:7], v[14:15]
	ds_bpermute_b32 v15, v9, v7
	ds_bpermute_b32 v14, v9, v6
	s_waitcnt lgkmcnt(0)
	v_pk_add_f32 v[6:7], v[6:7], v[14:15]
	ds_bpermute_b32 v15, v10, v7
	ds_bpermute_b32 v14, v10, v6
	;; [unrolled: 4-line block ×3, first 2 shown]
	s_waitcnt lgkmcnt(0)
	v_pk_add_f32 v[6:7], v[6:7], v[14:15]
	s_and_saveexec_b64 s[14:15], s[16:17]
	s_cbranch_execz .LBB67_83
; %bb.87:                               ;   in Loop: Header=BB67_84 Depth=1
	s_and_b64 vcc, exec, s[2:3]
	s_cbranch_vccnz .LBB67_89
; %bb.88:                               ;   in Loop: Header=BB67_84 Depth=1
	global_store_dword v[4:5], v7, off
.LBB67_89:                              ;   in Loop: Header=BB67_84 Depth=1
	s_and_b64 vcc, exec, s[6:7]
	s_cbranch_vccnz .LBB67_83
; %bb.90:                               ;   in Loop: Header=BB67_84 Depth=1
	global_store_dword v[2:3], v6, off
	s_branch .LBB67_83
.LBB67_91:
	s_endpgm
	.section	.rodata,"a",@progbits
	.p2align	6, 0x0
	.amdhsa_kernel _ZN2at6native12_GLOBAL__N_135GammaBetaBackwardCUDAKernelTemplateIffLj32ELj16ELj128ELb0ELb0ELb0EEEvllPKT_S5_PKT0_S8_PS3_S9_
		.amdhsa_group_segment_fixed_size 0
		.amdhsa_private_segment_fixed_size 0
		.amdhsa_kernarg_size 320
		.amdhsa_user_sgpr_count 2
		.amdhsa_user_sgpr_dispatch_ptr 0
		.amdhsa_user_sgpr_queue_ptr 0
		.amdhsa_user_sgpr_kernarg_segment_ptr 1
		.amdhsa_user_sgpr_dispatch_id 0
		.amdhsa_user_sgpr_kernarg_preload_length 0
		.amdhsa_user_sgpr_kernarg_preload_offset 0
		.amdhsa_user_sgpr_private_segment_size 0
		.amdhsa_uses_dynamic_stack 0
		.amdhsa_enable_private_segment 0
		.amdhsa_system_sgpr_workgroup_id_x 1
		.amdhsa_system_sgpr_workgroup_id_y 1
		.amdhsa_system_sgpr_workgroup_id_z 0
		.amdhsa_system_sgpr_workgroup_info 0
		.amdhsa_system_vgpr_workitem_id 1
		.amdhsa_next_free_vgpr 103
		.amdhsa_next_free_sgpr 58
		.amdhsa_accum_offset 104
		.amdhsa_reserve_vcc 1
		.amdhsa_float_round_mode_32 0
		.amdhsa_float_round_mode_16_64 0
		.amdhsa_float_denorm_mode_32 3
		.amdhsa_float_denorm_mode_16_64 3
		.amdhsa_dx10_clamp 1
		.amdhsa_ieee_mode 1
		.amdhsa_fp16_overflow 0
		.amdhsa_tg_split 0
		.amdhsa_exception_fp_ieee_invalid_op 0
		.amdhsa_exception_fp_denorm_src 0
		.amdhsa_exception_fp_ieee_div_zero 0
		.amdhsa_exception_fp_ieee_overflow 0
		.amdhsa_exception_fp_ieee_underflow 0
		.amdhsa_exception_fp_ieee_inexact 0
		.amdhsa_exception_int_div_zero 0
	.end_amdhsa_kernel
	.section	.text._ZN2at6native12_GLOBAL__N_135GammaBetaBackwardCUDAKernelTemplateIffLj32ELj16ELj128ELb0ELb0ELb0EEEvllPKT_S5_PKT0_S8_PS3_S9_,"axG",@progbits,_ZN2at6native12_GLOBAL__N_135GammaBetaBackwardCUDAKernelTemplateIffLj32ELj16ELj128ELb0ELb0ELb0EEEvllPKT_S5_PKT0_S8_PS3_S9_,comdat
.Lfunc_end67:
	.size	_ZN2at6native12_GLOBAL__N_135GammaBetaBackwardCUDAKernelTemplateIffLj32ELj16ELj128ELb0ELb0ELb0EEEvllPKT_S5_PKT0_S8_PS3_S9_, .Lfunc_end67-_ZN2at6native12_GLOBAL__N_135GammaBetaBackwardCUDAKernelTemplateIffLj32ELj16ELj128ELb0ELb0ELb0EEEvllPKT_S5_PKT0_S8_PS3_S9_
                                        ; -- End function
	.section	.AMDGPU.csdata,"",@progbits
; Kernel info:
; codeLenInByte = 7100
; NumSgprs: 64
; NumVgprs: 103
; NumAgprs: 0
; TotalNumVgprs: 103
; ScratchSize: 0
; MemoryBound: 0
; FloatMode: 240
; IeeeMode: 1
; LDSByteSize: 0 bytes/workgroup (compile time only)
; SGPRBlocks: 7
; VGPRBlocks: 12
; NumSGPRsForWavesPerEU: 64
; NumVGPRsForWavesPerEU: 103
; AccumOffset: 104
; Occupancy: 4
; WaveLimiterHint : 0
; COMPUTE_PGM_RSRC2:SCRATCH_EN: 0
; COMPUTE_PGM_RSRC2:USER_SGPR: 2
; COMPUTE_PGM_RSRC2:TRAP_HANDLER: 0
; COMPUTE_PGM_RSRC2:TGID_X_EN: 1
; COMPUTE_PGM_RSRC2:TGID_Y_EN: 1
; COMPUTE_PGM_RSRC2:TGID_Z_EN: 0
; COMPUTE_PGM_RSRC2:TIDIG_COMP_CNT: 1
; COMPUTE_PGM_RSRC3_GFX90A:ACCUM_OFFSET: 25
; COMPUTE_PGM_RSRC3_GFX90A:TG_SPLIT: 0
	.section	.text._ZN2at6native12_GLOBAL__N_135GammaBetaBackwardCUDAKernelTemplateIffLj32ELj32ELj256ELb0ELb1ELb0EEEvllPKT_S5_PKT0_S8_PS3_S9_,"axG",@progbits,_ZN2at6native12_GLOBAL__N_135GammaBetaBackwardCUDAKernelTemplateIffLj32ELj32ELj256ELb0ELb1ELb0EEEvllPKT_S5_PKT0_S8_PS3_S9_,comdat
	.globl	_ZN2at6native12_GLOBAL__N_135GammaBetaBackwardCUDAKernelTemplateIffLj32ELj32ELj256ELb0ELb1ELb0EEEvllPKT_S5_PKT0_S8_PS3_S9_ ; -- Begin function _ZN2at6native12_GLOBAL__N_135GammaBetaBackwardCUDAKernelTemplateIffLj32ELj32ELj256ELb0ELb1ELb0EEEvllPKT_S5_PKT0_S8_PS3_S9_
	.p2align	8
	.type	_ZN2at6native12_GLOBAL__N_135GammaBetaBackwardCUDAKernelTemplateIffLj32ELj32ELj256ELb0ELb1ELb0EEEvllPKT_S5_PKT0_S8_PS3_S9_,@function
_ZN2at6native12_GLOBAL__N_135GammaBetaBackwardCUDAKernelTemplateIffLj32ELj32ELj256ELb0ELb1ELb0EEEvllPKT_S5_PKT0_S8_PS3_S9_: ; @_ZN2at6native12_GLOBAL__N_135GammaBetaBackwardCUDAKernelTemplateIffLj32ELj32ELj256ELb0ELb1ELb0EEEvllPKT_S5_PKT0_S8_PS3_S9_
; %bb.0:
	s_load_dwordx4 s[16:19], s[0:1], 0x0
	s_lshl_b32 s6, s3, 8
	s_mov_b32 s7, 0
	v_bfe_u32 v12, v0, 10, 10
	s_waitcnt lgkmcnt(0)
	v_mov_b64_e32 v[2:3], s[16:17]
	v_cmp_lt_i64_e32 vcc, s[6:7], v[2:3]
	s_cbranch_vccnz .LBB68_2
; %bb.1:
	s_mov_b64 s[4:5], 0
	v_bfe_u32 v2, v0, 10, 10
	s_branch .LBB68_3
.LBB68_2:
	s_mov_b64 s[4:5], -1
                                        ; implicit-def: $vgpr2
.LBB68_3:
	v_and_b32_e32 v10, 0x3ff, v0
	s_andn2_b64 vcc, exec, s[4:5]
	v_mov_b32_e32 v1, s7
	v_mbcnt_lo_u32_b32 v11, -1, 0
	v_mov_b32_e32 v0, s7
	s_cbranch_vccnz .LBB68_11
; %bb.4:
	s_load_dword s3, s[0:1], 0x4c
	s_load_dword s20, s[0:1], 0x44
	s_load_dwordx8 s[8:15], s[0:1], 0x10
	v_lshlrev_b32_e32 v0, 3, v12
	v_mbcnt_hi_u32_b32 v4, -1, v11
	s_waitcnt lgkmcnt(0)
	s_and_b32 s3, s3, 0xffff
	v_mad_u32_u24 v1, v12, s3, v10
	v_and_b32_e32 v2, 63, v1
	v_mov_b32_e32 v1, 0
	v_mov_b32_e32 v3, v1
	v_lshl_add_u64 v[8:9], v[0:1], 0, s[6:7]
	v_cmp_gt_u32_e64 s[4:5], 8, v2
	s_lshl_b32 s20, s20, 8
	v_lshl_add_u64 v[2:3], v[8:9], 0, v[2:3]
	v_mul_lo_u32 v0, s19, v8
	v_mul_lo_u32 v21, s18, v9
	v_mad_u64_u32 v[8:9], s[24:25], s18, v8, 0
	v_lshl_add_u32 v6, s2, 5, v10
	v_mov_b32_e32 v7, v1
	v_lshlrev_b32_e32 v4, 2, v4
	s_mul_i32 s3, s19, s20
	s_mul_hi_u32 s24, s18, s20
	s_mov_b32 s21, 0
	v_and_b32_e32 v13, 0x100, v4
	v_add3_u32 v9, v9, v21, v0
	v_lshlrev_b64 v[6:7], 2, v[6:7]
	s_add_i32 s25, s24, s3
	s_mul_i32 s24, s18, s20
	v_or_b32_e32 v14, 4, v13
	v_or_b32_e32 v15, 8, v13
	;; [unrolled: 1-line block ×7, first 2 shown]
	v_lshlrev_b64 v[4:5], 2, v[2:3]
	s_lshl_b64 s[22:23], s[20:21], 2
	v_lshl_add_u64 v[6:7], v[8:9], 2, v[6:7]
	s_lshl_b64 s[24:25], s[24:25], 2
	s_lshl_b64 s[18:19], s[18:19], 2
	v_mov_b64_e32 v[8:9], s[16:17]
	v_mov_b32_e32 v0, v1
	s_branch .LBB68_7
.LBB68_5:                               ;   in Loop: Header=BB68_7 Depth=1
	s_or_b64 exec, exec, s[28:29]
.LBB68_6:                               ;   in Loop: Header=BB68_7 Depth=1
	s_or_b64 exec, exec, s[26:27]
	v_lshl_add_u64 v[26:27], s[10:11], 0, v[6:7]
	v_lshl_add_u64 v[24:25], s[8:9], 0, v[6:7]
	global_load_dword v28, v[26:27], off
	v_lshl_add_u64 v[26:27], v[26:27], 0, s[18:19]
	global_load_dword v23, v[24:25], off
	;; [unrolled: 2-line block ×5, first 2 shown]
	global_load_dword v31, v[24:25], off
	v_lshl_add_u64 v[26:27], v[26:27], 0, s[18:19]
	global_load_dword v34, v[26:27], off
	v_lshl_add_u64 v[24:25], v[24:25], 0, s[18:19]
	v_lshl_add_u64 v[26:27], v[26:27], 0, s[18:19]
	global_load_dword v33, v[24:25], off
	global_load_dword v36, v[26:27], off
	v_lshl_add_u64 v[24:25], v[24:25], 0, s[18:19]
	v_lshl_add_u64 v[26:27], v[26:27], 0, s[18:19]
	global_load_dword v35, v[24:25], off
	;; [unrolled: 4-line block ×4, first 2 shown]
	v_lshl_add_u64 v[24:25], v[24:25], 0, s[18:19]
	global_load_dword v26, v[26:27], off
	s_waitcnt vmcnt(16)
	ds_bpermute_b32 v27, v13, v21
	global_load_dword v25, v[24:25], off
	ds_bpermute_b32 v42, v14, v21
	s_waitcnt vmcnt(16)
	ds_bpermute_b32 v24, v13, v22
	ds_bpermute_b32 v44, v15, v21
	;; [unrolled: 1-line block ×14, first 2 shown]
	s_add_u32 s6, s6, s20
	s_addc_u32 s7, s7, 0
	v_cmp_lt_i64_e32 vcc, s[6:7], v[8:9]
	v_lshl_add_u64 v[4:5], v[4:5], 0, s[22:23]
	v_lshl_add_u64 v[2:3], v[2:3], 0, s[20:21]
	v_lshl_add_u64 v[6:7], v[6:7], 0, s[24:25]
	s_and_b64 vcc, exec, vcc
	s_waitcnt vmcnt(15) lgkmcnt(14)
	v_sub_f32_e32 v22, v28, v27
	s_waitcnt vmcnt(14)
	v_mul_f32_e32 v22, v23, v22
	s_waitcnt lgkmcnt(13)
	v_mul_f32_e32 v22, v22, v24
	s_waitcnt vmcnt(13)
	v_sub_f32_e32 v27, v30, v42
	v_pk_add_f32 v[0:1], v[0:1], v[22:23]
	s_waitcnt vmcnt(12)
	v_mul_f32_e32 v24, v29, v27
	s_waitcnt vmcnt(11) lgkmcnt(12)
	v_sub_f32_e32 v27, v32, v44
	s_waitcnt lgkmcnt(11)
	v_mul_f32_e32 v28, v24, v41
	s_waitcnt vmcnt(10)
	v_mul_f32_e32 v24, v31, v27
	s_waitcnt vmcnt(9) lgkmcnt(10)
	v_sub_f32_e32 v27, v34, v46
	s_waitcnt lgkmcnt(9)
	v_mul_f32_e32 v30, v24, v43
	v_pk_add_f32 v[0:1], v[0:1], v[28:29]
	s_waitcnt vmcnt(8)
	v_mul_f32_e32 v22, v33, v27
	s_waitcnt vmcnt(7) lgkmcnt(8)
	v_sub_f32_e32 v23, v36, v48
	s_waitcnt lgkmcnt(7)
	v_mul_f32_e32 v32, v22, v45
	v_pk_add_f32 v[0:1], v[0:1], v[30:31]
	s_waitcnt vmcnt(6)
	v_mul_f32_e32 v22, v35, v23
	s_waitcnt vmcnt(5) lgkmcnt(4)
	v_sub_f32_e32 v23, v38, v50
	v_mul_f32_e32 v34, v22, v47
	v_pk_add_f32 v[0:1], v[0:1], v[32:33]
	s_waitcnt vmcnt(4)
	v_mul_f32_e32 v22, v37, v23
	s_waitcnt vmcnt(3) lgkmcnt(1)
	v_sub_f32_e32 v23, v40, v52
	v_mul_f32_e32 v36, v22, v49
	v_pk_add_f32 v[0:1], v[0:1], v[34:35]
	s_waitcnt vmcnt(2)
	v_mul_f32_e32 v22, v39, v23
	v_mul_f32_e32 v38, v22, v51
	s_waitcnt vmcnt(1) lgkmcnt(0)
	v_sub_f32_e32 v21, v26, v21
	v_pk_add_f32 v[0:1], v[0:1], v[36:37]
	s_waitcnt vmcnt(0)
	v_mul_f32_e32 v21, v25, v21
	v_pk_add_f32 v[0:1], v[0:1], v[38:39]
	v_mul_f32_e32 v24, v21, v53
	v_pk_add_f32 v[0:1], v[0:1], v[24:25]
	s_cbranch_vccz .LBB68_10
.LBB68_7:                               ; =>This Inner Loop Header: Depth=1
	v_mov_b32_e32 v22, 0
	v_mov_b32_e32 v21, 0
	s_and_saveexec_b64 s[26:27], s[4:5]
	s_cbranch_execz .LBB68_6
; %bb.8:                                ;   in Loop: Header=BB68_7 Depth=1
	v_cmp_gt_i64_e32 vcc, s[16:17], v[2:3]
	v_mov_b32_e32 v21, 0
	v_mov_b32_e32 v22, 0
	s_and_saveexec_b64 s[28:29], vcc
	s_cbranch_execz .LBB68_5
; %bb.9:                                ;   in Loop: Header=BB68_7 Depth=1
	v_lshl_add_u64 v[26:27], s[12:13], 0, v[4:5]
	v_lshl_add_u64 v[24:25], s[14:15], 0, v[4:5]
	global_load_dword v21, v[26:27], off
	global_load_dword v22, v[24:25], off
	s_branch .LBB68_5
.LBB68_10:
	v_mov_b32_e32 v2, v12
.LBB68_11:
	s_load_dwordx4 s[8:11], s[0:1], 0x30
	v_mad_u32_u24 v3, v2, 33, v10
	v_lshl_add_u32 v4, v3, 2, 0
	ds_write_b32 v4, v0
	ds_write_b32 v4, v1 offset:4224
	v_sub_u32_e32 v0, v3, v2
	s_movk_i32 s0, 0x800
	s_mov_b32 s3, 0
	v_cmp_gt_u32_e32 vcc, s0, v0
	s_waitcnt lgkmcnt(0)
	s_barrier
	s_and_saveexec_b64 s[0:1], vcc
	s_cbranch_execz .LBB68_21
; %bb.12:
	v_lshrrev_b32_e32 v4, 6, v0
	v_and_b32_e32 v5, 63, v0
	v_mbcnt_hi_u32_b32 v0, -1, v11
	v_and_b32_e32 v2, 64, v0
	v_add_u32_e32 v2, 64, v2
	v_xor_b32_e32 v3, 16, v0
	v_cmp_lt_i32_e32 vcc, v3, v2
	s_cmp_lg_u64 s[8:9], 0
	v_cmp_eq_u32_e64 s[4:5], 0, v10
	v_cndmask_b32_e32 v3, v0, v3, vcc
	v_lshlrev_b32_e32 v6, 2, v3
	v_xor_b32_e32 v3, 8, v0
	v_cmp_lt_i32_e32 vcc, v3, v2
	s_cselect_b64 s[6:7], -1, 0
	s_cmp_lg_u64 s[10:11], 0
	v_cndmask_b32_e32 v3, v0, v3, vcc
	v_lshlrev_b32_e32 v7, 2, v3
	v_xor_b32_e32 v3, 4, v0
	v_cmp_lt_i32_e32 vcc, v3, v2
	v_add_u32_e32 v11, -16, v4
	v_mov_b32_e32 v1, 0
	v_cndmask_b32_e32 v3, v0, v3, vcc
	v_lshlrev_b32_e32 v8, 2, v3
	v_xor_b32_e32 v3, 2, v0
	v_cmp_lt_i32_e32 vcc, v3, v2
	s_cselect_b64 s[14:15], -1, 0
	s_lshl_b64 s[2:3], s[2:3], 7
	v_cndmask_b32_e32 v3, v0, v3, vcc
	v_lshlrev_b32_e32 v9, 2, v3
	v_xor_b32_e32 v3, 1, v0
	v_cmp_lt_i32_e32 vcc, v3, v2
	v_cmp_gt_u32_e64 s[0:1], 32, v5
	s_mov_b64 s[12:13], 0
	v_cndmask_b32_e32 v0, v0, v3, vcc
	v_lshlrev_b32_e32 v10, 2, v0
	v_lshlrev_b32_e32 v0, 2, v4
	v_mad_u32_u24 v4, v5, 33, v4
	v_lshl_add_u32 v12, v4, 2, 0
	v_cndmask_b32_e64 v4, 0, 1, s[6:7]
	v_lshl_add_u64 v[2:3], s[2:3], 0, v[0:1]
	v_cmp_ne_u32_e64 s[2:3], 1, v4
	v_cndmask_b32_e64 v4, 0, 1, s[14:15]
	v_lshl_add_u64 v[0:1], s[10:11], 0, v[2:3]
	v_lshl_add_u64 v[2:3], s[8:9], 0, v[2:3]
	v_cmp_ne_u32_e64 s[6:7], 1, v4
                                        ; implicit-def: $vgpr4
	s_branch .LBB68_14
.LBB68_13:                              ;   in Loop: Header=BB68_14 Depth=1
	s_or_b64 exec, exec, s[8:9]
	v_add_co_u32_e32 v11, vcc, 16, v11
	s_xor_b64 s[8:9], vcc, -1
	s_and_b64 s[8:9], exec, s[8:9]
	v_lshl_add_u64 v[0:1], v[0:1], 0, 64
	v_lshl_add_u64 v[2:3], v[2:3], 0, 64
	s_or_b64 s[12:13], s[8:9], s[12:13]
	v_add_u32_e32 v12, 64, v12
	s_andn2_b64 exec, exec, s[12:13]
	s_cbranch_execz .LBB68_21
.LBB68_14:                              ; =>This Inner Loop Header: Depth=1
	s_and_saveexec_b64 s[8:9], s[0:1]
	s_cbranch_execz .LBB68_16
; %bb.15:                               ;   in Loop: Header=BB68_14 Depth=1
	ds_read_b32 v5, v12
	ds_read_b32 v4, v12 offset:4224
.LBB68_16:                              ;   in Loop: Header=BB68_14 Depth=1
	s_or_b64 exec, exec, s[8:9]
	s_waitcnt lgkmcnt(1)
	ds_bpermute_b32 v15, v6, v5
	s_waitcnt lgkmcnt(1)
	ds_bpermute_b32 v14, v6, v4
	s_waitcnt lgkmcnt(0)
	v_pk_add_f32 v[4:5], v[4:5], v[14:15]
	ds_bpermute_b32 v15, v7, v5
	ds_bpermute_b32 v14, v7, v4
	s_waitcnt lgkmcnt(0)
	v_pk_add_f32 v[4:5], v[4:5], v[14:15]
	ds_bpermute_b32 v15, v8, v5
	;; [unrolled: 4-line block ×4, first 2 shown]
	ds_bpermute_b32 v14, v10, v4
	s_waitcnt lgkmcnt(0)
	v_pk_add_f32 v[4:5], v[4:5], v[14:15]
	s_and_saveexec_b64 s[8:9], s[4:5]
	s_cbranch_execz .LBB68_13
; %bb.17:                               ;   in Loop: Header=BB68_14 Depth=1
	s_and_b64 vcc, exec, s[2:3]
	s_cbranch_vccnz .LBB68_19
; %bb.18:                               ;   in Loop: Header=BB68_14 Depth=1
	global_store_dword v[2:3], v5, off
.LBB68_19:                              ;   in Loop: Header=BB68_14 Depth=1
	s_and_b64 vcc, exec, s[6:7]
	s_cbranch_vccnz .LBB68_13
; %bb.20:                               ;   in Loop: Header=BB68_14 Depth=1
	global_store_dword v[0:1], v4, off
	s_branch .LBB68_13
.LBB68_21:
	s_endpgm
	.section	.rodata,"a",@progbits
	.p2align	6, 0x0
	.amdhsa_kernel _ZN2at6native12_GLOBAL__N_135GammaBetaBackwardCUDAKernelTemplateIffLj32ELj32ELj256ELb0ELb1ELb0EEEvllPKT_S5_PKT0_S8_PS3_S9_
		.amdhsa_group_segment_fixed_size 0
		.amdhsa_private_segment_fixed_size 0
		.amdhsa_kernarg_size 320
		.amdhsa_user_sgpr_count 2
		.amdhsa_user_sgpr_dispatch_ptr 0
		.amdhsa_user_sgpr_queue_ptr 0
		.amdhsa_user_sgpr_kernarg_segment_ptr 1
		.amdhsa_user_sgpr_dispatch_id 0
		.amdhsa_user_sgpr_kernarg_preload_length 0
		.amdhsa_user_sgpr_kernarg_preload_offset 0
		.amdhsa_user_sgpr_private_segment_size 0
		.amdhsa_uses_dynamic_stack 0
		.amdhsa_enable_private_segment 0
		.amdhsa_system_sgpr_workgroup_id_x 1
		.amdhsa_system_sgpr_workgroup_id_y 1
		.amdhsa_system_sgpr_workgroup_id_z 0
		.amdhsa_system_sgpr_workgroup_info 0
		.amdhsa_system_vgpr_workitem_id 1
		.amdhsa_next_free_vgpr 54
		.amdhsa_next_free_sgpr 30
		.amdhsa_accum_offset 56
		.amdhsa_reserve_vcc 1
		.amdhsa_float_round_mode_32 0
		.amdhsa_float_round_mode_16_64 0
		.amdhsa_float_denorm_mode_32 3
		.amdhsa_float_denorm_mode_16_64 3
		.amdhsa_dx10_clamp 1
		.amdhsa_ieee_mode 1
		.amdhsa_fp16_overflow 0
		.amdhsa_tg_split 0
		.amdhsa_exception_fp_ieee_invalid_op 0
		.amdhsa_exception_fp_denorm_src 0
		.amdhsa_exception_fp_ieee_div_zero 0
		.amdhsa_exception_fp_ieee_overflow 0
		.amdhsa_exception_fp_ieee_underflow 0
		.amdhsa_exception_fp_ieee_inexact 0
		.amdhsa_exception_int_div_zero 0
	.end_amdhsa_kernel
	.section	.text._ZN2at6native12_GLOBAL__N_135GammaBetaBackwardCUDAKernelTemplateIffLj32ELj32ELj256ELb0ELb1ELb0EEEvllPKT_S5_PKT0_S8_PS3_S9_,"axG",@progbits,_ZN2at6native12_GLOBAL__N_135GammaBetaBackwardCUDAKernelTemplateIffLj32ELj32ELj256ELb0ELb1ELb0EEEvllPKT_S5_PKT0_S8_PS3_S9_,comdat
.Lfunc_end68:
	.size	_ZN2at6native12_GLOBAL__N_135GammaBetaBackwardCUDAKernelTemplateIffLj32ELj32ELj256ELb0ELb1ELb0EEEvllPKT_S5_PKT0_S8_PS3_S9_, .Lfunc_end68-_ZN2at6native12_GLOBAL__N_135GammaBetaBackwardCUDAKernelTemplateIffLj32ELj32ELj256ELb0ELb1ELb0EEEvllPKT_S5_PKT0_S8_PS3_S9_
                                        ; -- End function
	.section	.AMDGPU.csdata,"",@progbits
; Kernel info:
; codeLenInByte = 1676
; NumSgprs: 36
; NumVgprs: 54
; NumAgprs: 0
; TotalNumVgprs: 54
; ScratchSize: 0
; MemoryBound: 0
; FloatMode: 240
; IeeeMode: 1
; LDSByteSize: 0 bytes/workgroup (compile time only)
; SGPRBlocks: 4
; VGPRBlocks: 6
; NumSGPRsForWavesPerEU: 36
; NumVGPRsForWavesPerEU: 54
; AccumOffset: 56
; Occupancy: 8
; WaveLimiterHint : 0
; COMPUTE_PGM_RSRC2:SCRATCH_EN: 0
; COMPUTE_PGM_RSRC2:USER_SGPR: 2
; COMPUTE_PGM_RSRC2:TRAP_HANDLER: 0
; COMPUTE_PGM_RSRC2:TGID_X_EN: 1
; COMPUTE_PGM_RSRC2:TGID_Y_EN: 1
; COMPUTE_PGM_RSRC2:TGID_Z_EN: 0
; COMPUTE_PGM_RSRC2:TIDIG_COMP_CNT: 1
; COMPUTE_PGM_RSRC3_GFX90A:ACCUM_OFFSET: 13
; COMPUTE_PGM_RSRC3_GFX90A:TG_SPLIT: 0
	.section	.text._ZN2at6native12_GLOBAL__N_135GammaBetaBackwardCUDAKernelTemplateIffLj32ELj32ELj256ELb0ELb0ELb0EEEvllPKT_S5_PKT0_S8_PS3_S9_,"axG",@progbits,_ZN2at6native12_GLOBAL__N_135GammaBetaBackwardCUDAKernelTemplateIffLj32ELj32ELj256ELb0ELb0ELb0EEEvllPKT_S5_PKT0_S8_PS3_S9_,comdat
	.globl	_ZN2at6native12_GLOBAL__N_135GammaBetaBackwardCUDAKernelTemplateIffLj32ELj32ELj256ELb0ELb0ELb0EEEvllPKT_S5_PKT0_S8_PS3_S9_ ; -- Begin function _ZN2at6native12_GLOBAL__N_135GammaBetaBackwardCUDAKernelTemplateIffLj32ELj32ELj256ELb0ELb0ELb0EEEvllPKT_S5_PKT0_S8_PS3_S9_
	.p2align	8
	.type	_ZN2at6native12_GLOBAL__N_135GammaBetaBackwardCUDAKernelTemplateIffLj32ELj32ELj256ELb0ELb0ELb0EEEvllPKT_S5_PKT0_S8_PS3_S9_,@function
_ZN2at6native12_GLOBAL__N_135GammaBetaBackwardCUDAKernelTemplateIffLj32ELj32ELj256ELb0ELb0ELb0EEEvllPKT_S5_PKT0_S8_PS3_S9_: ; @_ZN2at6native12_GLOBAL__N_135GammaBetaBackwardCUDAKernelTemplateIffLj32ELj32ELj256ELb0ELb0ELb0EEEvllPKT_S5_PKT0_S8_PS3_S9_
; %bb.0:
	s_load_dwordx8 s[8:15], s[0:1], 0x0
	s_load_dwordx4 s[24:27], s[0:1], 0x20
	s_lshl_b32 s33, s2, 5
	s_mov_b32 s16, 0
	s_or_b32 s4, s33, 31
	s_mov_b32 s5, s16
	s_waitcnt lgkmcnt(0)
	v_mov_b64_e32 v[2:3], s[10:11]
	v_cmp_ge_i64_e32 vcc, s[4:5], v[2:3]
	s_lshl_b32 s28, s3, 8
	s_mov_b32 s29, s16
	v_mov_b64_e32 v[2:3], s[8:9]
	v_cmp_lt_i64_e64 s[4:5], s[28:29], v[2:3]
	s_nop 1
	v_cndmask_b32_e64 v1, 0, 1, s[4:5]
	v_cmp_ne_u32_e64 s[4:5], 1, v1
	s_cbranch_vccz .LBB69_48
; %bb.1:
	v_mov_b32_e32 v27, 0
	s_and_b64 vcc, exec, s[4:5]
	v_mov_b32_e32 v26, v27
	s_cbranch_vccnz .LBB69_49
; %bb.2:
	v_mov_b32_e32 v3, 0
	v_bfe_u32 v66, v0, 10, 10
	s_load_dword s3, s[0:1], 0x44
	v_lshlrev_b32_e32 v28, 3, v66
	v_mov_b32_e32 v29, v3
	v_and_b32_e32 v1, 0x3ff, v0
	v_lshl_add_u64 v[4:5], v[28:29], 0, s[28:29]
	v_add_u32_e32 v2, s33, v1
	v_lshl_add_u64 v[6:7], v[4:5], 0, 7
	s_add_u32 s30, s0, 64
	v_cmp_gt_i64_e64 s[6:7], s[10:11], v[2:3]
	v_lshlrev_b64 v[30:31], 2, v[2:3]
	v_mul_lo_u32 v2, s11, v6
	v_mul_lo_u32 v8, s10, v7
	v_mad_u64_u32 v[6:7], s[18:19], s10, v6, 0
	s_addc_u32 s31, s1, 0
	s_waitcnt lgkmcnt(0)
	s_lshl_b32 s3, s3, 8
	v_add3_u32 v7, v7, v8, v2
	v_lshlrev_b64 v[6:7], 2, v[6:7]
	s_mul_i32 s17, s11, s3
	s_mul_hi_u32 s18, s10, s3
	v_lshl_add_u64 v[32:33], s[12:13], 0, v[6:7]
	s_add_i32 s19, s18, s17
	s_mul_i32 s18, s10, s3
	v_lshl_add_u64 v[34:35], s[14:15], 0, v[6:7]
	v_lshl_add_u64 v[6:7], v[4:5], 0, 6
	s_lshl_b64 s[34:35], s[18:19], 2
	v_mul_lo_u32 v2, s11, v6
	v_mul_lo_u32 v8, s10, v7
	v_mad_u64_u32 v[6:7], s[18:19], s10, v6, 0
	v_add3_u32 v7, v7, v8, v2
	v_lshlrev_b64 v[6:7], 2, v[6:7]
	v_lshl_add_u64 v[36:37], s[12:13], 0, v[6:7]
	v_lshl_add_u64 v[38:39], s[14:15], 0, v[6:7]
	v_lshl_add_u64 v[6:7], v[4:5], 0, 5
	v_mul_lo_u32 v2, s11, v6
	v_mul_lo_u32 v8, s10, v7
	v_mad_u64_u32 v[6:7], s[18:19], s10, v6, 0
	v_add3_u32 v7, v7, v8, v2
	v_lshlrev_b64 v[6:7], 2, v[6:7]
	v_lshl_add_u64 v[40:41], s[12:13], 0, v[6:7]
	v_lshl_add_u64 v[42:43], s[14:15], 0, v[6:7]
	v_lshl_add_u64 v[6:7], v[4:5], 0, 4
	;; [unrolled: 8-line block ×4, first 2 shown]
	v_mul_lo_u32 v2, s11, v6
	v_mul_lo_u32 v8, s10, v7
	v_mad_u64_u32 v[6:7], s[18:19], s10, v6, 0
	v_add3_u32 v7, v7, v8, v2
	v_lshlrev_b64 v[6:7], 2, v[6:7]
	v_lshl_add_u64 v[52:53], s[12:13], 0, v[6:7]
	v_lshl_add_u64 v[54:55], s[14:15], 0, v[6:7]
	v_mov_b64_e32 v[6:7], s[10:11]
	v_mad_u64_u32 v[6:7], s[18:19], s10, v4, v[6:7]
	v_mul_lo_u32 v2, s10, v5
	v_mul_lo_u32 v8, s11, v4
	v_mad_u64_u32 v[4:5], s[18:19], s10, v4, 0
	v_add3_u32 v7, v8, v7, v2
	v_add3_u32 v5, v5, v2, v8
	v_mbcnt_lo_u32_b32 v2, -1, 0
	v_mbcnt_hi_u32_b32 v2, -1, v2
	v_lshlrev_b64 v[6:7], 2, v[6:7]
	s_add_u32 s36, s28, 0xff
	v_lshlrev_b64 v[4:5], 2, v[4:5]
	s_movk_i32 s38, 0xff01
	s_movk_i32 s40, 0xff02
	;; [unrolled: 1-line block ×8, first 2 shown]
	v_lshlrev_b32_e32 v2, 2, v2
	v_lshl_add_u64 v[56:57], s[12:13], 0, v[6:7]
	v_lshl_add_u64 v[58:59], s[14:15], 0, v[6:7]
	s_addc_u32 s37, 0, 0
	v_lshl_add_u64 v[60:61], s[12:13], 0, v[4:5]
	v_lshl_add_u64 v[62:63], s[14:15], 0, v[4:5]
	s_mov_b32 s39, -1
	s_mov_b32 s41, -1
	;; [unrolled: 1-line block ×8, first 2 shown]
	v_and_b32_e32 v67, 0x100, v2
	s_mov_b64 s[54:55], s[28:29]
	v_mov_b32_e32 v26, v3
	v_mov_b32_e32 v27, v3
	s_branch .LBB69_5
.LBB69_3:                               ;   in Loop: Header=BB69_5 Depth=1
	s_or_b64 exec, exec, s[18:19]
	s_waitcnt vmcnt(1)
	ds_bpermute_b32 v2, v67, v69
	ds_bpermute_b32 v4, v67, v69 offset:4
	s_waitcnt vmcnt(0)
	ds_bpermute_b32 v5, v67, v68
	ds_bpermute_b32 v6, v67, v68 offset:4
	ds_bpermute_b32 v9, v67, v68 offset:12
	s_waitcnt lgkmcnt(4)
	v_sub_f32_e32 v2, v10, v2
	v_mul_f32_e32 v2, v18, v2
	s_waitcnt lgkmcnt(3)
	v_sub_f32_e32 v7, v11, v4
	s_waitcnt lgkmcnt(2)
	v_mul_f32_e32 v4, v2, v5
	ds_bpermute_b32 v2, v67, v69 offset:8
	v_mul_f32_e32 v5, v19, v7
	s_waitcnt lgkmcnt(2)
	v_mul_f32_e32 v6, v5, v6
	ds_bpermute_b32 v5, v67, v68 offset:8
	ds_bpermute_b32 v7, v67, v69 offset:12
	s_waitcnt lgkmcnt(2)
	v_sub_f32_e32 v2, v12, v2
	v_mul_f32_e32 v2, v20, v2
	v_mov_b32_e32 v11, v21
	s_waitcnt lgkmcnt(1)
	v_mul_f32_e32 v8, v2, v5
	s_waitcnt lgkmcnt(0)
	v_sub_f32_e32 v2, v13, v7
	ds_bpermute_b32 v5, v67, v69 offset:16
	v_mul_f32_e32 v2, v21, v2
	v_mul_f32_e32 v10, v2, v9
	ds_bpermute_b32 v2, v67, v68 offset:16
	ds_bpermute_b32 v7, v67, v69 offset:20
	;; [unrolled: 1-line block ×3, first 2 shown]
	s_waitcnt lgkmcnt(3)
	v_sub_f32_e32 v5, v14, v5
	v_mul_f32_e32 v5, v22, v5
	s_waitcnt lgkmcnt(2)
	v_mul_f32_e32 v12, v5, v2
	s_waitcnt lgkmcnt(1)
	v_sub_f32_e32 v2, v15, v7
	v_mul_f32_e32 v2, v23, v2
	s_waitcnt lgkmcnt(0)
	v_mul_f32_e32 v14, v2, v9
	v_mov_b32_e32 v5, v18
	ds_bpermute_b32 v2, v67, v69 offset:24
	v_pk_add_f32 v[4:5], v[26:27], v[4:5]
	v_mov_b32_e32 v7, v19
	v_pk_add_f32 v[4:5], v[6:7], v[4:5]
	ds_bpermute_b32 v7, v67, v68 offset:24
	v_mov_b32_e32 v9, v20
	v_pk_add_f32 v[4:5], v[8:9], v[4:5]
	v_mov_b32_e32 v13, v22
	v_pk_add_f32 v[4:5], v[10:11], v[4:5]
	s_waitcnt lgkmcnt(1)
	v_sub_f32_e32 v8, v16, v2
	v_pk_add_f32 v[4:5], v[12:13], v[4:5]
	v_mov_b32_e32 v15, v23
	v_mul_f32_e32 v8, v24, v8
	v_pk_add_f32 v[4:5], v[14:15], v[4:5]
	s_waitcnt lgkmcnt(0)
	v_mul_f32_e32 v8, v8, v7
	v_mov_b32_e32 v9, v24
	ds_bpermute_b32 v2, v67, v68 offset:28
	ds_bpermute_b32 v6, v67, v69 offset:28
	v_pk_add_f32 v[4:5], v[8:9], v[4:5]
.LBB69_4:                               ;   in Loop: Header=BB69_5 Depth=1
	s_waitcnt lgkmcnt(0)
	v_sub_f32_e32 v6, v17, v6
	v_mul_f32_e32 v6, v25, v6
	v_mul_f32_e32 v24, v6, v2
	s_add_u32 s54, s54, s3
	v_pk_add_f32 v[26:27], v[4:5], v[24:25]
	s_addc_u32 s55, s55, 0
	v_mov_b64_e32 v[4:5], s[8:9]
	s_add_u32 s36, s36, s3
	v_cmp_lt_i64_e32 vcc, s[54:55], v[4:5]
	v_lshl_add_u64 v[32:33], v[32:33], 0, s[34:35]
	v_lshl_add_u64 v[34:35], v[34:35], 0, s[34:35]
	;; [unrolled: 1-line block ×14, first 2 shown]
	s_addc_u32 s37, s37, 0
	v_lshl_add_u64 v[60:61], v[60:61], 0, s[34:35]
	v_lshl_add_u64 v[62:63], v[62:63], 0, s[34:35]
	s_cbranch_vccz .LBB69_49
.LBB69_5:                               ; =>This Inner Loop Header: Depth=1
	v_mov_b64_e32 v[4:5], s[8:9]
	v_cmp_ge_i64_e32 vcc, s[36:37], v[4:5]
	v_lshl_add_u64 v[64:65], v[28:29], 0, s[36:37]
	s_cbranch_vccz .LBB69_27
; %bb.6:                                ;   in Loop: Header=BB69_5 Depth=1
	s_load_dword s17, s[30:31], 0xc
	v_mov_b32_e32 v68, 0
	v_mov_b32_e32 v69, 0
	s_waitcnt lgkmcnt(0)
	s_and_b32 s17, s17, 0xffff
	v_mad_u32_u24 v2, v66, s17, v1
	v_and_b32_e32 v2, 63, v2
	v_cmp_gt_u32_e32 vcc, 8, v2
	s_and_saveexec_b64 s[18:19], vcc
	s_cbranch_execz .LBB69_10
; %bb.7:                                ;   in Loop: Header=BB69_5 Depth=1
	v_lshl_add_u64 v[4:5], v[64:65], 0, v[2:3]
	v_lshl_add_u64 v[4:5], v[4:5], 0, s[38:39]
	v_cmp_gt_i64_e32 vcc, s[8:9], v[4:5]
	v_mov_b32_e32 v69, 0
	v_mov_b32_e32 v68, 0
	s_and_saveexec_b64 s[20:21], vcc
	s_cbranch_execz .LBB69_9
; %bb.8:                                ;   in Loop: Header=BB69_5 Depth=1
	v_lshlrev_b64 v[4:5], 2, v[4:5]
	v_lshl_add_u64 v[6:7], s[26:27], 0, v[4:5]
	v_lshl_add_u64 v[4:5], s[24:25], 0, v[4:5]
	global_load_dword v69, v[4:5], off
	global_load_dword v68, v[6:7], off
.LBB69_9:                               ;   in Loop: Header=BB69_5 Depth=1
	s_or_b64 exec, exec, s[20:21]
.LBB69_10:                              ;   in Loop: Header=BB69_5 Depth=1
	s_or_b64 exec, exec, s[18:19]
	s_mov_b32 s17, s16
	s_mov_b32 s18, s16
	;; [unrolled: 1-line block ×7, first 2 shown]
	v_mov_b64_e32 v[10:11], s[16:17]
	v_lshl_add_u64 v[4:5], v[64:65], 0, s[38:39]
	v_mov_b64_e32 v[16:17], s[22:23]
	v_cmp_gt_i64_e32 vcc, s[8:9], v[4:5]
	v_mov_b64_e32 v[12:13], s[18:19]
	v_mov_b64_e32 v[14:15], s[20:21]
	;; [unrolled: 1-line block ×3, first 2 shown]
	s_and_b64 s[56:57], s[6:7], vcc
	v_mov_b64_e32 v[22:23], v[14:15]
	v_mov_b64_e32 v[20:21], v[12:13]
	;; [unrolled: 1-line block ×3, first 2 shown]
	s_and_saveexec_b64 s[18:19], s[56:57]
	s_cbranch_execz .LBB69_12
; %bb.11:                               ;   in Loop: Header=BB69_5 Depth=1
	v_lshl_add_u64 v[4:5], v[60:61], 0, v[30:31]
	global_load_dword v2, v[4:5], off
	v_lshl_add_u64 v[4:5], v[62:63], 0, v[30:31]
	global_load_dword v10, v[4:5], off
	v_mov_b32_e32 v8, v3
	v_mov_b32_e32 v9, v3
	;; [unrolled: 1-line block ×6, first 2 shown]
	s_waitcnt vmcnt(1)
	v_mov_b64_e32 v[24:25], v[8:9]
	v_mov_b32_e32 v11, v3
	v_mov_b32_e32 v12, v3
	;; [unrolled: 1-line block ×7, first 2 shown]
	v_mov_b64_e32 v[22:23], v[6:7]
	v_mov_b64_e32 v[20:21], v[4:5]
	;; [unrolled: 1-line block ×3, first 2 shown]
.LBB69_12:                              ;   in Loop: Header=BB69_5 Depth=1
	s_or_b64 exec, exec, s[18:19]
	v_lshl_add_u64 v[4:5], v[64:65], 0, s[40:41]
	v_cmp_gt_i64_e32 vcc, s[8:9], v[4:5]
	s_and_b64 s[20:21], s[6:7], vcc
	s_and_saveexec_b64 s[18:19], s[20:21]
	s_cbranch_execz .LBB69_14
; %bb.13:                               ;   in Loop: Header=BB69_5 Depth=1
	v_lshl_add_u64 v[4:5], v[56:57], 0, v[30:31]
	global_load_dword v19, v[4:5], off
	v_lshl_add_u64 v[4:5], v[58:59], 0, v[30:31]
	global_load_dword v11, v[4:5], off
.LBB69_14:                              ;   in Loop: Header=BB69_5 Depth=1
	s_or_b64 exec, exec, s[18:19]
	v_lshl_add_u64 v[4:5], v[64:65], 0, s[42:43]
	v_cmp_gt_i64_e32 vcc, s[8:9], v[4:5]
	s_and_b64 s[20:21], s[6:7], vcc
	s_and_saveexec_b64 s[18:19], s[20:21]
	s_cbranch_execz .LBB69_16
; %bb.15:                               ;   in Loop: Header=BB69_5 Depth=1
	v_lshl_add_u64 v[4:5], v[52:53], 0, v[30:31]
	global_load_dword v20, v[4:5], off
	v_lshl_add_u64 v[4:5], v[54:55], 0, v[30:31]
	global_load_dword v12, v[4:5], off
.LBB69_16:                              ;   in Loop: Header=BB69_5 Depth=1
	;; [unrolled: 12-line block ×7, first 2 shown]
	s_or_b64 exec, exec, s[18:19]
	s_waitcnt vmcnt(1)
	ds_bpermute_b32 v2, v67, v69
	ds_bpermute_b32 v4, v67, v69 offset:4
	s_waitcnt vmcnt(0)
	ds_bpermute_b32 v5, v67, v68
	ds_bpermute_b32 v6, v67, v68 offset:4
	ds_bpermute_b32 v9, v67, v68 offset:12
	s_waitcnt lgkmcnt(4)
	v_sub_f32_e32 v2, v10, v2
	v_mul_f32_e32 v2, v18, v2
	s_waitcnt lgkmcnt(3)
	v_sub_f32_e32 v7, v11, v4
	s_waitcnt lgkmcnt(2)
	v_mul_f32_e32 v4, v2, v5
	ds_bpermute_b32 v2, v67, v69 offset:8
	v_mul_f32_e32 v5, v19, v7
	s_waitcnt lgkmcnt(2)
	v_mul_f32_e32 v6, v5, v6
	ds_bpermute_b32 v5, v67, v68 offset:8
	ds_bpermute_b32 v7, v67, v69 offset:12
	s_waitcnt lgkmcnt(2)
	v_sub_f32_e32 v2, v12, v2
	v_mul_f32_e32 v2, v20, v2
	v_mov_b32_e32 v11, v21
	s_waitcnt lgkmcnt(1)
	v_mul_f32_e32 v8, v2, v5
	s_waitcnt lgkmcnt(0)
	v_sub_f32_e32 v2, v13, v7
	ds_bpermute_b32 v5, v67, v69 offset:16
	v_mul_f32_e32 v2, v21, v2
	v_mul_f32_e32 v10, v2, v9
	ds_bpermute_b32 v2, v67, v68 offset:16
	ds_bpermute_b32 v7, v67, v69 offset:20
	;; [unrolled: 1-line block ×3, first 2 shown]
	s_waitcnt lgkmcnt(3)
	v_sub_f32_e32 v5, v14, v5
	v_mul_f32_e32 v5, v22, v5
	s_waitcnt lgkmcnt(2)
	v_mul_f32_e32 v12, v5, v2
	s_waitcnt lgkmcnt(1)
	v_sub_f32_e32 v2, v15, v7
	v_mul_f32_e32 v2, v23, v2
	s_waitcnt lgkmcnt(0)
	v_mul_f32_e32 v14, v2, v9
	ds_bpermute_b32 v2, v67, v69 offset:24
	v_mov_b32_e32 v5, v18
	v_pk_add_f32 v[4:5], v[26:27], v[4:5]
	v_mov_b32_e32 v7, v19
	v_pk_add_f32 v[4:5], v[6:7], v[4:5]
	ds_bpermute_b32 v7, v67, v68 offset:24
	v_mov_b32_e32 v9, v20
	s_waitcnt lgkmcnt(1)
	v_sub_f32_e32 v2, v16, v2
	v_pk_add_f32 v[4:5], v[8:9], v[4:5]
	v_mul_f32_e32 v8, v24, v2
	ds_bpermute_b32 v2, v67, v68 offset:28
	ds_bpermute_b32 v6, v67, v69 offset:28
	v_pk_add_f32 v[4:5], v[10:11], v[4:5]
	v_mov_b32_e32 v13, v22
	v_pk_add_f32 v[4:5], v[12:13], v[4:5]
	v_mov_b32_e32 v15, v23
	v_pk_add_f32 v[4:5], v[14:15], v[4:5]
	s_waitcnt lgkmcnt(2)
	v_mul_f32_e32 v8, v8, v7
	v_mov_b32_e32 v9, v24
	v_pk_add_f32 v[4:5], v[8:9], v[4:5]
	s_branch .LBB69_4
.LBB69_27:                              ;   in Loop: Header=BB69_5 Depth=1
                                        ; implicit-def: $vgpr4_vgpr5
                                        ; implicit-def: $vgpr2
                                        ; implicit-def: $vgpr10_vgpr11_vgpr12_vgpr13_vgpr14_vgpr15_vgpr16_vgpr17
                                        ; implicit-def: $vgpr18_vgpr19_vgpr20_vgpr21_vgpr22_vgpr23_vgpr24_vgpr25
                                        ; implicit-def: $vgpr6
	s_cbranch_execz .LBB69_4
; %bb.28:                               ;   in Loop: Header=BB69_5 Depth=1
	s_load_dword s17, s[30:31], 0x0
	v_mov_b32_e32 v68, 0
	v_mov_b32_e32 v69, 0
	s_waitcnt lgkmcnt(0)
	s_cmp_lt_u32 s2, s17
	s_cselect_b32 s17, 12, 18
	s_add_u32 s18, s30, s17
	s_addc_u32 s19, s31, 0
	global_load_ushort v2, v3, s[18:19]
	s_waitcnt vmcnt(0)
	v_mad_u32_u24 v2, v66, v2, v1
	v_and_b32_e32 v2, 63, v2
	v_cmp_gt_u32_e32 vcc, 8, v2
	s_and_saveexec_b64 s[18:19], vcc
	s_cbranch_execz .LBB69_32
; %bb.29:                               ;   in Loop: Header=BB69_5 Depth=1
	v_lshl_add_u64 v[4:5], v[64:65], 0, v[2:3]
	v_lshl_add_u64 v[4:5], v[4:5], 0, s[38:39]
	v_cmp_gt_i64_e32 vcc, s[8:9], v[4:5]
	v_mov_b32_e32 v69, 0
	v_mov_b32_e32 v68, 0
	s_and_saveexec_b64 s[20:21], vcc
	s_cbranch_execz .LBB69_31
; %bb.30:                               ;   in Loop: Header=BB69_5 Depth=1
	v_lshlrev_b64 v[4:5], 2, v[4:5]
	v_lshl_add_u64 v[6:7], s[26:27], 0, v[4:5]
	v_lshl_add_u64 v[4:5], s[24:25], 0, v[4:5]
	global_load_dword v69, v[4:5], off
	global_load_dword v68, v[6:7], off
.LBB69_31:                              ;   in Loop: Header=BB69_5 Depth=1
	s_or_b64 exec, exec, s[20:21]
.LBB69_32:                              ;   in Loop: Header=BB69_5 Depth=1
	s_or_b64 exec, exec, s[18:19]
	s_mov_b32 s17, s16
	s_mov_b32 s18, s16
	;; [unrolled: 1-line block ×7, first 2 shown]
	v_mov_b64_e32 v[10:11], s[16:17]
	v_mov_b64_e32 v[16:17], s[22:23]
	;; [unrolled: 1-line block ×8, first 2 shown]
	s_and_saveexec_b64 s[18:19], s[6:7]
	s_cbranch_execnz .LBB69_40
; %bb.33:                               ;   in Loop: Header=BB69_5 Depth=1
	s_or_b64 exec, exec, s[18:19]
	s_and_saveexec_b64 s[18:19], s[6:7]
	s_cbranch_execnz .LBB69_41
.LBB69_34:                              ;   in Loop: Header=BB69_5 Depth=1
	s_or_b64 exec, exec, s[18:19]
	s_and_saveexec_b64 s[18:19], s[6:7]
	s_cbranch_execnz .LBB69_42
.LBB69_35:                              ;   in Loop: Header=BB69_5 Depth=1
	s_or_b64 exec, exec, s[18:19]
	s_and_saveexec_b64 s[18:19], s[6:7]
	s_cbranch_execnz .LBB69_43
.LBB69_36:                              ;   in Loop: Header=BB69_5 Depth=1
	s_or_b64 exec, exec, s[18:19]
	s_and_saveexec_b64 s[18:19], s[6:7]
	s_cbranch_execnz .LBB69_44
.LBB69_37:                              ;   in Loop: Header=BB69_5 Depth=1
	s_or_b64 exec, exec, s[18:19]
	s_and_saveexec_b64 s[18:19], s[6:7]
	s_cbranch_execnz .LBB69_45
.LBB69_38:                              ;   in Loop: Header=BB69_5 Depth=1
	s_or_b64 exec, exec, s[18:19]
	s_and_saveexec_b64 s[18:19], s[6:7]
	s_cbranch_execnz .LBB69_46
.LBB69_39:                              ;   in Loop: Header=BB69_5 Depth=1
	s_or_b64 exec, exec, s[18:19]
	s_and_saveexec_b64 s[18:19], s[6:7]
	s_cbranch_execz .LBB69_3
	s_branch .LBB69_47
.LBB69_40:                              ;   in Loop: Header=BB69_5 Depth=1
	v_lshl_add_u64 v[4:5], v[60:61], 0, v[30:31]
	global_load_dword v2, v[4:5], off
	v_lshl_add_u64 v[4:5], v[62:63], 0, v[30:31]
	global_load_dword v10, v[4:5], off
	v_mov_b32_e32 v8, v3
	v_mov_b32_e32 v9, v3
	;; [unrolled: 1-line block ×6, first 2 shown]
	s_waitcnt vmcnt(1)
	v_mov_b64_e32 v[24:25], v[8:9]
	v_mov_b32_e32 v11, v3
	v_mov_b32_e32 v12, v3
	;; [unrolled: 1-line block ×7, first 2 shown]
	v_mov_b64_e32 v[22:23], v[6:7]
	v_mov_b64_e32 v[20:21], v[4:5]
	v_mov_b64_e32 v[18:19], v[2:3]
	s_or_b64 exec, exec, s[18:19]
	s_and_saveexec_b64 s[18:19], s[6:7]
	s_cbranch_execz .LBB69_34
.LBB69_41:                              ;   in Loop: Header=BB69_5 Depth=1
	v_lshl_add_u64 v[4:5], v[56:57], 0, v[30:31]
	global_load_dword v19, v[4:5], off
	v_lshl_add_u64 v[4:5], v[58:59], 0, v[30:31]
	global_load_dword v11, v[4:5], off
	s_or_b64 exec, exec, s[18:19]
	s_and_saveexec_b64 s[18:19], s[6:7]
	s_cbranch_execz .LBB69_35
.LBB69_42:                              ;   in Loop: Header=BB69_5 Depth=1
	v_lshl_add_u64 v[4:5], v[52:53], 0, v[30:31]
	global_load_dword v20, v[4:5], off
	v_lshl_add_u64 v[4:5], v[54:55], 0, v[30:31]
	global_load_dword v12, v[4:5], off
	s_or_b64 exec, exec, s[18:19]
	s_and_saveexec_b64 s[18:19], s[6:7]
	s_cbranch_execz .LBB69_36
.LBB69_43:                              ;   in Loop: Header=BB69_5 Depth=1
	v_lshl_add_u64 v[4:5], v[48:49], 0, v[30:31]
	global_load_dword v21, v[4:5], off
	v_lshl_add_u64 v[4:5], v[50:51], 0, v[30:31]
	global_load_dword v13, v[4:5], off
	s_or_b64 exec, exec, s[18:19]
	s_and_saveexec_b64 s[18:19], s[6:7]
	s_cbranch_execz .LBB69_37
.LBB69_44:                              ;   in Loop: Header=BB69_5 Depth=1
	v_lshl_add_u64 v[4:5], v[44:45], 0, v[30:31]
	global_load_dword v22, v[4:5], off
	v_lshl_add_u64 v[4:5], v[46:47], 0, v[30:31]
	global_load_dword v14, v[4:5], off
	s_or_b64 exec, exec, s[18:19]
	s_and_saveexec_b64 s[18:19], s[6:7]
	s_cbranch_execz .LBB69_38
.LBB69_45:                              ;   in Loop: Header=BB69_5 Depth=1
	v_lshl_add_u64 v[4:5], v[40:41], 0, v[30:31]
	global_load_dword v23, v[4:5], off
	v_lshl_add_u64 v[4:5], v[42:43], 0, v[30:31]
	global_load_dword v15, v[4:5], off
	s_or_b64 exec, exec, s[18:19]
	s_and_saveexec_b64 s[18:19], s[6:7]
	s_cbranch_execz .LBB69_39
.LBB69_46:                              ;   in Loop: Header=BB69_5 Depth=1
	v_lshl_add_u64 v[4:5], v[36:37], 0, v[30:31]
	global_load_dword v24, v[4:5], off
	v_lshl_add_u64 v[4:5], v[38:39], 0, v[30:31]
	global_load_dword v16, v[4:5], off
	s_or_b64 exec, exec, s[18:19]
	s_and_saveexec_b64 s[18:19], s[6:7]
	s_cbranch_execz .LBB69_3
.LBB69_47:                              ;   in Loop: Header=BB69_5 Depth=1
	v_lshl_add_u64 v[4:5], v[32:33], 0, v[30:31]
	global_load_dword v25, v[4:5], off
	v_lshl_add_u64 v[4:5], v[34:35], 0, v[30:31]
	global_load_dword v17, v[4:5], off
	s_branch .LBB69_3
.LBB69_48:
                                        ; implicit-def: $vgpr27
	s_branch .LBB69_50
.LBB69_49:
	s_cbranch_execnz .LBB69_81
.LBB69_50:
	v_mov_b32_e32 v27, 0
	s_mov_b32 s16, 0
	s_and_b64 vcc, exec, s[4:5]
	v_mov_b32_e32 v26, v27
	s_cbranch_vccnz .LBB69_81
; %bb.51:
	v_and_b32_e32 v1, 0x3ff, v0
	v_add_u32_e32 v2, s33, v1
	v_mov_b32_e32 v3, 0
	v_bfe_u32 v88, v0, 10, 10
	v_lshlrev_b64 v[22:23], 2, v[2:3]
	v_lshlrev_b32_e32 v2, 5, v88
	v_lshl_add_u64 v[4:5], s[28:29], 2, v[2:3]
	v_lshl_add_u64 v[6:7], v[4:5], 0, 4
	v_mov_b64_e32 v[8:9], s[12:13]
	v_lshl_add_u64 v[10:11], v[4:5], 0, 8
	v_lshl_add_u64 v[12:13], v[4:5], 0, 12
	;; [unrolled: 1-line block ×6, first 2 shown]
	v_mad_u64_u32 v[24:25], s[4:5], s10, v6, v[8:9]
	v_mad_u64_u32 v[28:29], s[4:5], s10, v10, v[8:9]
	;; [unrolled: 1-line block ×7, first 2 shown]
	v_mov_b64_e32 v[8:9], s[14:15]
	v_mul_lo_u32 v15, s10, v15
	v_mul_lo_u32 v48, s11, v14
	v_mad_u64_u32 v[46:47], s[4:5], s10, v14, v[8:9]
	v_add3_u32 v33, v48, v33, v15
	v_mul_lo_u32 v17, s10, v17
	v_mul_lo_u32 v50, s11, v16
	v_add3_u32 v47, v48, v47, v15
	v_mad_u64_u32 v[48:49], s[4:5], s10, v16, v[8:9]
	v_lshlrev_b32_e32 v20, 3, v88
	v_mov_b32_e32 v21, v3
	v_mul_lo_u32 v2, s10, v7
	v_mul_lo_u32 v7, s11, v6
	v_add3_u32 v35, v50, v35, v17
	v_mul_lo_u32 v19, s10, v19
	v_mul_lo_u32 v52, s11, v18
	v_mad_u64_u32 v[40:41], s[4:5], s10, v6, v[8:9]
	v_add3_u32 v49, v50, v49, v17
	v_mad_u64_u32 v[50:51], s[4:5], s10, v18, v[8:9]
	v_add3_u32 v25, v7, v25, v2
	v_add3_u32 v37, v52, v37, v19
	v_mul_lo_u32 v5, s10, v5
	v_mul_lo_u32 v54, s11, v4
	v_add3_u32 v41, v7, v41, v2
	v_lshl_add_u64 v[6:7], v[20:21], 0, s[28:29]
	v_add3_u32 v51, v52, v51, v19
	v_mad_u64_u32 v[52:53], s[4:5], s10, v4, v[8:9]
	v_add3_u32 v39, v54, v39, v5
	v_add3_u32 v53, v54, v53, v5
	v_lshl_add_u64 v[4:5], v[6:7], 0, 7
	v_mad_u64_u32 v[42:43], s[4:5], s10, v10, v[8:9]
	v_mad_u64_u32 v[44:45], s[4:5], s10, v12, v[8:9]
	v_mul_lo_u32 v8, s11, v4
	v_mul_lo_u32 v9, s10, v5
	v_mad_u64_u32 v[4:5], s[4:5], s10, v4, 0
	v_mul_lo_u32 v11, s10, v11
	v_mul_lo_u32 v26, s11, v10
	v_add3_u32 v5, v5, v9, v8
	v_lshl_add_u64 v[8:9], v[6:7], 0, 6
	v_add3_u32 v29, v26, v29, v11
	v_add3_u32 v43, v26, v43, v11
	v_mul_lo_u32 v10, s11, v8
	v_mul_lo_u32 v11, s10, v9
	v_mad_u64_u32 v[8:9], s[4:5], s10, v8, 0
	v_mul_lo_u32 v13, s10, v13
	v_mul_lo_u32 v27, s11, v12
	v_add3_u32 v9, v9, v11, v10
	v_lshl_add_u64 v[10:11], v[6:7], 0, 5
	v_add3_u32 v31, v27, v31, v13
	v_add3_u32 v45, v27, v45, v13
	v_mul_lo_u32 v12, s11, v10
	v_mul_lo_u32 v13, s10, v11
	v_mad_u64_u32 v[10:11], s[4:5], s10, v10, 0
	v_add3_u32 v11, v11, v13, v12
	v_lshl_add_u64 v[12:13], v[6:7], 0, 4
	v_mul_lo_u32 v14, s11, v12
	v_mul_lo_u32 v15, s10, v13
	v_mad_u64_u32 v[12:13], s[4:5], s10, v12, 0
	v_add3_u32 v13, v13, v15, v14
	v_lshl_add_u64 v[14:15], v[6:7], 0, 3
	;; [unrolled: 5-line block ×3, first 2 shown]
	s_load_dword s3, s[0:1], 0x44
	v_lshlrev_b64 v[4:5], 2, v[4:5]
	v_mul_lo_u32 v18, s11, v16
	v_mul_lo_u32 v19, s10, v17
	v_mad_u64_u32 v[16:17], s[4:5], s10, v16, 0
	v_lshl_add_u64 v[58:59], s[12:13], 0, v[4:5]
	v_lshl_add_u64 v[60:61], s[14:15], 0, v[4:5]
	v_lshlrev_b64 v[4:5], 2, v[8:9]
	v_add3_u32 v17, v17, v19, v18
	v_mov_b64_e32 v[18:19], s[10:11]
	v_lshl_add_u64 v[62:63], s[12:13], 0, v[4:5]
	v_lshl_add_u64 v[64:65], s[14:15], 0, v[4:5]
	v_lshlrev_b64 v[4:5], 2, v[10:11]
	v_mul_lo_u32 v2, s11, v6
	v_mad_u64_u32 v[18:19], s[4:5], s10, v6, v[18:19]
	v_mul_lo_u32 v26, s10, v7
	v_mad_u64_u32 v[6:7], s[4:5], s10, v6, 0
	v_lshl_add_u64 v[66:67], s[12:13], 0, v[4:5]
	v_lshl_add_u64 v[68:69], s[14:15], 0, v[4:5]
	v_lshlrev_b64 v[4:5], 2, v[12:13]
	s_add_u32 s4, s0, 64
	v_lshl_add_u64 v[70:71], s[12:13], 0, v[4:5]
	v_lshl_add_u64 v[72:73], s[14:15], 0, v[4:5]
	v_lshlrev_b64 v[4:5], 2, v[14:15]
	v_add3_u32 v7, v7, v26, v2
	v_add3_u32 v19, v2, v19, v26
	s_addc_u32 s5, s1, 0
	s_waitcnt lgkmcnt(0)
	s_lshl_b32 s3, s3, 8
	v_lshl_add_u64 v[74:75], s[12:13], 0, v[4:5]
	v_lshl_add_u64 v[76:77], s[14:15], 0, v[4:5]
	v_lshlrev_b64 v[4:5], 2, v[16:17]
	v_mbcnt_lo_u32_b32 v2, -1, 0
	s_add_u32 s6, s28, 0xff
	s_mul_i32 s17, s11, s3
	s_mul_hi_u32 s18, s10, s3
	v_lshlrev_b64 v[6:7], 2, v[6:7]
	v_lshl_add_u64 v[78:79], s[12:13], 0, v[4:5]
	v_lshl_add_u64 v[80:81], s[14:15], 0, v[4:5]
	v_lshlrev_b64 v[4:5], 2, v[18:19]
	v_mbcnt_hi_u32_b32 v2, -1, v2
	s_addc_u32 s7, 0, 0
	s_add_i32 s19, s18, s17
	s_mul_i32 s18, s10, s3
	v_lshl_add_u64 v[54:55], s[12:13], 0, v[6:7]
	v_lshl_add_u64 v[56:57], s[14:15], 0, v[6:7]
	;; [unrolled: 1-line block ×4, first 2 shown]
	s_movk_i32 s12, 0xff01
	s_movk_i32 s14, 0xff02
	;; [unrolled: 1-line block ×8, first 2 shown]
	v_lshlrev_b32_e32 v2, 2, v2
	s_lshl_b64 s[30:31], s[18:19], 2
	s_mov_b32 s13, -1
	s_mov_b32 s15, -1
	;; [unrolled: 1-line block ×8, first 2 shown]
	v_and_b32_e32 v89, 0x100, v2
	v_mov_b32_e32 v26, v3
	v_mov_b32_e32 v27, v3
	s_branch .LBB69_55
.LBB69_52:                              ;   in Loop: Header=BB69_55 Depth=1
	s_or_b64 exec, exec, s[20:21]
.LBB69_53:                              ;   in Loop: Header=BB69_55 Depth=1
	s_or_b64 exec, exec, s[18:19]
	v_lshl_add_u64 v[10:11], v[56:57], 0, v[22:23]
	global_load_dword v2, v[10:11], off
	v_lshl_add_u64 v[10:11], v[24:25], 0, v[22:23]
	v_lshl_add_u64 v[4:5], v[54:55], 0, v[22:23]
	global_load_dword v7, v[10:11], off
	v_lshl_add_u64 v[10:11], v[40:41], 0, v[22:23]
	global_load_dword v5, v[4:5], off
	s_waitcnt vmcnt(4)
	ds_bpermute_b32 v90, v89, v6
	global_load_dword v4, v[10:11], off
	v_lshl_add_u64 v[10:11], v[28:29], 0, v[22:23]
	global_load_dword v9, v[10:11], off
	v_lshl_add_u64 v[10:11], v[42:43], 0, v[22:23]
	;; [unrolled: 2-line block ×12, first 2 shown]
	global_load_dword v11, v[10:11], off
	ds_bpermute_b32 v92, v89, v6 offset:4
	s_waitcnt vmcnt(16)
	ds_bpermute_b32 v10, v89, v8
	ds_bpermute_b32 v94, v89, v6 offset:8
	ds_bpermute_b32 v96, v89, v6 offset:12
	;; [unrolled: 1-line block ×13, first 2 shown]
	s_waitcnt vmcnt(15) lgkmcnt(14)
	v_sub_f32_e32 v2, v2, v90
	s_waitcnt vmcnt(13)
	v_mul_f32_e32 v2, v5, v2
	s_waitcnt vmcnt(12)
	v_sub_f32_e32 v4, v4, v92
	s_waitcnt vmcnt(10) lgkmcnt(12)
	v_sub_f32_e32 v8, v12, v94
	v_mul_f32_e32 v8, v9, v8
	s_waitcnt lgkmcnt(5)
	v_mul_f32_e32 v8, v8, v93
	s_waitcnt vmcnt(8)
	v_sub_f32_e32 v12, v14, v96
	v_mul_f32_e32 v12, v13, v12
	s_waitcnt vmcnt(7)
	v_sub_f32_e32 v14, v16, v98
	s_waitcnt lgkmcnt(4)
	v_mul_f32_e32 v12, v12, v95
	s_waitcnt vmcnt(6)
	v_sub_f32_e32 v16, v18, v100
	s_waitcnt vmcnt(5)
	v_sub_f32_e32 v18, v86, v102
	v_mul_f32_e32 v86, v7, v4
	s_waitcnt vmcnt(4)
	v_sub_f32_e32 v6, v87, v6
	v_mul_f32_e32 v4, v2, v10
	v_pk_add_f32 v[4:5], v[26:27], v[4:5]
	s_waitcnt vmcnt(3)
	v_mul_f32_e32 v14, v15, v14
	s_waitcnt vmcnt(2)
	v_mul_f32_e32 v16, v17, v16
	s_waitcnt lgkmcnt(3)
	v_mul_f32_e32 v14, v14, v97
	s_waitcnt vmcnt(1)
	v_mul_f32_e32 v18, v19, v18
	s_waitcnt lgkmcnt(2)
	v_mul_f32_e32 v16, v16, v99
	s_waitcnt vmcnt(0)
	v_mul_f32_e32 v87, v11, v6
	v_mul_f32_e32 v6, v86, v91
	v_pk_add_f32 v[4:5], v[4:5], v[6:7]
	s_waitcnt lgkmcnt(1)
	v_mul_f32_e32 v18, v18, v101
	v_pk_add_f32 v[4:5], v[4:5], v[8:9]
	s_waitcnt lgkmcnt(0)
	v_mul_f32_e32 v10, v87, v103
	v_pk_add_f32 v[4:5], v[4:5], v[12:13]
	s_nop 0
	v_pk_add_f32 v[4:5], v[4:5], v[14:15]
	s_nop 0
	;; [unrolled: 2-line block ×3, first 2 shown]
	v_pk_add_f32 v[4:5], v[4:5], v[18:19]
.LBB69_54:                              ;   in Loop: Header=BB69_55 Depth=1
	s_add_u32 s28, s28, s3
	v_pk_add_f32 v[26:27], v[4:5], v[10:11]
	s_addc_u32 s29, s29, 0
	v_mov_b64_e32 v[4:5], s[8:9]
	s_add_u32 s6, s6, s3
	v_cmp_ge_i64_e32 vcc, s[28:29], v[4:5]
	s_addc_u32 s7, s7, 0
	v_lshl_add_u64 v[24:25], v[24:25], 0, s[30:31]
	v_lshl_add_u64 v[28:29], v[28:29], 0, s[30:31]
	;; [unrolled: 1-line block ×30, first 2 shown]
	s_cbranch_vccnz .LBB69_81
.LBB69_55:                              ; =>This Inner Loop Header: Depth=1
	v_mov_b64_e32 v[4:5], s[8:9]
	v_cmp_ge_i64_e32 vcc, s[6:7], v[4:5]
	v_lshl_add_u64 v[86:87], v[20:21], 0, s[6:7]
	s_cbranch_vccz .LBB69_77
; %bb.56:                               ;   in Loop: Header=BB69_55 Depth=1
	s_load_dword s17, s[4:5], 0xc
	v_mov_b32_e32 v90, 0
	v_mov_b32_e32 v91, 0
	s_waitcnt lgkmcnt(0)
	s_and_b32 s17, s17, 0xffff
	v_mad_u32_u24 v2, v88, s17, v1
	v_and_b32_e32 v2, 63, v2
	v_cmp_gt_u32_e32 vcc, 8, v2
	s_and_saveexec_b64 s[18:19], vcc
	s_cbranch_execz .LBB69_60
; %bb.57:                               ;   in Loop: Header=BB69_55 Depth=1
	v_lshl_add_u64 v[4:5], v[86:87], 0, v[2:3]
	v_lshl_add_u64 v[4:5], v[4:5], 0, s[12:13]
	v_cmp_gt_i64_e32 vcc, s[8:9], v[4:5]
	v_mov_b32_e32 v91, 0
	v_mov_b32_e32 v90, 0
	s_and_saveexec_b64 s[20:21], vcc
	s_cbranch_execz .LBB69_59
; %bb.58:                               ;   in Loop: Header=BB69_55 Depth=1
	v_lshlrev_b64 v[4:5], 2, v[4:5]
	v_lshl_add_u64 v[6:7], s[26:27], 0, v[4:5]
	v_lshl_add_u64 v[4:5], s[24:25], 0, v[4:5]
	global_load_dword v91, v[4:5], off
	global_load_dword v90, v[6:7], off
.LBB69_59:                              ;   in Loop: Header=BB69_55 Depth=1
	s_or_b64 exec, exec, s[20:21]
.LBB69_60:                              ;   in Loop: Header=BB69_55 Depth=1
	s_or_b64 exec, exec, s[18:19]
	s_mov_b32 s17, s16
	v_lshl_add_u64 v[4:5], v[86:87], 0, s[12:13]
	s_mov_b32 s18, s16
	s_mov_b32 s19, s16
	;; [unrolled: 1-line block ×6, first 2 shown]
	v_mov_b64_e32 v[12:13], s[16:17]
	v_cmp_gt_i64_e32 vcc, s[8:9], v[4:5]
	v_mov_b64_e32 v[14:15], s[18:19]
	v_mov_b64_e32 v[16:17], s[20:21]
	;; [unrolled: 1-line block ×7, first 2 shown]
	s_and_saveexec_b64 s[18:19], vcc
	s_cbranch_execz .LBB69_62
; %bb.61:                               ;   in Loop: Header=BB69_55 Depth=1
	v_lshl_add_u64 v[4:5], v[54:55], 0, v[22:23]
	global_load_dword v2, v[4:5], off
	v_lshl_add_u64 v[4:5], v[56:57], 0, v[22:23]
	global_load_dword v12, v[4:5], off
	v_mov_b32_e32 v4, v3
	v_mov_b32_e32 v5, v3
	;; [unrolled: 1-line block ×6, first 2 shown]
	s_waitcnt vmcnt(1)
	v_mov_b64_e32 v[10:11], v[8:9]
	v_mov_b32_e32 v13, v3
	v_mov_b32_e32 v14, v3
	;; [unrolled: 1-line block ×7, first 2 shown]
	v_mov_b64_e32 v[8:9], v[6:7]
	v_mov_b64_e32 v[6:7], v[4:5]
	;; [unrolled: 1-line block ×3, first 2 shown]
.LBB69_62:                              ;   in Loop: Header=BB69_55 Depth=1
	s_or_b64 exec, exec, s[18:19]
	v_lshl_add_u64 v[92:93], v[86:87], 0, s[14:15]
	v_cmp_gt_i64_e32 vcc, s[8:9], v[92:93]
	s_and_saveexec_b64 s[18:19], vcc
	s_cbranch_execz .LBB69_64
; %bb.63:                               ;   in Loop: Header=BB69_55 Depth=1
	v_lshl_add_u64 v[92:93], v[82:83], 0, v[22:23]
	global_load_dword v5, v[92:93], off
	v_lshl_add_u64 v[92:93], v[84:85], 0, v[22:23]
	global_load_dword v13, v[92:93], off
.LBB69_64:                              ;   in Loop: Header=BB69_55 Depth=1
	s_or_b64 exec, exec, s[18:19]
	v_lshl_add_u64 v[92:93], v[86:87], 0, s[34:35]
	v_cmp_gt_i64_e32 vcc, s[8:9], v[92:93]
	s_and_saveexec_b64 s[18:19], vcc
	s_cbranch_execz .LBB69_66
; %bb.65:                               ;   in Loop: Header=BB69_55 Depth=1
	v_lshl_add_u64 v[92:93], v[78:79], 0, v[22:23]
	global_load_dword v6, v[92:93], off
	v_lshl_add_u64 v[92:93], v[80:81], 0, v[22:23]
	global_load_dword v14, v[92:93], off
.LBB69_66:                              ;   in Loop: Header=BB69_55 Depth=1
	;; [unrolled: 11-line block ×7, first 2 shown]
	s_or_b64 exec, exec, s[18:19]
	s_waitcnt vmcnt(1)
	ds_bpermute_b32 v2, v89, v91
	ds_bpermute_b32 v92, v89, v91 offset:4
	s_waitcnt vmcnt(0)
	ds_bpermute_b32 v93, v89, v90
	ds_bpermute_b32 v94, v89, v90 offset:4
	v_mov_b32_e32 v95, v7
	s_waitcnt lgkmcnt(3)
	v_sub_f32_e32 v2, v12, v2
	v_mul_f32_e32 v2, v4, v2
	s_waitcnt lgkmcnt(2)
	v_sub_f32_e32 v13, v13, v92
	s_waitcnt lgkmcnt(1)
	v_mul_f32_e32 v12, v2, v93
	ds_bpermute_b32 v2, v89, v91 offset:8
	v_mul_f32_e32 v13, v5, v13
	s_waitcnt lgkmcnt(1)
	v_mul_f32_e32 v92, v13, v94
	ds_bpermute_b32 v13, v89, v90 offset:8
	ds_bpermute_b32 v93, v89, v91 offset:12
	;; [unrolled: 1-line block ×3, first 2 shown]
	s_waitcnt lgkmcnt(3)
	v_sub_f32_e32 v2, v14, v2
	v_mul_f32_e32 v2, v6, v2
	s_waitcnt lgkmcnt(2)
	v_mul_f32_e32 v14, v2, v13
	s_waitcnt lgkmcnt(1)
	v_sub_f32_e32 v2, v15, v93
	ds_bpermute_b32 v13, v89, v91 offset:16
	v_mul_f32_e32 v2, v7, v2
	s_waitcnt lgkmcnt(1)
	v_mul_f32_e32 v94, v2, v94
	ds_bpermute_b32 v2, v89, v90 offset:16
	ds_bpermute_b32 v15, v89, v91 offset:20
	;; [unrolled: 1-line block ×3, first 2 shown]
	s_waitcnt lgkmcnt(3)
	v_sub_f32_e32 v13, v16, v13
	v_mul_f32_e32 v13, v8, v13
	s_waitcnt lgkmcnt(2)
	v_mul_f32_e32 v16, v13, v2
	s_waitcnt lgkmcnt(1)
	v_sub_f32_e32 v2, v17, v15
	v_mul_f32_e32 v2, v9, v2
	s_waitcnt lgkmcnt(0)
	v_mul_f32_e32 v96, v2, v93
	ds_bpermute_b32 v2, v89, v91 offset:24
	v_mov_b32_e32 v15, v6
	ds_bpermute_b32 v6, v89, v90 offset:24
	v_mov_b32_e32 v13, v4
	v_pk_add_f32 v[12:13], v[26:27], v[12:13]
	v_mov_b32_e32 v93, v5
	v_pk_add_f32 v[4:5], v[92:93], v[12:13]
	v_mov_b32_e32 v17, v8
	s_waitcnt lgkmcnt(1)
	v_sub_f32_e32 v2, v18, v2
	ds_bpermute_b32 v8, v89, v91 offset:28
	v_pk_add_f32 v[4:5], v[14:15], v[4:5]
	v_mul_f32_e32 v2, v10, v2
	v_pk_add_f32 v[4:5], v[94:95], v[4:5]
	s_waitcnt lgkmcnt(1)
	v_mul_f32_e32 v6, v2, v6
	ds_bpermute_b32 v2, v89, v90 offset:28
	v_pk_add_f32 v[4:5], v[16:17], v[4:5]
	v_mov_b32_e32 v97, v9
	v_pk_add_f32 v[4:5], v[96:97], v[4:5]
	v_mov_b32_e32 v7, v10
	v_pk_add_f32 v[4:5], v[6:7], v[4:5]
	s_waitcnt lgkmcnt(1)
	v_sub_f32_e32 v6, v19, v8
	v_mul_f32_e32 v6, v11, v6
	s_waitcnt lgkmcnt(0)
	v_mul_f32_e32 v10, v6, v2
	s_branch .LBB69_54
.LBB69_77:                              ;   in Loop: Header=BB69_55 Depth=1
                                        ; implicit-def: $vgpr4_vgpr5
                                        ; implicit-def: $vgpr10_vgpr11
	s_cbranch_execz .LBB69_54
; %bb.78:                               ;   in Loop: Header=BB69_55 Depth=1
	s_load_dword s17, s[4:5], 0x0
	v_mov_b32_e32 v8, 0
	v_mov_b32_e32 v6, 0
	s_waitcnt lgkmcnt(0)
	s_cmp_lt_u32 s2, s17
	s_cselect_b32 s17, 12, 18
	s_add_u32 s18, s4, s17
	s_addc_u32 s19, s5, 0
	global_load_ushort v2, v3, s[18:19]
	s_waitcnt vmcnt(0)
	v_mad_u32_u24 v2, v88, v2, v1
	v_and_b32_e32 v2, 63, v2
	v_cmp_gt_u32_e32 vcc, 8, v2
	s_and_saveexec_b64 s[18:19], vcc
	s_cbranch_execz .LBB69_53
; %bb.79:                               ;   in Loop: Header=BB69_55 Depth=1
	v_lshl_add_u64 v[4:5], v[86:87], 0, v[2:3]
	v_lshl_add_u64 v[4:5], v[4:5], 0, s[12:13]
	v_cmp_gt_i64_e32 vcc, s[8:9], v[4:5]
	v_mov_b32_e32 v6, 0
	v_mov_b32_e32 v8, 0
	s_and_saveexec_b64 s[20:21], vcc
	s_cbranch_execz .LBB69_52
; %bb.80:                               ;   in Loop: Header=BB69_55 Depth=1
	v_lshlrev_b64 v[4:5], 2, v[4:5]
	v_lshl_add_u64 v[8:9], s[26:27], 0, v[4:5]
	v_lshl_add_u64 v[4:5], s[24:25], 0, v[4:5]
	global_load_dword v6, v[4:5], off
	s_nop 0
	global_load_dword v8, v[8:9], off
	s_branch .LBB69_52
.LBB69_81:
	v_and_b32_e32 v2, 0x3ff, v0
	v_bfe_u32 v0, v0, 10, 10
	v_mad_u32_u24 v1, v0, 33, v2
	v_lshl_add_u32 v3, v1, 2, 0
	v_sub_u32_e32 v1, v1, v0
	s_movk_i32 s4, 0x800
	s_mov_b32 s3, 0
	v_cmp_gt_u32_e32 vcc, s4, v1
	ds_write_b32 v3, v26
	ds_write_b32 v3, v27 offset:4224
	s_waitcnt lgkmcnt(0)
	s_barrier
	s_and_saveexec_b64 s[4:5], vcc
	s_cbranch_execz .LBB69_91
; %bb.82:
	v_mbcnt_lo_u32_b32 v3, -1, 0
	v_mbcnt_hi_u32_b32 v3, -1, v3
	v_and_b32_e32 v4, 64, v3
	v_add_u32_e32 v4, 64, v4
	v_cmp_eq_u32_e64 s[4:5], 0, v2
	v_xor_b32_e32 v2, 16, v3
	v_cmp_lt_i32_e32 vcc, v2, v4
	s_load_dwordx4 s[16:19], s[0:1], 0x30
	s_lshl_b64 s[8:9], s[2:3], 5
	v_cndmask_b32_e32 v2, v3, v2, vcc
	v_lshlrev_b32_e32 v8, 2, v2
	v_xor_b32_e32 v2, 8, v3
	v_cmp_lt_i32_e32 vcc, v2, v4
	v_lshrrev_b32_e32 v0, 6, v1
	v_and_b32_e32 v6, 63, v1
	v_cndmask_b32_e32 v2, v3, v2, vcc
	v_lshlrev_b32_e32 v9, 2, v2
	v_xor_b32_e32 v2, 4, v3
	v_cmp_lt_i32_e32 vcc, v2, v4
	s_waitcnt lgkmcnt(0)
	s_cmp_lg_u64 s[16:17], 0
	v_cmp_gt_u32_e64 s[0:1], 32, v6
	v_cndmask_b32_e32 v2, v3, v2, vcc
	v_lshlrev_b32_e32 v10, 2, v2
	v_xor_b32_e32 v2, 2, v3
	v_cmp_lt_i32_e32 vcc, v2, v4
	v_mov_b32_e32 v1, 0
	s_cselect_b64 s[6:7], -1, 0
	v_cndmask_b32_e32 v2, v3, v2, vcc
	v_lshlrev_b32_e32 v11, 2, v2
	v_xor_b32_e32 v2, 1, v3
	v_cmp_lt_i32_e32 vcc, v2, v4
	s_cmp_lg_u64 s[18:19], 0
	v_mad_u32_u24 v6, v6, 33, v0
	v_cndmask_b32_e32 v2, v3, v2, vcc
	s_cselect_b64 s[14:15], -1, 0
	v_lshlrev_b32_e32 v12, 2, v2
	s_lshl_b64 s[2:3], s[2:3], 7
	v_lshlrev_b32_e32 v2, 2, v0
	v_mov_b32_e32 v3, v1
	v_lshl_add_u32 v13, v6, 2, 0
	v_cndmask_b32_e64 v6, 0, 1, s[6:7]
	v_lshl_add_u64 v[4:5], s[2:3], 0, v[2:3]
	v_cmp_ne_u32_e64 s[2:3], 1, v6
	v_cndmask_b32_e64 v6, 0, 1, s[14:15]
	s_mov_b64 s[12:13], 0
	v_lshl_add_u64 v[2:3], s[18:19], 0, v[4:5]
	v_lshl_add_u64 v[4:5], s[16:17], 0, v[4:5]
	v_cmp_ne_u32_e64 s[6:7], 1, v6
                                        ; implicit-def: $vgpr6
	s_branch .LBB69_84
.LBB69_83:                              ;   in Loop: Header=BB69_84 Depth=1
	s_or_b64 exec, exec, s[14:15]
	v_lshl_add_u64 v[0:1], v[0:1], 0, 16
	v_add_u32_e32 v14, -16, v0
	v_cmp_lt_u32_e32 vcc, 15, v14
	v_lshl_add_u64 v[2:3], v[2:3], 0, 64
	v_lshl_add_u64 v[4:5], v[4:5], 0, 64
	s_or_b64 s[12:13], vcc, s[12:13]
	v_add_u32_e32 v13, 64, v13
	s_andn2_b64 exec, exec, s[12:13]
	s_cbranch_execz .LBB69_91
.LBB69_84:                              ; =>This Inner Loop Header: Depth=1
	s_and_saveexec_b64 s[14:15], s[0:1]
	s_cbranch_execz .LBB69_86
; %bb.85:                               ;   in Loop: Header=BB69_84 Depth=1
	ds_read_b32 v7, v13
	ds_read_b32 v6, v13 offset:4224
.LBB69_86:                              ;   in Loop: Header=BB69_84 Depth=1
	s_or_b64 exec, exec, s[14:15]
	s_waitcnt lgkmcnt(1)
	ds_bpermute_b32 v15, v8, v7
	s_waitcnt lgkmcnt(1)
	ds_bpermute_b32 v14, v8, v6
	v_lshl_add_u64 v[16:17], s[8:9], 0, v[0:1]
	v_cmp_gt_i64_e32 vcc, s[10:11], v[16:17]
	s_and_b64 s[16:17], s[4:5], vcc
	s_waitcnt lgkmcnt(0)
	v_pk_add_f32 v[6:7], v[6:7], v[14:15]
	ds_bpermute_b32 v15, v9, v7
	ds_bpermute_b32 v14, v9, v6
	s_waitcnt lgkmcnt(0)
	v_pk_add_f32 v[6:7], v[6:7], v[14:15]
	ds_bpermute_b32 v15, v10, v7
	ds_bpermute_b32 v14, v10, v6
	;; [unrolled: 4-line block ×4, first 2 shown]
	s_waitcnt lgkmcnt(0)
	v_pk_add_f32 v[6:7], v[6:7], v[14:15]
	s_and_saveexec_b64 s[14:15], s[16:17]
	s_cbranch_execz .LBB69_83
; %bb.87:                               ;   in Loop: Header=BB69_84 Depth=1
	s_and_b64 vcc, exec, s[2:3]
	s_cbranch_vccnz .LBB69_89
; %bb.88:                               ;   in Loop: Header=BB69_84 Depth=1
	global_store_dword v[4:5], v7, off
.LBB69_89:                              ;   in Loop: Header=BB69_84 Depth=1
	s_and_b64 vcc, exec, s[6:7]
	s_cbranch_vccnz .LBB69_83
; %bb.90:                               ;   in Loop: Header=BB69_84 Depth=1
	global_store_dword v[2:3], v6, off
	s_branch .LBB69_83
.LBB69_91:
	s_endpgm
	.section	.rodata,"a",@progbits
	.p2align	6, 0x0
	.amdhsa_kernel _ZN2at6native12_GLOBAL__N_135GammaBetaBackwardCUDAKernelTemplateIffLj32ELj32ELj256ELb0ELb0ELb0EEEvllPKT_S5_PKT0_S8_PS3_S9_
		.amdhsa_group_segment_fixed_size 0
		.amdhsa_private_segment_fixed_size 0
		.amdhsa_kernarg_size 320
		.amdhsa_user_sgpr_count 2
		.amdhsa_user_sgpr_dispatch_ptr 0
		.amdhsa_user_sgpr_queue_ptr 0
		.amdhsa_user_sgpr_kernarg_segment_ptr 1
		.amdhsa_user_sgpr_dispatch_id 0
		.amdhsa_user_sgpr_kernarg_preload_length 0
		.amdhsa_user_sgpr_kernarg_preload_offset 0
		.amdhsa_user_sgpr_private_segment_size 0
		.amdhsa_uses_dynamic_stack 0
		.amdhsa_enable_private_segment 0
		.amdhsa_system_sgpr_workgroup_id_x 1
		.amdhsa_system_sgpr_workgroup_id_y 1
		.amdhsa_system_sgpr_workgroup_id_z 0
		.amdhsa_system_sgpr_workgroup_info 0
		.amdhsa_system_vgpr_workitem_id 1
		.amdhsa_next_free_vgpr 104
		.amdhsa_next_free_sgpr 58
		.amdhsa_accum_offset 104
		.amdhsa_reserve_vcc 1
		.amdhsa_float_round_mode_32 0
		.amdhsa_float_round_mode_16_64 0
		.amdhsa_float_denorm_mode_32 3
		.amdhsa_float_denorm_mode_16_64 3
		.amdhsa_dx10_clamp 1
		.amdhsa_ieee_mode 1
		.amdhsa_fp16_overflow 0
		.amdhsa_tg_split 0
		.amdhsa_exception_fp_ieee_invalid_op 0
		.amdhsa_exception_fp_denorm_src 0
		.amdhsa_exception_fp_ieee_div_zero 0
		.amdhsa_exception_fp_ieee_overflow 0
		.amdhsa_exception_fp_ieee_underflow 0
		.amdhsa_exception_fp_ieee_inexact 0
		.amdhsa_exception_int_div_zero 0
	.end_amdhsa_kernel
	.section	.text._ZN2at6native12_GLOBAL__N_135GammaBetaBackwardCUDAKernelTemplateIffLj32ELj32ELj256ELb0ELb0ELb0EEEvllPKT_S5_PKT0_S8_PS3_S9_,"axG",@progbits,_ZN2at6native12_GLOBAL__N_135GammaBetaBackwardCUDAKernelTemplateIffLj32ELj32ELj256ELb0ELb0ELb0EEEvllPKT_S5_PKT0_S8_PS3_S9_,comdat
.Lfunc_end69:
	.size	_ZN2at6native12_GLOBAL__N_135GammaBetaBackwardCUDAKernelTemplateIffLj32ELj32ELj256ELb0ELb0ELb0EEEvllPKT_S5_PKT0_S8_PS3_S9_, .Lfunc_end69-_ZN2at6native12_GLOBAL__N_135GammaBetaBackwardCUDAKernelTemplateIffLj32ELj32ELj256ELb0ELb0ELb0EEEvllPKT_S5_PKT0_S8_PS3_S9_
                                        ; -- End function
	.section	.AMDGPU.csdata,"",@progbits
; Kernel info:
; codeLenInByte = 7164
; NumSgprs: 64
; NumVgprs: 104
; NumAgprs: 0
; TotalNumVgprs: 104
; ScratchSize: 0
; MemoryBound: 0
; FloatMode: 240
; IeeeMode: 1
; LDSByteSize: 0 bytes/workgroup (compile time only)
; SGPRBlocks: 7
; VGPRBlocks: 12
; NumSGPRsForWavesPerEU: 64
; NumVGPRsForWavesPerEU: 104
; AccumOffset: 104
; Occupancy: 4
; WaveLimiterHint : 0
; COMPUTE_PGM_RSRC2:SCRATCH_EN: 0
; COMPUTE_PGM_RSRC2:USER_SGPR: 2
; COMPUTE_PGM_RSRC2:TRAP_HANDLER: 0
; COMPUTE_PGM_RSRC2:TGID_X_EN: 1
; COMPUTE_PGM_RSRC2:TGID_Y_EN: 1
; COMPUTE_PGM_RSRC2:TGID_Z_EN: 0
; COMPUTE_PGM_RSRC2:TIDIG_COMP_CNT: 1
; COMPUTE_PGM_RSRC3_GFX90A:ACCUM_OFFSET: 25
; COMPUTE_PGM_RSRC3_GFX90A:TG_SPLIT: 0
	.section	.text._ZN2at6native12_GLOBAL__N_118cuComputeGradInputIN3c104HalfEfLb0EEEvPKT_S7_llPKT0_SA_S7_PS5_,"axG",@progbits,_ZN2at6native12_GLOBAL__N_118cuComputeGradInputIN3c104HalfEfLb0EEEvPKT_S7_llPKT0_SA_S7_PS5_,comdat
	.globl	_ZN2at6native12_GLOBAL__N_118cuComputeGradInputIN3c104HalfEfLb0EEEvPKT_S7_llPKT0_SA_S7_PS5_ ; -- Begin function _ZN2at6native12_GLOBAL__N_118cuComputeGradInputIN3c104HalfEfLb0EEEvPKT_S7_llPKT0_SA_S7_PS5_
	.p2align	8
	.type	_ZN2at6native12_GLOBAL__N_118cuComputeGradInputIN3c104HalfEfLb0EEEvPKT_S7_llPKT0_SA_S7_PS5_,@function
_ZN2at6native12_GLOBAL__N_118cuComputeGradInputIN3c104HalfEfLb0EEEvPKT_S7_llPKT0_SA_S7_PS5_: ; @_ZN2at6native12_GLOBAL__N_118cuComputeGradInputIN3c104HalfEfLb0EEEvPKT_S7_llPKT0_SA_S7_PS5_
; %bb.0:
	s_load_dwordx4 s[24:27], s[0:1], 0x10
	s_mov_b32 s14, s3
	s_ashr_i32 s15, s3, 31
	s_waitcnt lgkmcnt(0)
	v_mov_b64_e32 v[2:3], s[24:25]
	v_cmp_ge_i64_e32 vcc, s[14:15], v[2:3]
	s_cbranch_vccnz .LBB70_47
; %bb.1:
	s_load_dword s2, s[0:1], 0x4c
	s_load_dword s33, s[0:1], 0x44
	s_load_dwordx4 s[28:31], s[0:1], 0x0
	s_load_dwordx8 s[16:23], s[0:1], 0x20
	s_flbit_i32 s0, s27
	s_waitcnt lgkmcnt(0)
	s_lshr_b32 s48, s2, 16
	s_and_b32 s49, s2, 0xffff
	v_cmp_gt_u16_e64 s[36:37], s2, 1
	s_cmp_lg_u64 s[20:21], 0
	s_cselect_b64 s[6:7], -1, 0
	s_xor_b32 s1, s26, s27
	s_ashr_i32 s1, s1, 31
	s_add_i32 s0, s0, -1
	s_add_i32 s1, s1, 32
	s_min_u32 s2, s0, s1
	s_lshl_b64 s[0:1], s[26:27], s2
	s_min_u32 s0, s0, 1
	s_or_b32 s0, s1, s0
	v_cvt_f32_i32_e32 v1, s0
	s_sub_i32 s0, 32, s2
	v_and_b32_e32 v16, 0x3ff, v0
	v_bfe_u32 v17, v0, 10, 10
	v_ldexp_f32 v2, v1, s0
	v_div_scale_f32 v1, s[0:1], v2, v2, 1.0
	v_rcp_f32_e32 v4, v1
	s_mul_i32 s34, s48, s49
	v_mad_u32_u24 v0, v17, s49, v16
	s_ashr_i32 s35, s34, 31
	v_fma_f32 v5, -v1, v4, 1.0
	v_fmac_f32_e32 v4, v5, v4
	v_div_scale_f32 v5, vcc, 1.0, v2, 1.0
	v_mul_f32_e32 v6, v5, v4
	v_fma_f32 v7, -v1, v6, v5
	v_fmac_f32_e32 v6, v7, v4
	v_fma_f32 v1, -v1, v6, v5
	v_div_fmas_f32 v1, v1, v4, v6
	v_add_u32_e32 v4, s34, v0
	v_ashrrev_i32_e32 v5, 31, v4
	v_mov_b32_e32 v6, s35
	v_subrev_co_u32_e32 v4, vcc, s34, v4
	v_lshlrev_b32_e32 v3, 3, v0
	s_nop 0
	v_subb_co_u32_e32 v5, vcc, v5, v6, vcc
	v_cndmask_b32_e64 v6, 0, 1, s[6:7]
	v_cmp_gt_i64_e64 s[6:7], s[26:27], 0
	v_lshlrev_b32_e32 v10, 3, v16
	v_div_fixup_f32 v18, v1, v2, 1.0
	v_mov_b32_e32 v1, 0
	v_cndmask_b32_e64 v7, 0, 1, s[6:7]
	v_add_u32_e32 v19, 0, v3
	v_mbcnt_lo_u32_b32 v3, -1, 0
	v_cmp_gt_u16_e64 s[38:39], s48, 1
	s_mov_b32 s40, 0
	v_cmp_eq_u32_e64 s[0:1], 0, v17
	v_cmp_ne_u32_e64 s[2:3], 0, v17
	v_cmp_gt_i64_e64 s[4:5], s[26:27], v[0:1]
	v_cmp_ne_u32_e64 s[6:7], 1, v6
	v_cmp_ne_u32_e64 s[8:9], 1, v7
	v_mov_b64_e32 v[6:7], s[26:27]
	v_mov_b64_e32 v[8:9], s[26:27]
	v_mbcnt_hi_u32_b32 v20, -1, v3
	v_add_u32_e32 v21, 0, v10
	s_branch .LBB70_4
.LBB70_2:                               ;   in Loop: Header=BB70_4 Depth=1
	s_or_b64 exec, exec, s[12:13]
.LBB70_3:                               ;   in Loop: Header=BB70_4 Depth=1
	s_add_i32 s14, s33, s14
	s_ashr_i32 s15, s14, 31
	v_mov_b64_e32 v[10:11], s[24:25]
	v_cmp_ge_i64_e32 vcc, s[14:15], v[10:11]
	s_barrier
	s_cbranch_vccnz .LBB70_47
.LBB70_4:                               ; =>This Loop Header: Depth=1
                                        ;     Child Loop BB70_8 Depth 2
                                        ;     Child Loop BB70_19 Depth 2
	;; [unrolled: 1-line block ×6, first 2 shown]
	s_mul_i32 s10, s14, s27
	s_mul_hi_u32 s11, s14, s26
	s_add_i32 s10, s11, s10
	s_mul_i32 s11, s15, s26
	s_add_i32 s11, s10, s11
	s_lshl_b64 s[12:13], s[14:15], 2
	s_add_u32 s42, s16, s12
	s_addc_u32 s43, s17, s13
	s_add_u32 s12, s18, s12
	s_mul_i32 s10, s14, s26
	s_addc_u32 s13, s19, s13
	s_load_dword s15, s[42:43], 0x0
	s_load_dword s50, s[12:13], 0x0
	s_lshl_b64 s[46:47], s[10:11], 1
	s_add_u32 s42, s30, s46
	s_addc_u32 s43, s31, s47
	s_add_u32 s44, s28, s46
	s_addc_u32 s45, s29, s47
	s_and_b64 vcc, exec, s[6:7]
	s_cbranch_vccnz .LBB70_15
; %bb.5:                                ;   in Loop: Header=BB70_4 Depth=1
	s_mov_b32 s41, s40
	s_and_b64 vcc, exec, s[8:9]
	v_mov_b64_e32 v[10:11], s[40:41]
	s_cbranch_vccnz .LBB70_14
; %bb.6:                                ;   in Loop: Header=BB70_4 Depth=1
	v_mov_b32_e32 v10, 0
	s_mov_b32 s10, 0
	v_mov_b32_e32 v11, v10
	s_branch .LBB70_8
.LBB70_7:                               ;   in Loop: Header=BB70_8 Depth=2
	s_or_b64 exec, exec, s[12:13]
	s_waitcnt vmcnt(0)
	v_cvt_f32_f16_e32 v12, v14
	v_cvt_f32_f16_e32 v3, v3
	;; [unrolled: 1-line block ×3, first 2 shown]
	s_add_i32 s10, s10, s34
	s_waitcnt lgkmcnt(0)
	v_subrev_f32_e32 v14, s15, v12
	s_ashr_i32 s11, s10, 31
	v_mul_f32_e32 v12, v3, v13
	v_mul_f32_e32 v3, v14, v12
	;; [unrolled: 1-line block ×3, first 2 shown]
	v_cmp_ge_i64_e32 vcc, s[10:11], v[6:7]
	v_pk_add_f32 v[10:11], v[10:11], v[12:13]
	s_cbranch_vccnz .LBB70_14
.LBB70_8:                               ;   Parent Loop BB70_4 Depth=1
                                        ; =>  This Inner Loop Header: Depth=2
	v_add_u32_e32 v12, s10, v0
	v_ashrrev_i32_e32 v13, 31, v12
	v_cmp_gt_i64_e32 vcc, s[26:27], v[12:13]
	v_mov_b32_e32 v3, 0
	s_and_saveexec_b64 s[12:13], vcc
	s_cbranch_execnz .LBB70_11
; %bb.9:                                ;   in Loop: Header=BB70_8 Depth=2
	s_or_b64 exec, exec, s[12:13]
	v_mov_b32_e32 v14, 0
	s_and_saveexec_b64 s[12:13], vcc
	s_cbranch_execnz .LBB70_12
.LBB70_10:                              ;   in Loop: Header=BB70_8 Depth=2
	s_or_b64 exec, exec, s[12:13]
	v_mov_b32_e32 v15, 0
	s_and_saveexec_b64 s[12:13], vcc
	s_cbranch_execz .LBB70_7
	s_branch .LBB70_13
.LBB70_11:                              ;   in Loop: Header=BB70_8 Depth=2
	v_lshl_add_u64 v[14:15], v[12:13], 1, s[20:21]
	global_load_ushort v3, v[14:15], off
	s_or_b64 exec, exec, s[12:13]
	v_mov_b32_e32 v14, 0
	s_and_saveexec_b64 s[12:13], vcc
	s_cbranch_execz .LBB70_10
.LBB70_12:                              ;   in Loop: Header=BB70_8 Depth=2
	v_lshl_add_u64 v[14:15], v[12:13], 1, s[42:43]
	global_load_ushort v14, v[14:15], off
	s_or_b64 exec, exec, s[12:13]
	v_mov_b32_e32 v15, 0
	s_and_saveexec_b64 s[12:13], vcc
	s_cbranch_execz .LBB70_7
.LBB70_13:                              ;   in Loop: Header=BB70_8 Depth=2
	v_lshl_add_u64 v[12:13], v[12:13], 1, s[44:45]
	global_load_ushort v15, v[12:13], off
	s_branch .LBB70_7
.LBB70_14:                              ;   in Loop: Header=BB70_4 Depth=1
	s_cbranch_execz .LBB70_16
	s_branch .LBB70_23
.LBB70_15:                              ;   in Loop: Header=BB70_4 Depth=1
                                        ; implicit-def: $vgpr10_vgpr11
.LBB70_16:                              ;   in Loop: Header=BB70_4 Depth=1
	s_mov_b32 s41, s40
	s_and_b64 vcc, exec, s[8:9]
	v_mov_b64_e32 v[10:11], s[40:41]
	s_cbranch_vccnz .LBB70_23
; %bb.17:                               ;   in Loop: Header=BB70_4 Depth=1
	v_mov_b32_e32 v10, 0
	s_mov_b32 s10, 0
	v_mov_b32_e32 v11, v10
	s_branch .LBB70_19
.LBB70_18:                              ;   in Loop: Header=BB70_19 Depth=2
	s_or_b64 exec, exec, s[12:13]
	s_waitcnt vmcnt(0)
	v_cvt_f32_f16_e32 v3, v3
	v_cvt_f32_f16_e32 v12, v14
	s_add_i32 s10, s10, s34
	s_ashr_i32 s11, s10, 31
	s_waitcnt lgkmcnt(0)
	v_subrev_f32_e32 v3, s15, v3
	v_mul_f32_e32 v3, v3, v12
	v_mul_f32_e32 v13, s50, v3
	v_cmp_ge_i64_e32 vcc, s[10:11], v[8:9]
	v_pk_add_f32 v[10:11], v[10:11], v[12:13]
	s_cbranch_vccnz .LBB70_23
.LBB70_19:                              ;   Parent Loop BB70_4 Depth=1
                                        ; =>  This Inner Loop Header: Depth=2
	v_add_u32_e32 v12, s10, v0
	v_ashrrev_i32_e32 v13, 31, v12
	v_cmp_gt_i64_e32 vcc, s[26:27], v[12:13]
	v_mov_b32_e32 v3, 0
	s_and_saveexec_b64 s[12:13], vcc
	s_cbranch_execz .LBB70_21
; %bb.20:                               ;   in Loop: Header=BB70_19 Depth=2
	v_lshl_add_u64 v[14:15], v[12:13], 1, s[42:43]
	global_load_ushort v3, v[14:15], off
.LBB70_21:                              ;   in Loop: Header=BB70_19 Depth=2
	s_or_b64 exec, exec, s[12:13]
	v_mov_b32_e32 v14, 0
	s_and_saveexec_b64 s[12:13], vcc
	s_cbranch_execz .LBB70_18
; %bb.22:                               ;   in Loop: Header=BB70_19 Depth=2
	v_lshl_add_u64 v[12:13], v[12:13], 1, s[44:45]
	global_load_ushort v14, v[12:13], off
	s_branch .LBB70_18
.LBB70_23:                              ;   in Loop: Header=BB70_4 Depth=1
	s_andn2_b64 vcc, exec, s[36:37]
	s_cbranch_vccnz .LBB70_26
; %bb.24:                               ;   in Loop: Header=BB70_4 Depth=1
	v_and_b32_e32 v3, 64, v20
	v_add_u32_e32 v3, 64, v3
	s_mov_b32 s10, s49
.LBB70_25:                              ;   Parent Loop BB70_4 Depth=1
                                        ; =>  This Inner Loop Header: Depth=2
	s_lshr_b32 s11, s10, 1
	v_xor_b32_e32 v12, s11, v20
	v_cmp_lt_i32_e32 vcc, v12, v3
	s_cmp_lt_u32 s10, 4
	s_mov_b32 s10, s11
	v_cndmask_b32_e32 v12, v20, v12, vcc
	v_lshlrev_b32_e32 v13, 2, v12
	ds_bpermute_b32 v12, v13, v10
	ds_bpermute_b32 v13, v13, v11
	s_waitcnt lgkmcnt(0)
	v_pk_add_f32 v[10:11], v[10:11], v[12:13]
	s_cbranch_scc0 .LBB70_25
.LBB70_26:                              ;   in Loop: Header=BB70_4 Depth=1
	s_andn2_b64 vcc, exec, s[38:39]
	s_mov_b32 s41, s48
	s_cbranch_vccnz .LBB70_38
.LBB70_27:                              ;   Parent Loop BB70_4 Depth=1
                                        ; =>  This Inner Loop Header: Depth=2
	s_lshr_b32 s51, s41, 1
	s_and_b32 s12, s41, 0xfffe
	v_cmp_le_u32_e64 s[10:11], s51, v17
	v_cmp_gt_u32_e64 s[12:13], s12, v17
	v_cmp_gt_u32_e32 vcc, s51, v17
	s_and_b64 s[12:13], s[10:11], s[12:13]
	s_and_saveexec_b64 s[10:11], s[12:13]
	s_cbranch_execz .LBB70_29
; %bb.28:                               ;   in Loop: Header=BB70_27 Depth=2
	v_subrev_u32_e32 v3, s51, v17
	v_mad_i32_i24 v3, v3, s49, v16
	v_lshl_add_u32 v3, v3, 3, 0
	ds_write_b64 v3, v[10:11]
.LBB70_29:                              ;   in Loop: Header=BB70_27 Depth=2
	s_or_b64 exec, exec, s[10:11]
	s_waitcnt lgkmcnt(0)
	s_barrier
	s_and_saveexec_b64 s[10:11], vcc
	s_cbranch_execz .LBB70_31
; %bb.30:                               ;   in Loop: Header=BB70_27 Depth=2
	ds_read_b64 v[12:13], v19
	s_waitcnt lgkmcnt(0)
	v_pk_add_f32 v[10:11], v[10:11], v[12:13]
.LBB70_31:                              ;   in Loop: Header=BB70_27 Depth=2
	s_or_b64 exec, exec, s[10:11]
	s_cmp_lt_u32 s41, 4
	s_barrier
	s_cbranch_scc1 .LBB70_33
; %bb.32:                               ;   in Loop: Header=BB70_27 Depth=2
	s_mov_b32 s41, s51
	s_branch .LBB70_27
.LBB70_33:                              ;   in Loop: Header=BB70_4 Depth=1
	s_and_saveexec_b64 s[10:11], s[0:1]
	s_cbranch_execz .LBB70_35
; %bb.34:                               ;   in Loop: Header=BB70_4 Depth=1
	ds_write_b64 v21, v[10:11]
.LBB70_35:                              ;   in Loop: Header=BB70_4 Depth=1
	s_or_b64 exec, exec, s[10:11]
	s_waitcnt lgkmcnt(0)
	s_barrier
	s_and_saveexec_b64 s[10:11], s[2:3]
	s_cbranch_execz .LBB70_37
; %bb.36:                               ;   in Loop: Header=BB70_4 Depth=1
	ds_read_b64 v[10:11], v21
.LBB70_37:                              ;   in Loop: Header=BB70_4 Depth=1
	s_or_b64 exec, exec, s[10:11]
.LBB70_38:                              ;   in Loop: Header=BB70_4 Depth=1
	s_add_u32 s10, s22, s46
	s_addc_u32 s11, s23, s47
	s_and_b64 vcc, exec, s[6:7]
	s_waitcnt lgkmcnt(0)
	v_mul_f32_e32 v22, s50, v18
	s_cbranch_vccnz .LBB70_43
; %bb.39:                               ;   in Loop: Header=BB70_4 Depth=1
	s_and_saveexec_b64 s[12:13], s[4:5]
	s_cbranch_execz .LBB70_42
; %bb.40:                               ;   in Loop: Header=BB70_4 Depth=1
	s_mov_b64 s[46:47], 0
	v_mov_b64_e32 v[12:13], v[4:5]
	v_mov_b64_e32 v[14:15], v[0:1]
.LBB70_41:                              ;   Parent Loop BB70_4 Depth=1
                                        ; =>  This Inner Loop Header: Depth=2
	v_lshlrev_b64 v[14:15], 1, v[14:15]
	v_lshl_add_u64 v[26:27], s[44:45], 0, v[14:15]
	v_lshl_add_u64 v[24:25], s[42:43], 0, v[14:15]
	global_load_ushort v3, v[26:27], off
	global_load_ushort v23, v[24:25], off
	v_lshl_add_u64 v[24:25], s[20:21], 0, v[14:15]
	global_load_ushort v26, v[24:25], off
	v_lshl_add_u64 v[12:13], v[12:13], 0, s[34:35]
	v_cmp_le_i64_e32 vcc, s[26:27], v[12:13]
	v_lshl_add_u64 v[24:25], s[10:11], 0, v[14:15]
	v_ashrrev_i32_e32 v15, 31, v12
	v_mov_b32_e32 v14, v12
	s_or_b64 s[46:47], vcc, s[46:47]
	s_waitcnt vmcnt(2)
	v_cvt_f32_f16_e32 v3, v3
	s_waitcnt vmcnt(1)
	v_cvt_f32_f16_e32 v23, v23
	v_mul_f32_e32 v3, v2, v3
	v_subrev_f32_e32 v23, s15, v23
	s_waitcnt vmcnt(0)
	v_fma_mix_f32 v3, v3, v26, -v10 op_sel_hi:[0,1,0]
	v_mul_f32_e32 v23, s50, v23
	v_fma_f32 v3, -v11, v23, v3
	v_fma_mixlo_f16 v3, v22, v3, 0
	global_store_short v[24:25], v3, off
	s_andn2_b64 exec, exec, s[46:47]
	s_cbranch_execnz .LBB70_41
.LBB70_42:                              ;   in Loop: Header=BB70_4 Depth=1
	s_or_b64 exec, exec, s[12:13]
	s_cbranch_execnz .LBB70_3
	s_branch .LBB70_44
.LBB70_43:                              ;   in Loop: Header=BB70_4 Depth=1
.LBB70_44:                              ;   in Loop: Header=BB70_4 Depth=1
	s_and_saveexec_b64 s[12:13], s[4:5]
	s_cbranch_execz .LBB70_2
; %bb.45:                               ;   in Loop: Header=BB70_4 Depth=1
	v_mov_b32_e32 v3, s50
	s_mov_b64 s[46:47], 0
	v_mov_b64_e32 v[12:13], v[4:5]
	v_mov_b64_e32 v[14:15], v[0:1]
.LBB70_46:                              ;   Parent Loop BB70_4 Depth=1
                                        ; =>  This Inner Loop Header: Depth=2
	v_lshlrev_b64 v[14:15], 1, v[14:15]
	v_lshl_add_u64 v[24:25], s[42:43], 0, v[14:15]
	v_lshl_add_u64 v[26:27], s[44:45], 0, v[14:15]
	global_load_ushort v23, v[24:25], off
	global_load_ushort v28, v[26:27], off
	v_lshl_add_u64 v[12:13], v[12:13], 0, s[34:35]
	v_cmp_le_i64_e32 vcc, s[26:27], v[12:13]
	v_lshl_add_u64 v[24:25], s[10:11], 0, v[14:15]
	v_ashrrev_i32_e32 v15, 31, v12
	v_mov_b32_e32 v14, v12
	s_or_b64 s[46:47], vcc, s[46:47]
	s_waitcnt vmcnt(1)
	v_cvt_f32_f16_e32 v23, v23
	s_waitcnt vmcnt(0)
	v_cvt_f32_f16_e32 v26, v28
	v_subrev_f32_e32 v27, s15, v23
	v_pk_mul_f32 v[26:27], v[2:3], v[26:27]
	s_nop 0
	v_sub_f32_e32 v23, v26, v10
	v_fma_f32 v23, -v27, v11, v23
	v_fma_mixlo_f16 v23, v22, v23, 0
	global_store_short v[24:25], v23, off
	s_andn2_b64 exec, exec, s[46:47]
	s_cbranch_execnz .LBB70_46
	s_branch .LBB70_2
.LBB70_47:
	s_endpgm
	.section	.rodata,"a",@progbits
	.p2align	6, 0x0
	.amdhsa_kernel _ZN2at6native12_GLOBAL__N_118cuComputeGradInputIN3c104HalfEfLb0EEEvPKT_S7_llPKT0_SA_S7_PS5_
		.amdhsa_group_segment_fixed_size 0
		.amdhsa_private_segment_fixed_size 0
		.amdhsa_kernarg_size 320
		.amdhsa_user_sgpr_count 2
		.amdhsa_user_sgpr_dispatch_ptr 0
		.amdhsa_user_sgpr_queue_ptr 0
		.amdhsa_user_sgpr_kernarg_segment_ptr 1
		.amdhsa_user_sgpr_dispatch_id 0
		.amdhsa_user_sgpr_kernarg_preload_length 0
		.amdhsa_user_sgpr_kernarg_preload_offset 0
		.amdhsa_user_sgpr_private_segment_size 0
		.amdhsa_uses_dynamic_stack 0
		.amdhsa_enable_private_segment 0
		.amdhsa_system_sgpr_workgroup_id_x 1
		.amdhsa_system_sgpr_workgroup_id_y 1
		.amdhsa_system_sgpr_workgroup_id_z 0
		.amdhsa_system_sgpr_workgroup_info 0
		.amdhsa_system_vgpr_workitem_id 1
		.amdhsa_next_free_vgpr 29
		.amdhsa_next_free_sgpr 52
		.amdhsa_accum_offset 32
		.amdhsa_reserve_vcc 1
		.amdhsa_float_round_mode_32 0
		.amdhsa_float_round_mode_16_64 0
		.amdhsa_float_denorm_mode_32 3
		.amdhsa_float_denorm_mode_16_64 3
		.amdhsa_dx10_clamp 1
		.amdhsa_ieee_mode 1
		.amdhsa_fp16_overflow 0
		.amdhsa_tg_split 0
		.amdhsa_exception_fp_ieee_invalid_op 0
		.amdhsa_exception_fp_denorm_src 0
		.amdhsa_exception_fp_ieee_div_zero 0
		.amdhsa_exception_fp_ieee_overflow 0
		.amdhsa_exception_fp_ieee_underflow 0
		.amdhsa_exception_fp_ieee_inexact 0
		.amdhsa_exception_int_div_zero 0
	.end_amdhsa_kernel
	.section	.text._ZN2at6native12_GLOBAL__N_118cuComputeGradInputIN3c104HalfEfLb0EEEvPKT_S7_llPKT0_SA_S7_PS5_,"axG",@progbits,_ZN2at6native12_GLOBAL__N_118cuComputeGradInputIN3c104HalfEfLb0EEEvPKT_S7_llPKT0_SA_S7_PS5_,comdat
.Lfunc_end70:
	.size	_ZN2at6native12_GLOBAL__N_118cuComputeGradInputIN3c104HalfEfLb0EEEvPKT_S7_llPKT0_SA_S7_PS5_, .Lfunc_end70-_ZN2at6native12_GLOBAL__N_118cuComputeGradInputIN3c104HalfEfLb0EEEvPKT_S7_llPKT0_SA_S7_PS5_
                                        ; -- End function
	.section	.AMDGPU.csdata,"",@progbits
; Kernel info:
; codeLenInByte = 1592
; NumSgprs: 58
; NumVgprs: 29
; NumAgprs: 0
; TotalNumVgprs: 29
; ScratchSize: 0
; MemoryBound: 0
; FloatMode: 240
; IeeeMode: 1
; LDSByteSize: 0 bytes/workgroup (compile time only)
; SGPRBlocks: 7
; VGPRBlocks: 3
; NumSGPRsForWavesPerEU: 58
; NumVGPRsForWavesPerEU: 29
; AccumOffset: 32
; Occupancy: 8
; WaveLimiterHint : 0
; COMPUTE_PGM_RSRC2:SCRATCH_EN: 0
; COMPUTE_PGM_RSRC2:USER_SGPR: 2
; COMPUTE_PGM_RSRC2:TRAP_HANDLER: 0
; COMPUTE_PGM_RSRC2:TGID_X_EN: 1
; COMPUTE_PGM_RSRC2:TGID_Y_EN: 1
; COMPUTE_PGM_RSRC2:TGID_Z_EN: 0
; COMPUTE_PGM_RSRC2:TIDIG_COMP_CNT: 1
; COMPUTE_PGM_RSRC3_GFX90A:ACCUM_OFFSET: 7
; COMPUTE_PGM_RSRC3_GFX90A:TG_SPLIT: 0
	.section	.text._ZN2at6native12_GLOBAL__N_128layer_norm_grad_input_kernelIN3c104HalfEfLb0EEEvPKT_S7_PKT0_SA_S7_PS5_i,"axG",@progbits,_ZN2at6native12_GLOBAL__N_128layer_norm_grad_input_kernelIN3c104HalfEfLb0EEEvPKT_S7_PKT0_SA_S7_PS5_i,comdat
	.globl	_ZN2at6native12_GLOBAL__N_128layer_norm_grad_input_kernelIN3c104HalfEfLb0EEEvPKT_S7_PKT0_SA_S7_PS5_i ; -- Begin function _ZN2at6native12_GLOBAL__N_128layer_norm_grad_input_kernelIN3c104HalfEfLb0EEEvPKT_S7_PKT0_SA_S7_PS5_i
	.p2align	8
	.type	_ZN2at6native12_GLOBAL__N_128layer_norm_grad_input_kernelIN3c104HalfEfLb0EEEvPKT_S7_PKT0_SA_S7_PS5_i,@function
_ZN2at6native12_GLOBAL__N_128layer_norm_grad_input_kernelIN3c104HalfEfLb0EEEvPKT_S7_PKT0_SA_S7_PS5_i: ; @_ZN2at6native12_GLOBAL__N_128layer_norm_grad_input_kernelIN3c104HalfEfLb0EEEvPKT_S7_PKT0_SA_S7_PS5_i
; %bb.0:
	s_load_dword s30, s[0:1], 0x30
	s_load_dwordx2 s[12:13], s[0:1], 0x20
	s_load_dwordx8 s[4:11], s[0:1], 0x0
	s_mov_b32 s3, 0
	v_lshlrev_b32_e32 v4, 2, v0
	s_waitcnt lgkmcnt(0)
	s_ashr_i32 s14, s30, 31
	s_mul_hi_u32 s15, s30, s2
	s_mul_i32 s14, s14, s2
	s_add_i32 s17, s15, s14
	s_lshl_b64 s[14:15], s[2:3], 2
	s_add_u32 s8, s8, s14
	s_addc_u32 s9, s9, s15
	s_load_dword s31, s[8:9], 0x0
	s_add_u32 s8, s10, s14
	s_mul_i32 s16, s30, s2
	s_addc_u32 s9, s11, s15
	s_load_dword s33, s[8:9], 0x0
	s_lshl_b64 s[14:15], s[16:17], 1
	s_add_u32 s8, s6, s14
	s_addc_u32 s9, s7, s15
	s_add_u32 s10, s4, s14
	v_or_b32_e32 v1, 3, v4
	s_mov_b32 s2, s3
	s_addc_u32 s11, s5, s15
	v_cmp_gt_u32_e32 vcc, s30, v1
	v_mov_b64_e32 v[2:3], s[2:3]
	s_and_saveexec_b64 s[18:19], vcc
	s_cbranch_execz .LBB71_12
; %bb.1:
	s_load_dword s2, s[0:1], 0x44
	s_cmp_lg_u64 s[12:13], 0
	s_cselect_b64 s[22:23], -1, 0
	v_mov_b32_e32 v2, 0
	v_cndmask_b32_e64 v1, 0, 1, s[22:23]
	s_waitcnt lgkmcnt(0)
	s_and_b32 s2, s2, 0xffff
	s_lshl_b32 s34, s2, 2
	s_add_u32 s24, s12, 2
	s_addc_u32 s25, s13, 0
	s_add_u32 s26, s12, 4
	s_addc_u32 s27, s13, 0
	s_add_u32 s28, s12, 6
	s_mov_b64 s[20:21], 0
	s_addc_u32 s29, s13, 0
	v_mov_b32_e32 v5, 0
	v_cmp_ne_u32_e64 s[2:3], 1, v1
	v_mov_b32_e32 v3, v2
	s_branch .LBB71_3
.LBB71_2:                               ;   in Loop: Header=BB71_3 Depth=1
	global_load_ushort v19, v[6:7], off offset:6
	global_load_ushort v20, v[8:9], off offset:6
	s_waitcnt vmcnt(7)
	v_cvt_f32_f16_e32 v6, v13
	s_waitcnt vmcnt(6)
	v_cvt_f32_f16_e32 v7, v14
	;; [unrolled: 2-line block ×5, first 2 shown]
	v_subrev_f32_e32 v6, s31, v6
	v_mul_f32_e32 v7, v10, v7
	v_cvt_f32_f16_e32 v8, v15
	v_mul_f32_e32 v9, v1, v9
	v_subrev_f32_e32 v1, s31, v13
	v_mul_f32_e32 v13, v12, v14
	v_mul_f32_e32 v6, v6, v7
	;; [unrolled: 1-line block ×5, first 2 shown]
	v_pk_add_f32 v[2:3], v[2:3], v[6:7]
	v_subrev_f32_e32 v8, s31, v8
	v_mul_f32_e32 v8, v8, v9
	v_add_u32_e32 v4, s34, v4
	v_mul_f32_e32 v8, s33, v8
	v_add_u32_e32 v15, 3, v4
	v_pk_add_f32 v[2:3], v[2:3], v[8:9]
	v_cmp_le_u32_e32 vcc, s30, v15
	v_pk_add_f32 v[2:3], v[2:3], v[12:13]
	s_or_b64 s[20:21], vcc, s[20:21]
	s_waitcnt vmcnt(1)
	v_cvt_f32_f16_e32 v1, v19
	s_waitcnt vmcnt(0)
	v_cvt_f32_f16_e32 v6, v20
	v_subrev_f32_e32 v1, s31, v1
	v_mul_f32_e32 v7, v11, v6
	v_mul_f32_e32 v1, v1, v7
	;; [unrolled: 1-line block ×3, first 2 shown]
	v_pk_add_f32 v[2:3], v[2:3], v[6:7]
	s_andn2_b64 exec, exec, s[20:21]
	s_cbranch_execz .LBB71_11
.LBB71_3:                               ; =>This Inner Loop Header: Depth=1
	s_and_b64 vcc, exec, s[22:23]
	v_mov_b32_e32 v1, 1.0
	v_mov_b32_e32 v10, 1.0
	s_cbranch_vccz .LBB71_5
; %bb.4:                                ;   in Loop: Header=BB71_3 Depth=1
	v_lshl_add_u64 v[6:7], v[4:5], 1, s[12:13]
	global_load_ushort v6, v[6:7], off
	s_waitcnt vmcnt(0)
	v_cvt_f32_f16_e32 v10, v6
.LBB71_5:                               ;   in Loop: Header=BB71_3 Depth=1
	v_lshlrev_b64 v[8:9], 1, v[4:5]
	v_lshl_add_u64 v[6:7], s[8:9], 0, v[8:9]
	v_lshl_add_u64 v[8:9], s[10:11], 0, v[8:9]
	global_load_ushort v13, v[6:7], off
	global_load_ushort v14, v[8:9], off
	s_and_b64 vcc, exec, s[2:3]
	s_cbranch_vccnz .LBB71_7
; %bb.6:                                ;   in Loop: Header=BB71_3 Depth=1
	v_lshl_add_u64 v[16:17], v[4:5], 1, s[24:25]
	global_load_ushort v1, v[16:17], off
	s_waitcnt vmcnt(0)
	v_cvt_f32_f16_e32 v1, v1
.LBB71_7:                               ;   in Loop: Header=BB71_3 Depth=1
	global_load_ushort v15, v[6:7], off offset:2
	global_load_ushort v16, v[8:9], off offset:2
	s_and_b64 vcc, exec, s[2:3]
	v_mov_b32_e32 v11, 1.0
	v_mov_b32_e32 v12, 1.0
	s_cbranch_vccnz .LBB71_9
; %bb.8:                                ;   in Loop: Header=BB71_3 Depth=1
	v_lshl_add_u64 v[18:19], v[4:5], 1, s[26:27]
	global_load_ushort v12, v[18:19], off
	s_waitcnt vmcnt(0)
	v_cvt_f32_f16_e32 v12, v12
.LBB71_9:                               ;   in Loop: Header=BB71_3 Depth=1
	global_load_ushort v17, v[6:7], off offset:4
	global_load_ushort v18, v[8:9], off offset:4
	s_and_b64 vcc, exec, s[2:3]
	s_cbranch_vccnz .LBB71_2
; %bb.10:                               ;   in Loop: Header=BB71_3 Depth=1
	v_lshl_add_u64 v[20:21], v[4:5], 1, s[28:29]
	global_load_ushort v11, v[20:21], off
	s_waitcnt vmcnt(0)
	v_cvt_f32_f16_e32 v11, v11
	s_branch .LBB71_2
.LBB71_11:
	s_or_b64 exec, exec, s[20:21]
.LBB71_12:
	s_or_b64 exec, exec, s[18:19]
	v_cmp_gt_u32_e32 vcc, s30, v4
	s_and_saveexec_b64 s[18:19], vcc
	s_cbranch_execz .LBB71_19
; %bb.13:
	s_cmp_lg_u64 s[12:13], 0
	v_mov_b32_e32 v5, 0
	v_lshlrev_b64 v[8:9], 1, v[4:5]
	s_cselect_b64 s[2:3], -1, 0
	v_lshl_add_u64 v[10:11], s[16:17], 1, v[8:9]
	v_cndmask_b32_e64 v1, 0, 1, s[2:3]
	s_mov_b64 s[20:21], 0
	v_lshl_add_u64 v[6:7], s[12:13], 0, v[8:9]
	v_lshl_add_u64 v[8:9], s[6:7], 0, v[10:11]
	;; [unrolled: 1-line block ×3, first 2 shown]
	v_cmp_ne_u32_e64 s[2:3], 1, v1
	s_branch .LBB71_16
.LBB71_14:                              ;   in Loop: Header=BB71_16 Depth=1
	global_load_ushort v1, v[6:7], off
	s_waitcnt vmcnt(0)
	v_cvt_f32_f16_e32 v1, v1
.LBB71_15:                              ;   in Loop: Header=BB71_16 Depth=1
	global_load_ushort v5, v[8:9], off
	global_load_ushort v12, v[10:11], off
	v_add_u32_e32 v4, 1, v4
	v_cmp_le_u32_e32 vcc, s30, v4
	v_lshl_add_u64 v[6:7], v[6:7], 0, 2
	v_lshl_add_u64 v[8:9], v[8:9], 0, 2
	s_or_b64 s[20:21], vcc, s[20:21]
	v_lshl_add_u64 v[10:11], v[10:11], 0, 2
	s_waitcnt vmcnt(1)
	v_cvt_f32_f16_e32 v5, v5
	s_waitcnt vmcnt(0)
	v_cvt_f32_f16_e32 v12, v12
	s_waitcnt lgkmcnt(0)
	v_subrev_f32_e32 v5, s31, v5
	v_mul_f32_e32 v13, v1, v12
	v_mul_f32_e32 v1, v5, v13
	;; [unrolled: 1-line block ×3, first 2 shown]
	v_pk_add_f32 v[2:3], v[2:3], v[12:13]
	s_andn2_b64 exec, exec, s[20:21]
	s_cbranch_execz .LBB71_18
.LBB71_16:                              ; =>This Inner Loop Header: Depth=1
	s_and_b64 vcc, exec, s[2:3]
	s_cbranch_vccz .LBB71_14
; %bb.17:                               ;   in Loop: Header=BB71_16 Depth=1
	v_mov_b32_e32 v1, 1.0
	s_branch .LBB71_15
.LBB71_18:
	s_or_b64 exec, exec, s[20:21]
.LBB71_19:
	s_or_b64 exec, exec, s[18:19]
	v_mbcnt_lo_u32_b32 v1, -1, 0
	v_mbcnt_hi_u32_b32 v5, -1, v1
	v_and_b32_e32 v9, 63, v5
	v_cmp_gt_u32_e32 vcc, 32, v9
	s_waitcnt lgkmcnt(0)
	s_barrier
	v_cndmask_b32_e64 v1, 0, 1, vcc
	v_lshlrev_b32_e32 v1, 5, v1
	v_add_lshl_u32 v1, v1, v5, 2
	ds_bpermute_b32 v4, v1, v3
	v_cmp_gt_u32_e32 vcc, 48, v9
	s_waitcnt lgkmcnt(0)
	v_add_f32_e32 v4, v3, v4
	v_cndmask_b32_e64 v6, 0, 1, vcc
	v_lshlrev_b32_e32 v6, 4, v6
	v_add_lshl_u32 v3, v6, v5, 2
	ds_bpermute_b32 v6, v3, v4
	v_cmp_gt_u32_e32 vcc, 56, v9
	s_waitcnt lgkmcnt(0)
	v_add_f32_e32 v4, v4, v6
	;; [unrolled: 7-line block ×4, first 2 shown]
	v_cndmask_b32_e64 v10, 0, 1, vcc
	v_lshlrev_b32_e32 v10, 1, v10
	v_add_lshl_u32 v8, v10, v5, 2
	ds_bpermute_b32 v11, v8, v4
	v_cmp_ne_u32_e32 vcc, 63, v9
	v_and_b32_e32 v10, 63, v0
	s_waitcnt lgkmcnt(0)
	v_add_f32_e32 v4, v4, v11
	v_addc_co_u32_e32 v5, vcc, 0, v5, vcc
	v_lshlrev_b32_e32 v9, 2, v5
	ds_bpermute_b32 v11, v9, v4
	v_cmp_eq_u32_e32 vcc, 0, v10
	v_lshrrev_b32_e32 v5, 4, v0
	s_and_saveexec_b64 s[2:3], vcc
	s_cbranch_execz .LBB71_21
; %bb.20:
	v_add_u32_e32 v12, 0, v5
	s_waitcnt lgkmcnt(0)
	v_add_f32_e32 v4, v4, v11
	ds_write_b32 v12, v4
.LBB71_21:
	s_or_b64 exec, exec, s[2:3]
	s_waitcnt lgkmcnt(0)
	s_barrier
	s_load_dword s16, s[0:1], 0x44
	v_mov_b32_e32 v4, 0
	v_lshl_add_u32 v10, v10, 2, 0
	s_waitcnt lgkmcnt(0)
	s_bfe_u32 s2, s16, 0xa0006
	v_cmp_gt_u32_e64 s[2:3], s2, v0
	s_and_saveexec_b64 s[4:5], s[2:3]
	s_cbranch_execz .LBB71_23
; %bb.22:
	ds_read_b32 v4, v10
.LBB71_23:
	s_or_b64 exec, exec, s[4:5]
	v_cmp_gt_u32_e64 s[4:5], 64, v0
	s_and_saveexec_b64 s[6:7], s[4:5]
	s_cbranch_execz .LBB71_25
; %bb.24:
	s_waitcnt lgkmcnt(0)
	ds_bpermute_b32 v11, v1, v4
	s_waitcnt lgkmcnt(0)
	v_add_f32_e32 v4, v4, v11
	ds_bpermute_b32 v11, v3, v4
	s_waitcnt lgkmcnt(0)
	v_add_f32_e32 v4, v4, v11
	ds_bpermute_b32 v11, v6, v4
	s_waitcnt lgkmcnt(0)
	v_add_f32_e32 v4, v4, v11
	ds_bpermute_b32 v11, v7, v4
	s_waitcnt lgkmcnt(0)
	v_add_f32_e32 v4, v4, v11
	ds_bpermute_b32 v11, v8, v4
	s_waitcnt lgkmcnt(0)
	v_add_f32_e32 v4, v4, v11
	ds_bpermute_b32 v11, v9, v4
	s_waitcnt lgkmcnt(0)
	v_add_f32_e32 v4, v4, v11
.LBB71_25:
	s_or_b64 exec, exec, s[6:7]
	ds_bpermute_b32 v11, v1, v2
	s_waitcnt lgkmcnt(0)
	s_barrier
	v_add_f32_e32 v2, v2, v11
	ds_bpermute_b32 v11, v3, v2
	s_waitcnt lgkmcnt(0)
	v_add_f32_e32 v2, v2, v11
	ds_bpermute_b32 v11, v6, v2
	s_waitcnt lgkmcnt(0)
	;; [unrolled: 3-line block ×4, first 2 shown]
	v_add_f32_e32 v2, v2, v11
	ds_bpermute_b32 v11, v9, v2
	s_and_saveexec_b64 s[6:7], vcc
	s_cbranch_execz .LBB71_27
; %bb.26:
	v_add_u32_e32 v5, 0, v5
	s_waitcnt lgkmcnt(0)
	v_add_f32_e32 v2, v2, v11
	ds_write_b32 v5, v2
.LBB71_27:
	s_or_b64 exec, exec, s[6:7]
	v_mov_b32_e32 v5, 0
	s_waitcnt lgkmcnt(0)
	s_barrier
	s_and_saveexec_b64 s[6:7], s[2:3]
	s_cbranch_execnz .LBB71_38
; %bb.28:
	s_or_b64 exec, exec, s[6:7]
	s_and_saveexec_b64 s[2:3], s[4:5]
	s_cbranch_execnz .LBB71_39
.LBB71_29:
	s_or_b64 exec, exec, s[2:3]
	v_cmp_eq_u32_e32 vcc, 0, v0
	s_and_saveexec_b64 s[2:3], vcc
	s_cbranch_execz .LBB71_31
.LBB71_30:
	v_mov_b32_e32 v1, 0
	s_waitcnt lgkmcnt(0)
	ds_write_b64 v1, v[4:5]
.LBB71_31:
	s_or_b64 exec, exec, s[2:3]
	v_cmp_gt_i32_e32 vcc, s30, v0
	s_waitcnt lgkmcnt(0)
	s_barrier
	s_and_saveexec_b64 s[2:3], vcc
	s_cbranch_execz .LBB71_37
; %bb.32:
	v_cvt_f32_i32_e32 v4, s30
	s_load_dwordx2 s[0:1], s[0:1], 0x28
	v_mov_b32_e32 v1, 0
	ds_read_b64 v[2:3], v1
	v_div_scale_f32 v5, s[2:3], v4, v4, 1.0
	v_rcp_f32_e32 v6, v5
	v_div_scale_f32 v1, vcc, 1.0, v4, 1.0
	s_and_b32 s6, s16, 0xffff
	v_fma_f32 v7, -v5, v6, 1.0
	v_fmac_f32_e32 v6, v7, v6
	v_mul_f32_e32 v7, v1, v6
	v_fma_f32 v8, -v5, v7, v1
	v_fmac_f32_e32 v7, v8, v6
	s_waitcnt lgkmcnt(0)
	s_add_u32 s2, s0, s14
	v_fma_f32 v1, -v5, v7, v1
	s_addc_u32 s3, s1, s15
	v_div_fmas_f32 v1, v1, v6, v7
	s_cmp_lg_u64 s[12:13], 0
	v_div_fixup_f32 v1, v1, v4, 1.0
	s_cselect_b64 s[0:1], -1, 0
	v_mul_f32_e32 v5, s33, v1
	v_cndmask_b32_e64 v1, 0, 1, s[0:1]
	s_mov_b64 s[4:5], 0
	v_cmp_ne_u32_e64 s[0:1], 1, v1
	s_branch .LBB71_35
.LBB71_33:                              ;   in Loop: Header=BB71_35 Depth=1
	v_lshl_add_u64 v[8:9], v[0:1], 1, s[12:13]
	global_load_ushort v8, v[8:9], off
	s_waitcnt vmcnt(0)
	v_cvt_f32_f16_e32 v8, v8
.LBB71_34:                              ;   in Loop: Header=BB71_35 Depth=1
	s_waitcnt vmcnt(1)
	v_cvt_f32_f16_e32 v7, v7
	v_mul_f32_e32 v10, v8, v4
	v_lshl_add_u64 v[8:9], v[0:1], 1, s[2:3]
	v_add_u32_e32 v0, s6, v0
	v_subrev_f32_e32 v1, s31, v7
	v_mul_f32_e32 v1, s33, v1
	v_mul_f32_e32 v1, v3, v1
	s_waitcnt vmcnt(0)
	v_fma_mix_f32 v1, v10, v6, -v1 op_sel_hi:[0,1,0]
	v_sub_f32_e32 v1, v1, v2
	v_cmp_le_i32_e32 vcc, s30, v0
	v_fma_mixlo_f16 v1, v5, v1, 0
	s_or_b64 s[4:5], vcc, s[4:5]
	global_store_short v[8:9], v1, off
	s_andn2_b64 exec, exec, s[4:5]
	s_cbranch_execz .LBB71_37
.LBB71_35:                              ; =>This Inner Loop Header: Depth=1
	v_ashrrev_i32_e32 v1, 31, v0
	v_lshlrev_b64 v[8:9], 1, v[0:1]
	v_lshl_add_u64 v[6:7], s[8:9], 0, v[8:9]
	v_lshl_add_u64 v[8:9], s[10:11], 0, v[8:9]
	global_load_ushort v7, v[6:7], off
	s_and_b64 vcc, exec, s[0:1]
	global_load_ushort v6, v[8:9], off
	s_cbranch_vccz .LBB71_33
; %bb.36:                               ;   in Loop: Header=BB71_35 Depth=1
	v_mov_b32_e32 v8, 1.0
	s_branch .LBB71_34
.LBB71_37:
	s_endpgm
.LBB71_38:
	ds_read_b32 v5, v10
	s_or_b64 exec, exec, s[6:7]
	s_and_saveexec_b64 s[2:3], s[4:5]
	s_cbranch_execz .LBB71_29
.LBB71_39:
	s_waitcnt lgkmcnt(0)
	ds_bpermute_b32 v1, v1, v5
	s_waitcnt lgkmcnt(0)
	v_add_f32_e32 v1, v5, v1
	ds_bpermute_b32 v2, v3, v1
	s_waitcnt lgkmcnt(0)
	v_add_f32_e32 v1, v1, v2
	;; [unrolled: 3-line block ×6, first 2 shown]
	s_or_b64 exec, exec, s[2:3]
	v_cmp_eq_u32_e32 vcc, 0, v0
	s_and_saveexec_b64 s[2:3], vcc
	s_cbranch_execnz .LBB71_30
	s_branch .LBB71_31
	.section	.rodata,"a",@progbits
	.p2align	6, 0x0
	.amdhsa_kernel _ZN2at6native12_GLOBAL__N_128layer_norm_grad_input_kernelIN3c104HalfEfLb0EEEvPKT_S7_PKT0_SA_S7_PS5_i
		.amdhsa_group_segment_fixed_size 0
		.amdhsa_private_segment_fixed_size 0
		.amdhsa_kernarg_size 312
		.amdhsa_user_sgpr_count 2
		.amdhsa_user_sgpr_dispatch_ptr 0
		.amdhsa_user_sgpr_queue_ptr 0
		.amdhsa_user_sgpr_kernarg_segment_ptr 1
		.amdhsa_user_sgpr_dispatch_id 0
		.amdhsa_user_sgpr_kernarg_preload_length 0
		.amdhsa_user_sgpr_kernarg_preload_offset 0
		.amdhsa_user_sgpr_private_segment_size 0
		.amdhsa_uses_dynamic_stack 0
		.amdhsa_enable_private_segment 0
		.amdhsa_system_sgpr_workgroup_id_x 1
		.amdhsa_system_sgpr_workgroup_id_y 0
		.amdhsa_system_sgpr_workgroup_id_z 0
		.amdhsa_system_sgpr_workgroup_info 0
		.amdhsa_system_vgpr_workitem_id 0
		.amdhsa_next_free_vgpr 22
		.amdhsa_next_free_sgpr 35
		.amdhsa_accum_offset 24
		.amdhsa_reserve_vcc 1
		.amdhsa_float_round_mode_32 0
		.amdhsa_float_round_mode_16_64 0
		.amdhsa_float_denorm_mode_32 3
		.amdhsa_float_denorm_mode_16_64 3
		.amdhsa_dx10_clamp 1
		.amdhsa_ieee_mode 1
		.amdhsa_fp16_overflow 0
		.amdhsa_tg_split 0
		.amdhsa_exception_fp_ieee_invalid_op 0
		.amdhsa_exception_fp_denorm_src 0
		.amdhsa_exception_fp_ieee_div_zero 0
		.amdhsa_exception_fp_ieee_overflow 0
		.amdhsa_exception_fp_ieee_underflow 0
		.amdhsa_exception_fp_ieee_inexact 0
		.amdhsa_exception_int_div_zero 0
	.end_amdhsa_kernel
	.section	.text._ZN2at6native12_GLOBAL__N_128layer_norm_grad_input_kernelIN3c104HalfEfLb0EEEvPKT_S7_PKT0_SA_S7_PS5_i,"axG",@progbits,_ZN2at6native12_GLOBAL__N_128layer_norm_grad_input_kernelIN3c104HalfEfLb0EEEvPKT_S7_PKT0_SA_S7_PS5_i,comdat
.Lfunc_end71:
	.size	_ZN2at6native12_GLOBAL__N_128layer_norm_grad_input_kernelIN3c104HalfEfLb0EEEvPKT_S7_PKT0_SA_S7_PS5_i, .Lfunc_end71-_ZN2at6native12_GLOBAL__N_128layer_norm_grad_input_kernelIN3c104HalfEfLb0EEEvPKT_S7_PKT0_SA_S7_PS5_i
                                        ; -- End function
	.section	.AMDGPU.csdata,"",@progbits
; Kernel info:
; codeLenInByte = 2040
; NumSgprs: 41
; NumVgprs: 22
; NumAgprs: 0
; TotalNumVgprs: 22
; ScratchSize: 0
; MemoryBound: 0
; FloatMode: 240
; IeeeMode: 1
; LDSByteSize: 0 bytes/workgroup (compile time only)
; SGPRBlocks: 5
; VGPRBlocks: 2
; NumSGPRsForWavesPerEU: 41
; NumVGPRsForWavesPerEU: 22
; AccumOffset: 24
; Occupancy: 8
; WaveLimiterHint : 0
; COMPUTE_PGM_RSRC2:SCRATCH_EN: 0
; COMPUTE_PGM_RSRC2:USER_SGPR: 2
; COMPUTE_PGM_RSRC2:TRAP_HANDLER: 0
; COMPUTE_PGM_RSRC2:TGID_X_EN: 1
; COMPUTE_PGM_RSRC2:TGID_Y_EN: 0
; COMPUTE_PGM_RSRC2:TGID_Z_EN: 0
; COMPUTE_PGM_RSRC2:TIDIG_COMP_CNT: 0
; COMPUTE_PGM_RSRC3_GFX90A:ACCUM_OFFSET: 5
; COMPUTE_PGM_RSRC3_GFX90A:TG_SPLIT: 0
	.section	.text._ZN2at6native12_GLOBAL__N_133GammaBetaBackwardSimpleCUDAKernelIN3c104HalfEfLb0EEEvllPKT_S7_PKT0_SA_PS5_SB_,"axG",@progbits,_ZN2at6native12_GLOBAL__N_133GammaBetaBackwardSimpleCUDAKernelIN3c104HalfEfLb0EEEvllPKT_S7_PKT0_SA_PS5_SB_,comdat
	.globl	_ZN2at6native12_GLOBAL__N_133GammaBetaBackwardSimpleCUDAKernelIN3c104HalfEfLb0EEEvllPKT_S7_PKT0_SA_PS5_SB_ ; -- Begin function _ZN2at6native12_GLOBAL__N_133GammaBetaBackwardSimpleCUDAKernelIN3c104HalfEfLb0EEEvllPKT_S7_PKT0_SA_PS5_SB_
	.p2align	8
	.type	_ZN2at6native12_GLOBAL__N_133GammaBetaBackwardSimpleCUDAKernelIN3c104HalfEfLb0EEEvllPKT_S7_PKT0_SA_PS5_SB_,@function
_ZN2at6native12_GLOBAL__N_133GammaBetaBackwardSimpleCUDAKernelIN3c104HalfEfLb0EEEvllPKT_S7_PKT0_SA_PS5_SB_: ; @_ZN2at6native12_GLOBAL__N_133GammaBetaBackwardSimpleCUDAKernelIN3c104HalfEfLb0EEEvllPKT_S7_PKT0_SA_PS5_SB_
; %bb.0:
	s_load_dword s3, s[0:1], 0x4c
	s_load_dwordx16 s[4:19], s[0:1], 0x0
	v_mov_b32_e32 v1, 0
	v_mov_b32_e32 v2, s2
	s_waitcnt lgkmcnt(0)
	s_and_b32 s0, s3, 0xffff
	v_mad_u64_u32 v[2:3], s[0:1], s0, v2, v[0:1]
	v_cmp_gt_i64_e32 vcc, s[6:7], v[2:3]
	s_and_saveexec_b64 s[0:1], vcc
	s_cbranch_execz .LBB72_13
; %bb.1:
	v_cmp_lt_i64_e64 s[0:1], s[4:5], 1
	s_and_b64 vcc, exec, s[0:1]
	v_mov_b32_e32 v0, 0
	s_cbranch_vccnz .LBB72_9
; %bb.2:
	s_cmp_lg_u64 s[16:17], 0
	s_cselect_b64 s[0:1], -1, 0
	s_cmp_lg_u64 s[18:19], 0
	s_cselect_b64 s[2:3], -1, 0
	v_cndmask_b32_e64 v4, 0, 1, s[0:1]
	v_cmp_ne_u32_e64 s[0:1], 1, v4
	v_cndmask_b32_e64 v4, 0, 1, s[2:3]
	v_lshlrev_b64 v[0:1], 1, v[2:3]
	s_lshl_b64 s[6:7], s[6:7], 1
	v_mov_b32_e32 v6, 0
	v_cmp_ne_u32_e64 s[2:3], 1, v4
	v_mov_b32_e32 v7, 0
	s_branch .LBB72_4
.LBB72_3:                               ;   in Loop: Header=BB72_4 Depth=1
	s_add_u32 s4, s4, -1
	s_addc_u32 s5, s5, -1
	s_add_u32 s14, s14, 4
	s_addc_u32 s15, s15, 0
	s_add_u32 s12, s12, 4
	s_addc_u32 s13, s13, 0
	v_add_f32_e32 v6, v6, v8
	v_add_f32_e32 v7, v7, v9
	s_cmp_eq_u64 s[4:5], 0
	v_lshl_add_u64 v[0:1], v[0:1], 0, s[6:7]
	s_cbranch_scc1 .LBB72_8
.LBB72_4:                               ; =>This Inner Loop Header: Depth=1
	s_and_b64 vcc, exec, s[0:1]
	v_lshl_add_u64 v[4:5], s[8:9], 0, v[0:1]
	v_mov_b32_e32 v8, 0
	s_cbranch_vccnz .LBB72_6
; %bb.5:                                ;   in Loop: Header=BB72_4 Depth=1
	v_lshl_add_u64 v[8:9], s[10:11], 0, v[0:1]
	global_load_ushort v8, v[8:9], off
	s_load_dword s20, s[12:13], 0x0
	global_load_ushort v10, v[4:5], off
	s_load_dword s21, s[14:15], 0x0
	s_waitcnt vmcnt(1)
	v_cvt_f32_f16_e32 v8, v8
	s_waitcnt vmcnt(0)
	v_cvt_f32_f16_e32 v9, v10
	s_waitcnt lgkmcnt(0)
	v_subrev_f32_e32 v8, s20, v8
	v_mul_f32_e32 v8, v8, v9
	v_mul_f32_e32 v8, s21, v8
.LBB72_6:                               ;   in Loop: Header=BB72_4 Depth=1
	s_and_b64 vcc, exec, s[2:3]
	v_mov_b32_e32 v9, 0
	s_cbranch_vccnz .LBB72_3
; %bb.7:                                ;   in Loop: Header=BB72_4 Depth=1
	global_load_ushort v4, v[4:5], off
	s_waitcnt vmcnt(0)
	v_cvt_f32_f16_e32 v9, v4
	s_branch .LBB72_3
.LBB72_8:
	v_cvt_f16_f32_e32 v1, v6
	v_cvt_f16_f32_e32 v0, v7
.LBB72_9:
	s_cmp_lg_u64 s[16:17], 0
	s_cbranch_scc0 .LBB72_11
; %bb.10:
	v_lshl_add_u64 v[4:5], v[2:3], 1, s[16:17]
	global_store_short v[4:5], v1, off
.LBB72_11:
	s_cmp_eq_u64 s[18:19], 0
	s_cbranch_scc1 .LBB72_13
; %bb.12:
	v_lshl_add_u64 v[2:3], v[2:3], 1, s[18:19]
	global_store_short v[2:3], v0, off
.LBB72_13:
	s_endpgm
	.section	.rodata,"a",@progbits
	.p2align	6, 0x0
	.amdhsa_kernel _ZN2at6native12_GLOBAL__N_133GammaBetaBackwardSimpleCUDAKernelIN3c104HalfEfLb0EEEvllPKT_S7_PKT0_SA_PS5_SB_
		.amdhsa_group_segment_fixed_size 0
		.amdhsa_private_segment_fixed_size 0
		.amdhsa_kernarg_size 320
		.amdhsa_user_sgpr_count 2
		.amdhsa_user_sgpr_dispatch_ptr 0
		.amdhsa_user_sgpr_queue_ptr 0
		.amdhsa_user_sgpr_kernarg_segment_ptr 1
		.amdhsa_user_sgpr_dispatch_id 0
		.amdhsa_user_sgpr_kernarg_preload_length 0
		.amdhsa_user_sgpr_kernarg_preload_offset 0
		.amdhsa_user_sgpr_private_segment_size 0
		.amdhsa_uses_dynamic_stack 0
		.amdhsa_enable_private_segment 0
		.amdhsa_system_sgpr_workgroup_id_x 1
		.amdhsa_system_sgpr_workgroup_id_y 0
		.amdhsa_system_sgpr_workgroup_id_z 0
		.amdhsa_system_sgpr_workgroup_info 0
		.amdhsa_system_vgpr_workitem_id 0
		.amdhsa_next_free_vgpr 11
		.amdhsa_next_free_sgpr 22
		.amdhsa_accum_offset 12
		.amdhsa_reserve_vcc 1
		.amdhsa_float_round_mode_32 0
		.amdhsa_float_round_mode_16_64 0
		.amdhsa_float_denorm_mode_32 3
		.amdhsa_float_denorm_mode_16_64 3
		.amdhsa_dx10_clamp 1
		.amdhsa_ieee_mode 1
		.amdhsa_fp16_overflow 0
		.amdhsa_tg_split 0
		.amdhsa_exception_fp_ieee_invalid_op 0
		.amdhsa_exception_fp_denorm_src 0
		.amdhsa_exception_fp_ieee_div_zero 0
		.amdhsa_exception_fp_ieee_overflow 0
		.amdhsa_exception_fp_ieee_underflow 0
		.amdhsa_exception_fp_ieee_inexact 0
		.amdhsa_exception_int_div_zero 0
	.end_amdhsa_kernel
	.section	.text._ZN2at6native12_GLOBAL__N_133GammaBetaBackwardSimpleCUDAKernelIN3c104HalfEfLb0EEEvllPKT_S7_PKT0_SA_PS5_SB_,"axG",@progbits,_ZN2at6native12_GLOBAL__N_133GammaBetaBackwardSimpleCUDAKernelIN3c104HalfEfLb0EEEvllPKT_S7_PKT0_SA_PS5_SB_,comdat
.Lfunc_end72:
	.size	_ZN2at6native12_GLOBAL__N_133GammaBetaBackwardSimpleCUDAKernelIN3c104HalfEfLb0EEEvllPKT_S7_PKT0_SA_PS5_SB_, .Lfunc_end72-_ZN2at6native12_GLOBAL__N_133GammaBetaBackwardSimpleCUDAKernelIN3c104HalfEfLb0EEEvllPKT_S7_PKT0_SA_PS5_SB_
                                        ; -- End function
	.section	.AMDGPU.csdata,"",@progbits
; Kernel info:
; codeLenInByte = 380
; NumSgprs: 28
; NumVgprs: 11
; NumAgprs: 0
; TotalNumVgprs: 11
; ScratchSize: 0
; MemoryBound: 0
; FloatMode: 240
; IeeeMode: 1
; LDSByteSize: 0 bytes/workgroup (compile time only)
; SGPRBlocks: 3
; VGPRBlocks: 1
; NumSGPRsForWavesPerEU: 28
; NumVGPRsForWavesPerEU: 11
; AccumOffset: 12
; Occupancy: 8
; WaveLimiterHint : 0
; COMPUTE_PGM_RSRC2:SCRATCH_EN: 0
; COMPUTE_PGM_RSRC2:USER_SGPR: 2
; COMPUTE_PGM_RSRC2:TRAP_HANDLER: 0
; COMPUTE_PGM_RSRC2:TGID_X_EN: 1
; COMPUTE_PGM_RSRC2:TGID_Y_EN: 0
; COMPUTE_PGM_RSRC2:TGID_Z_EN: 0
; COMPUTE_PGM_RSRC2:TIDIG_COMP_CNT: 0
; COMPUTE_PGM_RSRC3_GFX90A:ACCUM_OFFSET: 2
; COMPUTE_PGM_RSRC3_GFX90A:TG_SPLIT: 0
	.section	.text._ZN2at6native12_GLOBAL__N_135GammaBetaBackwardCUDAKernelTemplateIN3c104HalfEfLj64ELj1ELj32ELb1ELb1ELb0EEEvllPKT_S7_PKT0_SA_PS5_SB_,"axG",@progbits,_ZN2at6native12_GLOBAL__N_135GammaBetaBackwardCUDAKernelTemplateIN3c104HalfEfLj64ELj1ELj32ELb1ELb1ELb0EEEvllPKT_S7_PKT0_SA_PS5_SB_,comdat
	.globl	_ZN2at6native12_GLOBAL__N_135GammaBetaBackwardCUDAKernelTemplateIN3c104HalfEfLj64ELj1ELj32ELb1ELb1ELb0EEEvllPKT_S7_PKT0_SA_PS5_SB_ ; -- Begin function _ZN2at6native12_GLOBAL__N_135GammaBetaBackwardCUDAKernelTemplateIN3c104HalfEfLj64ELj1ELj32ELb1ELb1ELb0EEEvllPKT_S7_PKT0_SA_PS5_SB_
	.p2align	8
	.type	_ZN2at6native12_GLOBAL__N_135GammaBetaBackwardCUDAKernelTemplateIN3c104HalfEfLj64ELj1ELj32ELb1ELb1ELb0EEEvllPKT_S7_PKT0_SA_PS5_SB_,@function
_ZN2at6native12_GLOBAL__N_135GammaBetaBackwardCUDAKernelTemplateIN3c104HalfEfLj64ELj1ELj32ELb1ELb1ELb0EEEvllPKT_S7_PKT0_SA_PS5_SB_: ; @_ZN2at6native12_GLOBAL__N_135GammaBetaBackwardCUDAKernelTemplateIN3c104HalfEfLj64ELj1ELj32ELb1ELb1ELb0EEEvllPKT_S7_PKT0_SA_PS5_SB_
; %bb.0:
	s_load_dwordx4 s[16:19], s[0:1], 0x0
	s_lshl_b32 s6, s3, 5
	s_mov_b32 s7, 0
	s_mov_b32 s4, s3
	v_bfe_u32 v1, v0, 10, 10
	s_waitcnt lgkmcnt(0)
	v_mov_b64_e32 v[2:3], s[16:17]
	v_cmp_lt_i64_e32 vcc, s[6:7], v[2:3]
	s_cbranch_vccnz .LBB73_2
; %bb.1:
	s_add_u32 s24, s0, 64
	s_addc_u32 s25, s1, 0
	s_mov_b64 s[8:9], 0
	v_bfe_u32 v2, v0, 10, 10
	s_branch .LBB73_3
.LBB73_2:
	s_mov_b64 s[8:9], -1
                                        ; implicit-def: $sgpr24_sgpr25
                                        ; implicit-def: $vgpr2
.LBB73_3:
	s_load_dwordx4 s[20:23], s[0:1], 0x30
	v_and_b32_e32 v0, 0x3ff, v0
	s_andn2_b64 vcc, exec, s[8:9]
	v_mov_b32_e32 v6, s7
	s_cbranch_vccnz .LBB73_11
; %bb.4:
	s_load_dword s3, s[0:1], 0x4c
	s_load_dword s5, s[0:1], 0x44
	s_load_dwordx8 s[8:15], s[0:1], 0x10
	s_add_u32 s24, s0, 64
	s_addc_u32 s25, s1, 0
	s_waitcnt lgkmcnt(0)
	s_and_b32 s0, s3, 0xffff
	v_mad_u32_u24 v2, v1, s0, v0
	v_lshlrev_b32_e32 v8, 5, v1
	v_mov_b32_e32 v9, 0
	v_mbcnt_lo_u32_b32 v4, -1, 0
	v_and_b32_e32 v2, 63, v2
	v_mov_b32_e32 v3, v9
	v_mbcnt_hi_u32_b32 v4, -1, v4
	s_lshl_b32 s26, s5, 5
	v_lshl_add_u64 v[10:11], v[8:9], 0, s[6:7]
	v_cmp_gt_u32_e64 s[0:1], 32, v2
	v_lshl_add_u32 v6, s2, 6, v0
	v_mov_b32_e32 v7, v9
	v_lshlrev_b32_e32 v4, 2, v4
	v_lshl_add_u64 v[2:3], v[10:11], 0, v[2:3]
	v_mul_lo_u32 v8, s19, v10
	v_mul_lo_u32 v12, s18, v11
	v_mad_u64_u32 v[10:11], s[30:31], s18, v10, 0
	s_mul_i32 s3, s19, s26
	s_mul_hi_u32 s5, s18, s26
	s_mov_b32 s27, 0
	v_and_b32_e32 v14, 0x100, v4
	v_add3_u32 v11, v11, v12, v8
	v_lshlrev_b64 v[6:7], 1, v[6:7]
	s_add_i32 s31, s5, s3
	s_mul_i32 s30, s18, s26
	v_or_b32_e32 v15, 4, v14
	v_or_b32_e32 v16, 8, v14
	;; [unrolled: 1-line block ×31, first 2 shown]
	v_lshlrev_b64 v[4:5], 2, v[2:3]
	s_lshl_b64 s[28:29], s[26:27], 2
	v_lshl_add_u64 v[6:7], v[10:11], 1, v[6:7]
	s_lshl_b64 s[30:31], s[30:31], 1
	s_lshl_b64 s[34:35], s[18:19], 1
	v_mov_b32_e32 v8, v9
	s_branch .LBB73_7
.LBB73_5:                               ;   in Loop: Header=BB73_7 Depth=1
	s_or_b64 exec, exec, s[38:39]
.LBB73_6:                               ;   in Loop: Header=BB73_7 Depth=1
	s_or_b64 exec, exec, s[36:37]
	v_lshl_add_u64 v[10:11], s[10:11], 0, v[6:7]
	global_load_ushort v50, v[10:11], off
	v_lshl_add_u64 v[12:13], s[8:9], 0, v[6:7]
	global_load_ushort v51, v[12:13], off
	v_lshl_add_u64 v[48:49], v[10:11], 0, s[34:35]
	v_lshl_add_u64 v[12:13], v[12:13], 0, s[34:35]
	global_load_ushort v11, v[48:49], off
	global_load_ushort v52, v[12:13], off
	s_waitcnt vmcnt(5)
	ds_bpermute_b32 v53, v14, v47
	v_lshl_add_u64 v[48:49], v[48:49], 0, s[34:35]
	v_lshl_add_u64 v[12:13], v[12:13], 0, s[34:35]
	s_waitcnt vmcnt(4)
	ds_bpermute_b32 v54, v14, v46
	ds_bpermute_b32 v55, v17, v47
	ds_bpermute_b32 v56, v17, v46
	ds_bpermute_b32 v57, v18, v47
	ds_bpermute_b32 v58, v18, v46
	ds_bpermute_b32 v59, v19, v47
	ds_bpermute_b32 v60, v19, v46
	ds_bpermute_b32 v61, v20, v47
	ds_bpermute_b32 v62, v20, v46
	ds_bpermute_b32 v63, v21, v47
	ds_bpermute_b32 v64, v21, v46
	ds_bpermute_b32 v65, v22, v47
	ds_bpermute_b32 v66, v22, v46
	ds_bpermute_b32 v67, v23, v47
	ds_bpermute_b32 v68, v23, v46
	ds_bpermute_b32 v69, v24, v47
	ds_bpermute_b32 v70, v24, v46
	s_add_u32 s6, s6, s26
	s_addc_u32 s7, s7, 0
	v_lshl_add_u64 v[4:5], v[4:5], 0, s[28:29]
	v_lshl_add_u64 v[2:3], v[2:3], 0, s[26:27]
	;; [unrolled: 1-line block ×3, first 2 shown]
	s_waitcnt vmcnt(3)
	v_cvt_f32_f16_e32 v50, v50
	s_waitcnt vmcnt(2)
	v_cvt_f32_f16_e32 v10, v51
	ds_bpermute_b32 v51, v15, v47
	s_waitcnt lgkmcnt(14)
	v_sub_f32_e32 v50, v50, v53
	s_waitcnt vmcnt(1)
	v_cvt_f32_f16_e32 v53, v11
	v_mul_f32_e32 v11, v50, v10
	s_waitcnt vmcnt(0)
	v_cvt_f32_f16_e32 v50, v52
	global_load_ushort v52, v[48:49], off
	s_waitcnt lgkmcnt(0)
	v_sub_f32_e32 v51, v53, v51
	global_load_ushort v53, v[12:13], off
	v_mul_f32_e32 v11, v11, v54
	ds_bpermute_b32 v54, v15, v46
	v_mul_f32_e32 v51, v51, v50
	v_lshl_add_u64 v[48:49], v[48:49], 0, s[34:35]
	v_lshl_add_u64 v[12:13], v[12:13], 0, s[34:35]
	v_pk_add_f32 v[8:9], v[8:9], v[10:11]
	s_waitcnt lgkmcnt(0)
	v_mul_f32_e32 v51, v51, v54
	ds_bpermute_b32 v54, v16, v47
	v_pk_add_f32 v[8:9], v[8:9], v[50:51]
	s_waitcnt vmcnt(1)
	v_cvt_f32_f16_e32 v52, v52
	s_waitcnt lgkmcnt(0)
	v_sub_f32_e32 v54, v52, v54
	s_waitcnt vmcnt(0)
	v_cvt_f32_f16_e32 v52, v53
	v_mul_f32_e32 v53, v54, v52
	ds_bpermute_b32 v54, v16, v46
	s_waitcnt lgkmcnt(0)
	v_mul_f32_e32 v53, v53, v54
	global_load_ushort v54, v[48:49], off
	v_lshl_add_u64 v[48:49], v[48:49], 0, s[34:35]
	v_pk_add_f32 v[8:9], v[8:9], v[52:53]
	s_waitcnt vmcnt(0)
	v_cvt_f32_f16_e32 v54, v54
	v_sub_f32_e32 v55, v54, v55
	global_load_ushort v54, v[12:13], off
	v_lshl_add_u64 v[12:13], v[12:13], 0, s[34:35]
	s_waitcnt vmcnt(0)
	v_cvt_f32_f16_e32 v54, v54
	v_mul_f32_e32 v55, v55, v54
	v_mul_f32_e32 v55, v55, v56
	global_load_ushort v56, v[48:49], off
	v_lshl_add_u64 v[48:49], v[48:49], 0, s[34:35]
	v_pk_add_f32 v[8:9], v[8:9], v[54:55]
	ds_bpermute_b32 v55, v28, v47
	s_waitcnt vmcnt(0)
	v_cvt_f32_f16_e32 v56, v56
	v_sub_f32_e32 v57, v56, v57
	global_load_ushort v56, v[12:13], off
	v_lshl_add_u64 v[12:13], v[12:13], 0, s[34:35]
	s_waitcnt vmcnt(0)
	v_cvt_f32_f16_e32 v56, v56
	v_mul_f32_e32 v57, v57, v56
	v_mul_f32_e32 v57, v57, v58
	global_load_ushort v58, v[48:49], off
	v_lshl_add_u64 v[48:49], v[48:49], 0, s[34:35]
	v_pk_add_f32 v[8:9], v[8:9], v[56:57]
	ds_bpermute_b32 v56, v28, v46
	ds_bpermute_b32 v57, v29, v47
	s_waitcnt vmcnt(0)
	v_cvt_f32_f16_e32 v58, v58
	v_sub_f32_e32 v59, v58, v59
	global_load_ushort v58, v[12:13], off
	v_lshl_add_u64 v[12:13], v[12:13], 0, s[34:35]
	s_waitcnt vmcnt(0)
	v_cvt_f32_f16_e32 v58, v58
	v_mul_f32_e32 v59, v59, v58
	v_mul_f32_e32 v59, v59, v60
	global_load_ushort v60, v[48:49], off
	v_lshl_add_u64 v[48:49], v[48:49], 0, s[34:35]
	v_pk_add_f32 v[8:9], v[8:9], v[58:59]
	ds_bpermute_b32 v58, v29, v46
	;; [unrolled: 14-line block ×4, first 2 shown]
	ds_bpermute_b32 v63, v32, v47
	s_waitcnt vmcnt(0)
	v_cvt_f32_f16_e32 v64, v64
	v_sub_f32_e32 v65, v64, v65
	global_load_ushort v64, v[12:13], off
	v_lshl_add_u64 v[12:13], v[12:13], 0, s[34:35]
	s_waitcnt vmcnt(0)
	v_cvt_f32_f16_e32 v64, v64
	v_mul_f32_e32 v65, v65, v64
	v_mul_f32_e32 v65, v65, v66
	global_load_ushort v66, v[48:49], off
	v_lshl_add_u64 v[48:49], v[48:49], 0, s[34:35]
	v_lshl_add_u64 v[10:11], v[48:49], 0, s[34:35]
	global_load_ushort v52, v[10:11], off
	v_lshl_add_u64 v[10:11], v[10:11], 0, s[34:35]
	global_load_ushort v54, v[10:11], off
	v_lshl_add_u64 v[50:51], v[10:11], 0, s[34:35]
	ds_bpermute_b32 v11, v25, v47
	v_pk_add_f32 v[8:9], v[8:9], v[64:65]
	ds_bpermute_b32 v64, v32, v46
	ds_bpermute_b32 v65, v33, v47
	s_waitcnt vmcnt(2)
	v_cvt_f32_f16_e32 v66, v66
	v_sub_f32_e32 v67, v66, v67
	global_load_ushort v66, v[12:13], off
	v_lshl_add_u64 v[12:13], v[12:13], 0, s[34:35]
	s_waitcnt vmcnt(0)
	v_cvt_f32_f16_e32 v66, v66
	v_mul_f32_e32 v67, v67, v66
	v_mul_f32_e32 v67, v67, v68
	global_load_ushort v68, v[48:49], off
	v_pk_add_f32 v[8:9], v[8:9], v[66:67]
	ds_bpermute_b32 v66, v33, v46
	ds_bpermute_b32 v67, v34, v47
	s_waitcnt vmcnt(0)
	v_cvt_f32_f16_e32 v68, v68
	v_sub_f32_e32 v69, v68, v69
	global_load_ushort v68, v[12:13], off
	v_lshl_add_u64 v[12:13], v[12:13], 0, s[34:35]
	global_load_ushort v53, v[12:13], off
	v_lshl_add_u64 v[48:49], v[12:13], 0, s[34:35]
	global_load_ushort v12, v[48:49], off
	v_cvt_f32_f16_e32 v13, v52
	ds_bpermute_b32 v52, v25, v46
	v_lshl_add_u64 v[48:49], v[48:49], 0, s[34:35]
	s_waitcnt lgkmcnt(5)
	v_sub_f32_e32 v11, v13, v11
	ds_bpermute_b32 v13, v26, v47
	s_waitcnt vmcnt(2)
	v_cvt_f32_f16_e32 v68, v68
	s_waitcnt vmcnt(1)
	v_cvt_f32_f16_e32 v10, v53
	v_cvt_f32_f16_e32 v53, v54
	s_waitcnt vmcnt(0)
	v_cvt_f32_f16_e32 v12, v12
	ds_bpermute_b32 v54, v27, v47
	v_mul_f32_e32 v11, v11, v10
	s_waitcnt lgkmcnt(2)
	v_mul_f32_e32 v11, v11, v52
	ds_bpermute_b32 v52, v26, v46
	s_waitcnt lgkmcnt(2)
	v_sub_f32_e32 v13, v53, v13
	global_load_ushort v53, v[50:51], off
	v_mul_f32_e32 v13, v13, v12
	v_lshl_add_u64 v[50:51], v[50:51], 0, s[34:35]
	s_waitcnt lgkmcnt(0)
	v_mul_f32_e32 v13, v13, v52
	global_load_ushort v52, v[48:49], off
	v_lshl_add_u64 v[48:49], v[48:49], 0, s[34:35]
	v_mul_f32_e32 v69, v69, v68
	v_mul_f32_e32 v69, v69, v70
	v_pk_add_f32 v[8:9], v[8:9], v[68:69]
	ds_bpermute_b32 v68, v34, v46
	v_pk_add_f32 v[8:9], v[8:9], v[10:11]
	ds_bpermute_b32 v69, v35, v47
	;; [unrolled: 2-line block ×3, first 2 shown]
	s_waitcnt vmcnt(1)
	v_cvt_f32_f16_e32 v53, v53
	v_sub_f32_e32 v53, v53, v54
	s_waitcnt vmcnt(0)
	v_cvt_f32_f16_e32 v52, v52
	ds_bpermute_b32 v54, v27, v46
	v_mul_f32_e32 v53, v53, v52
	s_waitcnt lgkmcnt(0)
	v_mul_f32_e32 v53, v53, v54
	global_load_ushort v54, v[50:51], off
	v_lshl_add_u64 v[50:51], v[50:51], 0, s[34:35]
	v_pk_add_f32 v[8:9], v[8:9], v[52:53]
	ds_bpermute_b32 v52, v36, v47
	ds_bpermute_b32 v53, v36, v46
	s_waitcnt vmcnt(0)
	v_cvt_f32_f16_e32 v54, v54
	v_sub_f32_e32 v55, v54, v55
	global_load_ushort v54, v[48:49], off
	v_lshl_add_u64 v[48:49], v[48:49], 0, s[34:35]
	s_waitcnt vmcnt(0)
	v_cvt_f32_f16_e32 v54, v54
	v_mul_f32_e32 v55, v55, v54
	v_mul_f32_e32 v55, v55, v56
	global_load_ushort v56, v[50:51], off
	v_lshl_add_u64 v[50:51], v[50:51], 0, s[34:35]
	v_pk_add_f32 v[8:9], v[8:9], v[54:55]
	ds_bpermute_b32 v55, v39, v47
	s_waitcnt vmcnt(0)
	v_cvt_f32_f16_e32 v56, v56
	v_sub_f32_e32 v57, v56, v57
	global_load_ushort v56, v[48:49], off
	v_lshl_add_u64 v[48:49], v[48:49], 0, s[34:35]
	s_waitcnt vmcnt(0)
	v_cvt_f32_f16_e32 v56, v56
	v_mul_f32_e32 v57, v57, v56
	v_mul_f32_e32 v57, v57, v58
	global_load_ushort v58, v[50:51], off
	v_lshl_add_u64 v[50:51], v[50:51], 0, s[34:35]
	v_pk_add_f32 v[8:9], v[8:9], v[56:57]
	ds_bpermute_b32 v56, v39, v46
	ds_bpermute_b32 v57, v40, v47
	s_waitcnt vmcnt(0)
	v_cvt_f32_f16_e32 v58, v58
	v_sub_f32_e32 v59, v58, v59
	global_load_ushort v58, v[48:49], off
	v_lshl_add_u64 v[48:49], v[48:49], 0, s[34:35]
	s_waitcnt vmcnt(0)
	v_cvt_f32_f16_e32 v58, v58
	v_mul_f32_e32 v59, v59, v58
	v_mul_f32_e32 v59, v59, v60
	global_load_ushort v60, v[50:51], off
	v_lshl_add_u64 v[50:51], v[50:51], 0, s[34:35]
	v_pk_add_f32 v[8:9], v[8:9], v[58:59]
	ds_bpermute_b32 v58, v40, v46
	;; [unrolled: 14-line block ×4, first 2 shown]
	ds_bpermute_b32 v63, v43, v47
	s_waitcnt vmcnt(0)
	v_cvt_f32_f16_e32 v64, v64
	v_sub_f32_e32 v65, v64, v65
	global_load_ushort v64, v[48:49], off
	v_lshl_add_u64 v[48:49], v[48:49], 0, s[34:35]
	s_waitcnt vmcnt(0)
	v_cvt_f32_f16_e32 v64, v64
	v_mul_f32_e32 v65, v65, v64
	v_mul_f32_e32 v65, v65, v66
	global_load_ushort v66, v[50:51], off
	v_lshl_add_u64 v[50:51], v[50:51], 0, s[34:35]
	v_lshl_add_u64 v[10:11], v[50:51], 0, s[34:35]
	v_pk_add_f32 v[8:9], v[8:9], v[64:65]
	ds_bpermute_b32 v64, v43, v46
	ds_bpermute_b32 v65, v44, v47
	s_waitcnt vmcnt(0)
	v_cvt_f32_f16_e32 v66, v66
	v_sub_f32_e32 v67, v66, v67
	global_load_ushort v66, v[48:49], off
	v_lshl_add_u64 v[48:49], v[48:49], 0, s[34:35]
	v_lshl_add_u64 v[12:13], v[48:49], 0, s[34:35]
	s_waitcnt vmcnt(0)
	v_cvt_f32_f16_e32 v66, v66
	v_mul_f32_e32 v67, v67, v66
	v_mul_f32_e32 v67, v67, v68
	global_load_ushort v68, v[50:51], off
	v_pk_add_f32 v[8:9], v[8:9], v[66:67]
	global_load_ushort v50, v[10:11], off
	v_lshl_add_u64 v[10:11], v[10:11], 0, s[34:35]
	ds_bpermute_b32 v66, v44, v46
	s_waitcnt vmcnt(1)
	v_cvt_f32_f16_e32 v68, v68
	s_waitcnt vmcnt(0)
	v_cvt_f32_f16_e32 v50, v50
	v_sub_f32_e32 v69, v68, v69
	global_load_ushort v68, v[48:49], off
	s_waitcnt lgkmcnt(13)
	v_sub_f32_e32 v50, v50, v52
	global_load_ushort v48, v[12:13], off
	global_load_ushort v49, v[10:11], off
	v_lshl_add_u64 v[12:13], v[12:13], 0, s[34:35]
	global_load_ushort v51, v[12:13], off
	ds_bpermute_b32 v52, v37, v47
	v_lshl_add_u64 v[10:11], v[10:11], 0, s[34:35]
	v_lshl_add_u64 v[12:13], v[12:13], 0, s[34:35]
	s_waitcnt vmcnt(3)
	v_cvt_f32_f16_e32 v68, v68
	s_waitcnt vmcnt(2)
	v_cvt_f32_f16_e32 v48, v48
	;; [unrolled: 2-line block ×3, first 2 shown]
	v_mul_f32_e32 v69, v69, v68
	v_mul_f32_e32 v69, v69, v70
	;; [unrolled: 1-line block ×3, first 2 shown]
	s_waitcnt vmcnt(0)
	v_cvt_f32_f16_e32 v50, v51
	s_waitcnt lgkmcnt(0)
	v_sub_f32_e32 v51, v54, v52
	ds_bpermute_b32 v52, v37, v46
	v_mul_f32_e32 v49, v49, v53
	global_load_ushort v53, v[10:11], off
	v_mul_f32_e32 v51, v51, v50
	ds_bpermute_b32 v54, v38, v47
	s_waitcnt lgkmcnt(1)
	v_mul_f32_e32 v51, v51, v52
	global_load_ushort v52, v[12:13], off
	v_lshl_add_u64 v[10:11], v[10:11], 0, s[34:35]
	v_lshl_add_u64 v[12:13], v[12:13], 0, s[34:35]
	v_pk_add_f32 v[8:9], v[8:9], v[68:69]
	s_waitcnt vmcnt(1)
	v_cvt_f32_f16_e32 v53, v53
	v_pk_add_f32 v[8:9], v[8:9], v[48:49]
	s_waitcnt lgkmcnt(0)
	v_sub_f32_e32 v53, v53, v54
	s_waitcnt vmcnt(0)
	v_cvt_f32_f16_e32 v52, v52
	ds_bpermute_b32 v54, v38, v46
	v_pk_add_f32 v[8:9], v[8:9], v[50:51]
	v_mul_f32_e32 v53, v53, v52
	s_waitcnt lgkmcnt(0)
	v_mul_f32_e32 v53, v53, v54
	global_load_ushort v54, v[10:11], off
	v_lshl_add_u64 v[10:11], v[10:11], 0, s[34:35]
	v_pk_add_f32 v[8:9], v[8:9], v[52:53]
	s_waitcnt vmcnt(0)
	v_cvt_f32_f16_e32 v54, v54
	v_sub_f32_e32 v55, v54, v55
	global_load_ushort v54, v[12:13], off
	v_lshl_add_u64 v[12:13], v[12:13], 0, s[34:35]
	s_waitcnt vmcnt(0)
	v_cvt_f32_f16_e32 v54, v54
	v_mul_f32_e32 v55, v55, v54
	v_mul_f32_e32 v55, v55, v56
	global_load_ushort v56, v[10:11], off
	v_lshl_add_u64 v[10:11], v[10:11], 0, s[34:35]
	v_pk_add_f32 v[8:9], v[8:9], v[54:55]
	s_waitcnt vmcnt(0)
	v_cvt_f32_f16_e32 v56, v56
	v_sub_f32_e32 v57, v56, v57
	global_load_ushort v56, v[12:13], off
	v_lshl_add_u64 v[12:13], v[12:13], 0, s[34:35]
	s_waitcnt vmcnt(0)
	v_cvt_f32_f16_e32 v56, v56
	v_mul_f32_e32 v57, v57, v56
	;; [unrolled: 12-line block ×5, first 2 shown]
	v_mul_f32_e32 v63, v63, v64
	global_load_ushort v64, v[10:11], off
	v_lshl_add_u64 v[10:11], v[10:11], 0, s[34:35]
	global_load_ushort v11, v[10:11], off
	v_pk_add_f32 v[8:9], v[8:9], v[62:63]
	s_waitcnt vmcnt(1)
	v_cvt_f32_f16_e32 v64, v64
	s_waitcnt vmcnt(0)
	v_cvt_f32_f16_e32 v11, v11
	v_sub_f32_e32 v65, v64, v65
	global_load_ushort v64, v[12:13], off
	v_lshl_add_u64 v[12:13], v[12:13], 0, s[34:35]
	global_load_ushort v12, v[12:13], off
	ds_bpermute_b32 v13, v45, v46
	s_waitcnt vmcnt(1)
	v_cvt_f32_f16_e32 v64, v64
	s_waitcnt vmcnt(0)
	v_cvt_f32_f16_e32 v10, v12
	ds_bpermute_b32 v12, v45, v47
	v_mul_f32_e32 v65, v65, v64
	v_mul_f32_e32 v65, v65, v66
	v_pk_add_f32 v[8:9], v[8:9], v[64:65]
	s_waitcnt lgkmcnt(0)
	v_sub_f32_e32 v11, v11, v12
	v_mul_f32_e32 v11, v11, v10
	v_mul_f32_e32 v11, v11, v13
	v_pk_add_f32 v[8:9], v[8:9], v[10:11]
	v_mov_b64_e32 v[10:11], s[16:17]
	v_cmp_lt_i64_e32 vcc, s[6:7], v[10:11]
	s_cbranch_vccz .LBB73_10
.LBB73_7:                               ; =>This Inner Loop Header: Depth=1
	v_mov_b32_e32 v46, 0
	v_mov_b32_e32 v47, 0
	s_and_saveexec_b64 s[36:37], s[0:1]
	s_cbranch_execz .LBB73_6
; %bb.8:                                ;   in Loop: Header=BB73_7 Depth=1
	v_cmp_gt_i64_e32 vcc, s[16:17], v[2:3]
	v_mov_b32_e32 v47, 0
	v_mov_b32_e32 v46, 0
	s_and_saveexec_b64 s[38:39], vcc
	s_cbranch_execz .LBB73_5
; %bb.9:                                ;   in Loop: Header=BB73_7 Depth=1
	v_lshl_add_u64 v[12:13], s[12:13], 0, v[4:5]
	v_lshl_add_u64 v[10:11], s[14:15], 0, v[4:5]
	global_load_dword v47, v[12:13], off
	global_load_dword v46, v[10:11], off
	s_branch .LBB73_5
.LBB73_10:
	v_cvt_f16_f32_e32 v2, v9
	v_cvt_f16_f32_e32 v3, v8
	v_pack_b32_f16 v6, v3, v2
	v_mov_b32_e32 v2, v1
.LBB73_11:
	s_load_dword s5, s[24:25], 0xc
	s_mov_b32 s3, 0
	v_mov_b32_e32 v1, 0
	s_lshl_b64 s[0:1], s[2:3], 6
	v_lshl_add_u64 v[4:5], s[0:1], 0, v[0:1]
	s_waitcnt lgkmcnt(0)
	s_lshr_b32 s0, s5, 16
	v_mov_b32_e32 v3, v1
	v_mov_b32_e32 v0, s4
	v_mad_u64_u32 v[0:1], s[0:1], s0, v0, v[2:3]
	s_cmp_eq_u64 s[20:21], 0
	v_mul_lo_u32 v1, v1, s18
	v_mul_lo_u32 v2, v0, s19
	s_cbranch_scc1 .LBB73_13
; %bb.12:
	v_mad_u64_u32 v[8:9], s[0:1], v0, s18, 0
	v_add3_u32 v9, v9, v2, v1
	v_lshl_add_u64 v[8:9], v[8:9], 1, s[20:21]
	v_lshl_add_u64 v[8:9], v[4:5], 1, v[8:9]
	global_store_short_d16_hi v[8:9], v6, off
.LBB73_13:
	s_cmp_eq_u64 s[22:23], 0
	s_cbranch_scc1 .LBB73_15
; %bb.14:
	v_mad_u64_u32 v[8:9], s[0:1], v0, s18, 0
	v_add3_u32 v9, v9, v2, v1
	v_lshl_add_u64 v[0:1], v[8:9], 1, s[22:23]
	v_lshl_add_u64 v[0:1], v[4:5], 1, v[0:1]
	global_store_short v[0:1], v6, off
.LBB73_15:
	s_endpgm
	.section	.rodata,"a",@progbits
	.p2align	6, 0x0
	.amdhsa_kernel _ZN2at6native12_GLOBAL__N_135GammaBetaBackwardCUDAKernelTemplateIN3c104HalfEfLj64ELj1ELj32ELb1ELb1ELb0EEEvllPKT_S7_PKT0_SA_PS5_SB_
		.amdhsa_group_segment_fixed_size 0
		.amdhsa_private_segment_fixed_size 0
		.amdhsa_kernarg_size 320
		.amdhsa_user_sgpr_count 2
		.amdhsa_user_sgpr_dispatch_ptr 0
		.amdhsa_user_sgpr_queue_ptr 0
		.amdhsa_user_sgpr_kernarg_segment_ptr 1
		.amdhsa_user_sgpr_dispatch_id 0
		.amdhsa_user_sgpr_kernarg_preload_length 0
		.amdhsa_user_sgpr_kernarg_preload_offset 0
		.amdhsa_user_sgpr_private_segment_size 0
		.amdhsa_uses_dynamic_stack 0
		.amdhsa_enable_private_segment 0
		.amdhsa_system_sgpr_workgroup_id_x 1
		.amdhsa_system_sgpr_workgroup_id_y 1
		.amdhsa_system_sgpr_workgroup_id_z 0
		.amdhsa_system_sgpr_workgroup_info 0
		.amdhsa_system_vgpr_workitem_id 1
		.amdhsa_next_free_vgpr 71
		.amdhsa_next_free_sgpr 40
		.amdhsa_accum_offset 72
		.amdhsa_reserve_vcc 1
		.amdhsa_float_round_mode_32 0
		.amdhsa_float_round_mode_16_64 0
		.amdhsa_float_denorm_mode_32 3
		.amdhsa_float_denorm_mode_16_64 3
		.amdhsa_dx10_clamp 1
		.amdhsa_ieee_mode 1
		.amdhsa_fp16_overflow 0
		.amdhsa_tg_split 0
		.amdhsa_exception_fp_ieee_invalid_op 0
		.amdhsa_exception_fp_denorm_src 0
		.amdhsa_exception_fp_ieee_div_zero 0
		.amdhsa_exception_fp_ieee_overflow 0
		.amdhsa_exception_fp_ieee_underflow 0
		.amdhsa_exception_fp_ieee_inexact 0
		.amdhsa_exception_int_div_zero 0
	.end_amdhsa_kernel
	.section	.text._ZN2at6native12_GLOBAL__N_135GammaBetaBackwardCUDAKernelTemplateIN3c104HalfEfLj64ELj1ELj32ELb1ELb1ELb0EEEvllPKT_S7_PKT0_SA_PS5_SB_,"axG",@progbits,_ZN2at6native12_GLOBAL__N_135GammaBetaBackwardCUDAKernelTemplateIN3c104HalfEfLj64ELj1ELj32ELb1ELb1ELb0EEEvllPKT_S7_PKT0_SA_PS5_SB_,comdat
.Lfunc_end73:
	.size	_ZN2at6native12_GLOBAL__N_135GammaBetaBackwardCUDAKernelTemplateIN3c104HalfEfLj64ELj1ELj32ELb1ELb1ELb0EEEvllPKT_S7_PKT0_SA_PS5_SB_, .Lfunc_end73-_ZN2at6native12_GLOBAL__N_135GammaBetaBackwardCUDAKernelTemplateIN3c104HalfEfLj64ELj1ELj32ELb1ELb1ELb0EEEvllPKT_S7_PKT0_SA_PS5_SB_
                                        ; -- End function
	.section	.AMDGPU.csdata,"",@progbits
; Kernel info:
; codeLenInByte = 3580
; NumSgprs: 46
; NumVgprs: 71
; NumAgprs: 0
; TotalNumVgprs: 71
; ScratchSize: 0
; MemoryBound: 0
; FloatMode: 240
; IeeeMode: 1
; LDSByteSize: 0 bytes/workgroup (compile time only)
; SGPRBlocks: 5
; VGPRBlocks: 8
; NumSGPRsForWavesPerEU: 46
; NumVGPRsForWavesPerEU: 71
; AccumOffset: 72
; Occupancy: 7
; WaveLimiterHint : 0
; COMPUTE_PGM_RSRC2:SCRATCH_EN: 0
; COMPUTE_PGM_RSRC2:USER_SGPR: 2
; COMPUTE_PGM_RSRC2:TRAP_HANDLER: 0
; COMPUTE_PGM_RSRC2:TGID_X_EN: 1
; COMPUTE_PGM_RSRC2:TGID_Y_EN: 1
; COMPUTE_PGM_RSRC2:TGID_Z_EN: 0
; COMPUTE_PGM_RSRC2:TIDIG_COMP_CNT: 1
; COMPUTE_PGM_RSRC3_GFX90A:ACCUM_OFFSET: 17
; COMPUTE_PGM_RSRC3_GFX90A:TG_SPLIT: 0
	.section	.text._ZN2at6native12_GLOBAL__N_135GammaBetaBackwardCUDAKernelTemplateIN3c104HalfEfLj64ELj1ELj32ELb1ELb0ELb0EEEvllPKT_S7_PKT0_SA_PS5_SB_,"axG",@progbits,_ZN2at6native12_GLOBAL__N_135GammaBetaBackwardCUDAKernelTemplateIN3c104HalfEfLj64ELj1ELj32ELb1ELb0ELb0EEEvllPKT_S7_PKT0_SA_PS5_SB_,comdat
	.globl	_ZN2at6native12_GLOBAL__N_135GammaBetaBackwardCUDAKernelTemplateIN3c104HalfEfLj64ELj1ELj32ELb1ELb0ELb0EEEvllPKT_S7_PKT0_SA_PS5_SB_ ; -- Begin function _ZN2at6native12_GLOBAL__N_135GammaBetaBackwardCUDAKernelTemplateIN3c104HalfEfLj64ELj1ELj32ELb1ELb0ELb0EEEvllPKT_S7_PKT0_SA_PS5_SB_
	.p2align	8
	.type	_ZN2at6native12_GLOBAL__N_135GammaBetaBackwardCUDAKernelTemplateIN3c104HalfEfLj64ELj1ELj32ELb1ELb0ELb0EEEvllPKT_S7_PKT0_SA_PS5_SB_,@function
_ZN2at6native12_GLOBAL__N_135GammaBetaBackwardCUDAKernelTemplateIN3c104HalfEfLj64ELj1ELj32ELb1ELb0ELb0EEEvllPKT_S7_PKT0_SA_PS5_SB_: ; @_ZN2at6native12_GLOBAL__N_135GammaBetaBackwardCUDAKernelTemplateIN3c104HalfEfLj64ELj1ELj32ELb1ELb0ELb0EEEvllPKT_S7_PKT0_SA_PS5_SB_
; %bb.0:
	s_load_dwordx8 s[12:19], s[0:1], 0x0
	s_load_dwordx4 s[20:23], s[0:1], 0x20
	s_mov_b32 s8, s3
	s_lshl_b32 s3, s2, 6
	v_mov_b32_e32 v212, v0
	s_or_b32 s10, s3, 63
	s_mov_b32 s11, 0
	s_waitcnt lgkmcnt(0)
	v_mov_b64_e32 v[0:1], s[14:15]
	v_cmp_ge_i64_e32 vcc, s[10:11], v[0:1]
	s_lshl_b32 s10, s8, 5
	v_mov_b64_e32 v[0:1], s[12:13]
	v_cmp_lt_i64_e64 s[4:5], s[10:11], v[0:1]
	s_nop 1
	v_cndmask_b32_e64 v0, 0, 1, s[4:5]
	v_cmp_ne_u32_e64 s[4:5], 1, v0
	s_cbranch_vccz .LBB74_144
; %bb.1:
	s_mov_b32 s6, s11
	s_mov_b32 s7, s11
	s_and_b64 vcc, exec, s[4:5]
	v_mov_b64_e32 v[70:71], s[6:7]
	s_cbranch_vccnz .LBB74_145
; %bb.2:
	v_mov_b32_e32 v1, 0
	v_bfe_u32 v203, v212, 10, 10
	v_lshlrev_b32_e32 v2, 5, v203
	v_mov_b32_e32 v3, v1
	v_and_b32_e32 v202, 0x3ff, v212
	v_lshl_add_u64 v[70:71], v[2:3], 0, s[10:11]
	v_add_u32_e32 v0, s3, v202
	v_lshl_add_u64 v[6:7], v[70:71], 0, 31
	v_cmp_gt_i64_e64 s[6:7], s[14:15], v[0:1]
	v_lshlrev_b64 v[4:5], 1, v[0:1]
	v_mul_lo_u32 v0, s15, v6
	v_mul_lo_u32 v8, s14, v7
	v_mad_u64_u32 v[6:7], s[30:31], s14, v6, 0
	v_lshl_add_u64 v[10:11], v[70:71], 0, 30
	v_add3_u32 v7, v7, v8, v0
	v_mul_lo_u32 v0, s15, v10
	v_mul_lo_u32 v12, s14, v11
	v_mad_u64_u32 v[10:11], s[34:35], s14, v10, 0
	v_lshl_add_u64 v[14:15], v[70:71], 0, 29
	v_add3_u32 v11, v11, v12, v0
	v_mul_lo_u32 v0, s15, v14
	v_mul_lo_u32 v16, s14, v15
	v_mad_u64_u32 v[14:15], s[34:35], s14, v14, 0
	v_lshl_add_u64 v[18:19], v[70:71], 0, 28
	v_add3_u32 v15, v15, v16, v0
	v_mul_lo_u32 v0, s15, v18
	v_mul_lo_u32 v20, s14, v19
	v_mad_u64_u32 v[18:19], s[34:35], s14, v18, 0
	v_lshl_add_u64 v[22:23], v[70:71], 0, 27
	v_add3_u32 v19, v19, v20, v0
	v_mul_lo_u32 v0, s15, v22
	v_mul_lo_u32 v24, s14, v23
	v_mad_u64_u32 v[22:23], s[34:35], s14, v22, 0
	v_lshl_add_u64 v[26:27], v[70:71], 0, 26
	v_add3_u32 v23, v23, v24, v0
	v_mul_lo_u32 v0, s15, v26
	v_mul_lo_u32 v28, s14, v27
	v_mad_u64_u32 v[26:27], s[34:35], s14, v26, 0
	v_lshl_add_u64 v[30:31], v[70:71], 0, 25
	v_add3_u32 v27, v27, v28, v0
	v_mul_lo_u32 v0, s15, v30
	v_mul_lo_u32 v32, s14, v31
	v_mad_u64_u32 v[30:31], s[34:35], s14, v30, 0
	v_lshl_add_u64 v[34:35], v[70:71], 0, 24
	v_add3_u32 v31, v31, v32, v0
	v_mul_lo_u32 v0, s15, v34
	v_mul_lo_u32 v36, s14, v35
	v_mad_u64_u32 v[34:35], s[34:35], s14, v34, 0
	v_lshl_add_u64 v[38:39], v[70:71], 0, 23
	v_add3_u32 v35, v35, v36, v0
	v_mul_lo_u32 v0, s15, v38
	v_mul_lo_u32 v40, s14, v39
	v_mad_u64_u32 v[38:39], s[34:35], s14, v38, 0
	v_lshl_add_u64 v[42:43], v[70:71], 0, 22
	v_add3_u32 v39, v39, v40, v0
	v_mul_lo_u32 v0, s15, v42
	v_mul_lo_u32 v44, s14, v43
	v_mad_u64_u32 v[42:43], s[34:35], s14, v42, 0
	v_lshl_add_u64 v[46:47], v[70:71], 0, 21
	v_add3_u32 v43, v43, v44, v0
	v_mul_lo_u32 v0, s15, v46
	v_mul_lo_u32 v48, s14, v47
	v_mad_u64_u32 v[46:47], s[34:35], s14, v46, 0
	v_lshl_add_u64 v[50:51], v[70:71], 0, 20
	v_add3_u32 v47, v47, v48, v0
	v_mul_lo_u32 v0, s15, v50
	v_mul_lo_u32 v52, s14, v51
	v_mad_u64_u32 v[50:51], s[34:35], s14, v50, 0
	v_lshl_add_u64 v[54:55], v[70:71], 0, 19
	v_add3_u32 v51, v51, v52, v0
	v_mul_lo_u32 v0, s15, v54
	v_mul_lo_u32 v56, s14, v55
	v_mad_u64_u32 v[54:55], s[34:35], s14, v54, 0
	v_lshl_add_u64 v[58:59], v[70:71], 0, 18
	v_add3_u32 v55, v55, v56, v0
	v_mul_lo_u32 v0, s15, v58
	v_mul_lo_u32 v60, s14, v59
	v_mad_u64_u32 v[58:59], s[34:35], s14, v58, 0
	v_lshl_add_u64 v[62:63], v[70:71], 0, 17
	v_add3_u32 v59, v59, v60, v0
	v_mul_lo_u32 v0, s15, v62
	v_mul_lo_u32 v64, s14, v63
	v_mad_u64_u32 v[62:63], s[34:35], s14, v62, 0
	v_lshl_add_u64 v[66:67], v[70:71], 0, 16
	v_add3_u32 v63, v63, v64, v0
	v_mul_lo_u32 v0, s15, v66
	v_mul_lo_u32 v68, s14, v67
	v_mad_u64_u32 v[66:67], s[34:35], s14, v66, 0
	v_lshl_add_u64 v[72:73], v[70:71], 0, 15
	v_add3_u32 v67, v67, v68, v0
	v_mul_lo_u32 v0, s15, v72
	v_mul_lo_u32 v74, s14, v73
	v_mad_u64_u32 v[72:73], s[34:35], s14, v72, 0
	v_lshl_add_u64 v[76:77], v[70:71], 0, 14
	v_add3_u32 v73, v73, v74, v0
	v_mul_lo_u32 v0, s15, v76
	v_mul_lo_u32 v78, s14, v77
	v_mad_u64_u32 v[76:77], s[34:35], s14, v76, 0
	v_lshl_add_u64 v[80:81], v[70:71], 0, 13
	v_add3_u32 v77, v77, v78, v0
	v_mul_lo_u32 v0, s15, v80
	v_mul_lo_u32 v82, s14, v81
	v_mad_u64_u32 v[80:81], s[34:35], s14, v80, 0
	v_lshl_add_u64 v[84:85], v[70:71], 0, 12
	v_add3_u32 v81, v81, v82, v0
	v_mul_lo_u32 v0, s15, v84
	v_mul_lo_u32 v86, s14, v85
	v_mad_u64_u32 v[84:85], s[34:35], s14, v84, 0
	v_lshl_add_u64 v[88:89], v[70:71], 0, 11
	v_add3_u32 v85, v85, v86, v0
	v_mul_lo_u32 v0, s15, v88
	v_mul_lo_u32 v90, s14, v89
	v_mad_u64_u32 v[88:89], s[34:35], s14, v88, 0
	v_lshl_add_u64 v[92:93], v[70:71], 0, 10
	v_add3_u32 v89, v89, v90, v0
	v_mul_lo_u32 v0, s15, v92
	v_mul_lo_u32 v94, s14, v93
	v_mad_u64_u32 v[92:93], s[34:35], s14, v92, 0
	v_lshl_add_u64 v[96:97], v[70:71], 0, 9
	v_add3_u32 v93, v93, v94, v0
	v_mul_lo_u32 v0, s15, v96
	v_mul_lo_u32 v98, s14, v97
	v_mad_u64_u32 v[96:97], s[34:35], s14, v96, 0
	v_lshl_add_u64 v[100:101], v[70:71], 0, 8
	v_add3_u32 v97, v97, v98, v0
	v_mul_lo_u32 v0, s15, v100
	v_mul_lo_u32 v102, s14, v101
	v_mad_u64_u32 v[100:101], s[34:35], s14, v100, 0
	v_lshl_add_u64 v[104:105], v[70:71], 0, 7
	v_add3_u32 v101, v101, v102, v0
	v_mul_lo_u32 v0, s15, v104
	v_mul_lo_u32 v106, s14, v105
	v_mad_u64_u32 v[104:105], s[34:35], s14, v104, 0
	v_lshl_add_u64 v[108:109], v[70:71], 0, 6
	v_add3_u32 v105, v105, v106, v0
	v_mul_lo_u32 v0, s15, v108
	v_mul_lo_u32 v110, s14, v109
	v_mad_u64_u32 v[108:109], s[34:35], s14, v108, 0
	v_lshl_add_u64 v[112:113], v[70:71], 0, 5
	s_load_dword s9, s[0:1], 0x44
	v_add3_u32 v109, v109, v110, v0
	v_mul_lo_u32 v0, s15, v112
	v_mul_lo_u32 v114, s14, v113
	v_mad_u64_u32 v[112:113], s[34:35], s14, v112, 0
	v_lshl_add_u64 v[116:117], v[70:71], 0, 4
	v_add3_u32 v113, v113, v114, v0
	v_mul_lo_u32 v0, s15, v116
	v_mul_lo_u32 v118, s14, v117
	v_mad_u64_u32 v[116:117], s[34:35], s14, v116, 0
	v_lshl_add_u64 v[120:121], v[70:71], 0, 3
	;; [unrolled: 5-line block ×3, first 2 shown]
	v_add3_u32 v121, v121, v122, v0
	v_mul_lo_u32 v0, s15, v124
	v_mul_lo_u32 v126, s14, v125
	v_mad_u64_u32 v[124:125], s[34:35], s14, v124, 0
	v_mov_b64_e32 v[128:129], s[14:15]
	s_add_u32 s26, s0, 64
	v_add3_u32 v125, v125, v126, v0
	v_mad_u64_u32 v[128:129], s[34:35], s14, v70, v[128:129]
	v_mul_lo_u32 v0, s14, v71
	v_mul_lo_u32 v132, s15, v70
	v_mad_u64_u32 v[70:71], s[34:35], s14, v70, 0
	s_addc_u32 s27, s1, 0
	s_waitcnt lgkmcnt(0)
	s_lshl_b32 s24, s9, 5
	v_add3_u32 v129, v132, v129, v0
	v_add3_u32 v71, v71, v0, v132
	v_mbcnt_lo_u32_b32 v0, -1, 0
	s_mul_i32 s9, s15, s24
	s_mul_hi_u32 s30, s14, s24
	v_mbcnt_hi_u32_b32 v0, -1, v0
	v_lshlrev_b64 v[8:9], 1, v[6:7]
	s_add_i32 s31, s30, s9
	s_mul_i32 s30, s14, s24
	v_lshlrev_b64 v[12:13], 1, v[10:11]
	v_lshlrev_b64 v[16:17], 1, v[14:15]
	;; [unrolled: 1-line block ×31, first 2 shown]
	v_lshlrev_b32_e32 v0, 2, v0
	s_mov_b32 s25, 0
	s_mov_b64 s[28:29], 31
	v_lshl_add_u64 v[6:7], s[16:17], 0, v[8:9]
	s_lshl_b64 s[30:31], s[30:31], 1
	v_lshl_add_u64 v[8:9], s[18:19], 0, v[8:9]
	v_lshl_add_u64 v[10:11], s[16:17], 0, v[12:13]
	;; [unrolled: 1-line block ×63, first 2 shown]
	v_and_b32_e32 v204, 0x100, v0
	v_mov_b32_e32 v70, v1
	v_mov_b32_e32 v71, v1
	s_mov_b64 s[34:35], s[10:11]
	s_branch .LBB74_5
.LBB74_3:                               ;   in Loop: Header=BB74_5 Depth=1
	s_or_b64 exec, exec, s[36:37]
	s_waitcnt vmcnt(1)
	ds_bpermute_b32 v139, v204, v197
	s_waitcnt vmcnt(0)
	ds_bpermute_b32 v159, v204, v149
	ds_bpermute_b32 v207, v204, v197 offset:4
	ds_bpermute_b32 v167, v204, v149 offset:4
	;; [unrolled: 1-line block ×3, first 2 shown]
	s_waitcnt lgkmcnt(4)
	v_sub_f32_e32 v137, v137, v139
	v_mul_f32_e32 v137, v138, v137
	s_waitcnt lgkmcnt(3)
	v_mul_f32_e32 v139, v137, v159
	ds_bpermute_b32 v159, v204, v149 offset:8
	s_waitcnt lgkmcnt(3)
	v_sub_f32_e32 v137, v141, v207
	v_mul_f32_e32 v137, v140, v137
	s_waitcnt lgkmcnt(2)
	v_mul_f32_e32 v141, v137, v167
	s_waitcnt lgkmcnt(1)
	v_sub_f32_e32 v137, v143, v208
	ds_bpermute_b32 v143, v204, v197 offset:12
	v_mul_f32_e32 v137, v136, v137
	s_waitcnt lgkmcnt(1)
	v_mul_f32_e32 v137, v137, v159
	ds_bpermute_b32 v159, v204, v149 offset:12
	ds_bpermute_b32 v167, v204, v197 offset:16
	s_waitcnt lgkmcnt(2)
	v_sub_f32_e32 v143, v145, v143
	v_mul_f32_e32 v143, v144, v143
	ds_bpermute_b32 v207, v204, v149 offset:16
	s_waitcnt lgkmcnt(2)
	v_mul_f32_e32 v145, v143, v159
	s_waitcnt lgkmcnt(1)
	v_sub_f32_e32 v143, v147, v167
	ds_bpermute_b32 v147, v204, v197 offset:20
	ds_bpermute_b32 v159, v204, v149 offset:20
	;; [unrolled: 1-line block ×3, first 2 shown]
	v_pk_add_f32 v[70:71], v[70:71], v[138:139]
	v_mul_f32_e32 v143, v142, v143
	s_waitcnt lgkmcnt(2)
	v_sub_f32_e32 v147, v151, v147
	v_mul_f32_e32 v147, v150, v147
	s_waitcnt lgkmcnt(1)
	v_mul_f32_e32 v151, v147, v159
	s_waitcnt lgkmcnt(0)
	v_sub_f32_e32 v147, v153, v167
	ds_bpermute_b32 v153, v204, v197 offset:28
	ds_bpermute_b32 v159, v204, v149 offset:28
	;; [unrolled: 1-line block ×3, first 2 shown]
	v_pk_add_f32 v[70:71], v[70:71], v[140:141]
	v_mul_f32_e32 v143, v143, v207
	s_waitcnt lgkmcnt(2)
	v_sub_f32_e32 v153, v155, v153
	ds_bpermute_b32 v155, v204, v149 offset:32
	v_mul_f32_e32 v153, v158, v153
	s_waitcnt lgkmcnt(2)
	v_mul_f32_e32 v159, v153, v159
	s_waitcnt lgkmcnt(1)
	v_sub_f32_e32 v153, v157, v167
	ds_bpermute_b32 v167, v204, v197 offset:36
	v_pk_add_f32 v[70:71], v[70:71], v[136:137]
	ds_bpermute_b32 v136, v204, v197 offset:44
	v_mul_f32_e32 v153, v156, v153
	ds_bpermute_b32 v207, v204, v149 offset:24
	s_waitcnt lgkmcnt(3)
	v_mul_f32_e32 v157, v153, v155
	ds_bpermute_b32 v153, v204, v149 offset:36
	ds_bpermute_b32 v155, v204, v197 offset:40
	;; [unrolled: 1-line block ×3, first 2 shown]
	s_waitcnt lgkmcnt(5)
	v_sub_f32_e32 v163, v163, v167
	s_waitcnt lgkmcnt(4)
	v_sub_f32_e32 v136, v161, v136
	ds_bpermute_b32 v138, v204, v197 offset:48
	v_mul_f32_e32 v147, v146, v147
	v_mul_f32_e32 v163, v166, v163
	v_mul_f32_e32 v136, v154, v136
	s_waitcnt lgkmcnt(4)
	v_mul_f32_e32 v147, v147, v207
	ds_bpermute_b32 v207, v204, v149 offset:40
	s_waitcnt lgkmcnt(4)
	v_mul_f32_e32 v167, v163, v153
	s_waitcnt lgkmcnt(3)
	v_sub_f32_e32 v153, v165, v155
	s_waitcnt lgkmcnt(2)
	v_mul_f32_e32 v155, v136, v137
	ds_bpermute_b32 v136, v204, v149 offset:48
	ds_bpermute_b32 v137, v204, v197 offset:52
	;; [unrolled: 1-line block ×3, first 2 shown]
	s_waitcnt lgkmcnt(4)
	v_sub_f32_e32 v138, v169, v138
	v_mul_f32_e32 v153, v164, v153
	v_mul_f32_e32 v138, v152, v138
	s_waitcnt lgkmcnt(3)
	v_mul_f32_e32 v165, v153, v207
	s_waitcnt lgkmcnt(2)
	;; [unrolled: 2-line block ×3, first 2 shown]
	v_sub_f32_e32 v136, v171, v137
	ds_bpermute_b32 v137, v204, v197 offset:56
	v_mul_f32_e32 v136, v162, v136
	s_waitcnt lgkmcnt(1)
	v_mul_f32_e32 v163, v136, v139
	ds_bpermute_b32 v136, v204, v149 offset:56
	ds_bpermute_b32 v138, v204, v197 offset:60
	ds_bpermute_b32 v139, v204, v149 offset:60
	s_waitcnt lgkmcnt(3)
	v_sub_f32_e32 v137, v173, v137
	v_mul_f32_e32 v137, v160, v137
	s_waitcnt lgkmcnt(2)
	v_mul_f32_e32 v161, v137, v136
	s_waitcnt lgkmcnt(1)
	v_sub_f32_e32 v136, v175, v138
	ds_bpermute_b32 v137, v204, v197 offset:64
	v_mul_f32_e32 v136, v170, v136
	s_waitcnt lgkmcnt(1)
	v_mul_f32_e32 v171, v136, v139
	ds_bpermute_b32 v136, v204, v149 offset:64
	ds_bpermute_b32 v138, v204, v197 offset:68
	ds_bpermute_b32 v139, v204, v149 offset:68
	s_waitcnt lgkmcnt(3)
	v_sub_f32_e32 v137, v177, v137
	v_mul_f32_e32 v137, v168, v137
	s_waitcnt lgkmcnt(2)
	v_mul_f32_e32 v169, v137, v136
	s_waitcnt lgkmcnt(1)
	;; [unrolled: 14-line block ×4, first 2 shown]
	v_sub_f32_e32 v136, v191, v138
	v_mul_f32_e32 v136, v186, v136
	s_waitcnt lgkmcnt(0)
	v_mul_f32_e32 v187, v136, v139
	ds_bpermute_b32 v136, v204, v197 offset:88
	ds_bpermute_b32 v137, v204, v149 offset:88
	;; [unrolled: 1-line block ×4, first 2 shown]
	v_pk_add_f32 v[70:71], v[70:71], v[144:145]
	s_waitcnt lgkmcnt(3)
	v_sub_f32_e32 v136, v185, v136
	v_mul_f32_e32 v136, v176, v136
	s_waitcnt lgkmcnt(2)
	v_mul_f32_e32 v177, v136, v137
	s_waitcnt lgkmcnt(1)
	v_sub_f32_e32 v136, v189, v138
	ds_bpermute_b32 v137, v204, v197 offset:96
	v_mul_f32_e32 v136, v184, v136
	s_waitcnt lgkmcnt(1)
	v_mul_f32_e32 v185, v136, v139
	ds_bpermute_b32 v136, v204, v149 offset:96
	ds_bpermute_b32 v138, v204, v197 offset:100
	;; [unrolled: 1-line block ×3, first 2 shown]
	v_pk_add_f32 v[70:71], v[70:71], v[142:143]
	s_waitcnt lgkmcnt(3)
	v_sub_f32_e32 v137, v193, v137
	v_pk_add_f32 v[70:71], v[70:71], v[150:151]
	v_mul_f32_e32 v137, v182, v137
	v_pk_add_f32 v[70:71], v[70:71], v[146:147]
	s_waitcnt lgkmcnt(2)
	v_mul_f32_e32 v183, v137, v136
	s_waitcnt lgkmcnt(1)
	v_sub_f32_e32 v136, v195, v138
	ds_bpermute_b32 v137, v204, v197 offset:104
	v_pk_add_f32 v[70:71], v[70:71], v[158:159]
	v_mul_f32_e32 v136, v190, v136
	v_pk_add_f32 v[70:71], v[70:71], v[156:157]
	s_waitcnt lgkmcnt(1)
	v_mul_f32_e32 v191, v136, v139
	ds_bpermute_b32 v136, v204, v149 offset:104
	ds_bpermute_b32 v138, v204, v197 offset:108
	v_pk_add_f32 v[70:71], v[70:71], v[166:167]
	ds_bpermute_b32 v139, v204, v149 offset:108
	v_pk_add_f32 v[70:71], v[70:71], v[164:165]
	s_waitcnt lgkmcnt(3)
	v_sub_f32_e32 v137, v199, v137
	v_pk_add_f32 v[70:71], v[70:71], v[154:155]
	v_mul_f32_e32 v137, v188, v137
	v_pk_add_f32 v[70:71], v[70:71], v[152:153]
	s_waitcnt lgkmcnt(2)
	v_mul_f32_e32 v189, v137, v136
	v_pk_add_f32 v[70:71], v[70:71], v[162:163]
	s_waitcnt lgkmcnt(1)
	v_sub_f32_e32 v136, v200, v138
	ds_bpermute_b32 v137, v204, v197 offset:112
	v_pk_add_f32 v[70:71], v[70:71], v[160:161]
	v_mul_f32_e32 v136, v194, v136
	v_pk_add_f32 v[70:71], v[70:71], v[170:171]
	s_waitcnt lgkmcnt(1)
	v_mul_f32_e32 v195, v136, v139
	ds_bpermute_b32 v136, v204, v149 offset:112
	ds_bpermute_b32 v138, v204, v197 offset:116
	v_pk_add_f32 v[70:71], v[70:71], v[168:169]
	ds_bpermute_b32 v139, v204, v149 offset:116
	v_pk_add_f32 v[70:71], v[70:71], v[174:175]
	s_waitcnt lgkmcnt(3)
	v_sub_f32_e32 v137, v201, v137
	v_pk_add_f32 v[70:71], v[70:71], v[172:173]
	v_mul_f32_e32 v137, v192, v137
	v_pk_add_f32 v[70:71], v[70:71], v[180:181]
	s_waitcnt lgkmcnt(2)
	v_mul_f32_e32 v193, v137, v136
	v_pk_add_f32 v[70:71], v[70:71], v[178:179]
	s_waitcnt lgkmcnt(1)
	v_sub_f32_e32 v136, v206, v138
	v_pk_add_f32 v[70:71], v[70:71], v[186:187]
	v_mul_f32_e32 v136, v198, v136
	s_waitcnt lgkmcnt(0)
	v_mul_f32_e32 v199, v136, v139
	v_pk_add_f32 v[70:71], v[70:71], v[176:177]
	ds_bpermute_b32 v136, v204, v197 offset:120
	v_pk_add_f32 v[70:71], v[70:71], v[184:185]
	ds_bpermute_b32 v137, v204, v149 offset:120
	;; [unrolled: 2-line block ×3, first 2 shown]
	v_pk_add_f32 v[70:71], v[70:71], v[190:191]
	s_waitcnt lgkmcnt(2)
	v_sub_f32_e32 v136, v205, v136
	v_pk_add_f32 v[70:71], v[70:71], v[188:189]
	v_mul_f32_e32 v136, v196, v136
	v_pk_add_f32 v[70:71], v[70:71], v[194:195]
	s_waitcnt lgkmcnt(1)
	v_mul_f32_e32 v197, v136, v137
	v_pk_add_f32 v[70:71], v[70:71], v[192:193]
	ds_bpermute_b32 v140, v204, v149 offset:124
	v_pk_add_f32 v[70:71], v[70:71], v[198:199]
	s_nop 0
	v_pk_add_f32 v[138:139], v[70:71], v[196:197]
.LBB74_4:                               ;   in Loop: Header=BB74_5 Depth=1
	s_waitcnt lgkmcnt(1)
	v_sub_f32_e32 v0, v0, v141
	s_add_u32 s34, s34, s24
	v_mul_f32_e32 v0, v148, v0
	s_addc_u32 s35, s35, 0
	v_mov_b64_e32 v[136:137], s[12:13]
	s_waitcnt lgkmcnt(0)
	v_mul_f32_e32 v149, v0, v140
	s_add_u32 s28, s28, s24
	v_cmp_lt_i64_e32 vcc, s[34:35], v[136:137]
	v_pk_add_f32 v[70:71], v[138:139], v[148:149]
	v_lshl_add_u64 v[6:7], v[6:7], 0, s[30:31]
	v_lshl_add_u64 v[8:9], v[8:9], 0, s[30:31]
	;; [unrolled: 1-line block ×65, first 2 shown]
	s_addc_u32 s29, s29, 0
	s_cbranch_vccz .LBB74_145
.LBB74_5:                               ; =>This Inner Loop Header: Depth=1
	s_add_u32 s36, s10, s28
	s_addc_u32 s37, 0, s29
	v_mov_b64_e32 v[136:137], s[12:13]
	v_cmp_ge_i64_e32 vcc, s[36:37], v[136:137]
	v_lshl_add_u64 v[136:137], s[10:11], 0, v[2:3]
	s_cbranch_vccz .LBB74_75
; %bb.6:                                ;   in Loop: Header=BB74_5 Depth=1
	s_load_dword s9, s[26:27], 0xc
	v_mov_b32_e32 v138, 0
	v_mov_b32_e32 v149, 0
	;; [unrolled: 1-line block ×3, first 2 shown]
	s_waitcnt lgkmcnt(0)
	s_and_b32 s9, s9, 0xffff
	v_mad_u32_u24 v0, v203, s9, v202
	v_and_b32_e32 v0, 63, v0
	v_cmp_gt_u32_e32 vcc, 32, v0
	s_and_saveexec_b64 s[36:37], vcc
	s_cbranch_execz .LBB74_10
; %bb.7:                                ;   in Loop: Header=BB74_5 Depth=1
	v_lshl_add_u64 v[140:141], v[136:137], 0, v[0:1]
	v_cmp_gt_i64_e32 vcc, s[12:13], v[140:141]
	v_mov_b32_e32 v199, 0
	v_mov_b32_e32 v149, 0
	s_and_saveexec_b64 s[38:39], vcc
	s_cbranch_execz .LBB74_9
; %bb.8:                                ;   in Loop: Header=BB74_5 Depth=1
	v_lshlrev_b64 v[140:141], 2, v[140:141]
	v_lshl_add_u64 v[142:143], s[22:23], 0, v[140:141]
	v_lshl_add_u64 v[140:141], s[20:21], 0, v[140:141]
	global_load_dword v199, v[140:141], off
	global_load_dword v149, v[142:143], off
.LBB74_9:                               ;   in Loop: Header=BB74_5 Depth=1
	s_or_b64 exec, exec, s[38:39]
.LBB74_10:                              ;   in Loop: Header=BB74_5 Depth=1
	s_or_b64 exec, exec, s[36:37]
	v_cmp_gt_i64_e32 vcc, s[12:13], v[136:137]
	s_and_b64 s[38:39], s[6:7], vcc
	v_mov_b32_e32 v139, 0
	s_and_saveexec_b64 s[36:37], s[38:39]
	s_cbranch_execz .LBB74_12
; %bb.11:                               ;   in Loop: Header=BB74_5 Depth=1
	v_lshl_add_u64 v[138:139], v[132:133], 0, v[4:5]
	global_load_ushort v0, v[138:139], off
	v_lshl_add_u64 v[138:139], v[134:135], 0, v[4:5]
	global_load_ushort v139, v[138:139], off
	s_waitcnt vmcnt(1)
	v_cvt_f32_f16_e32 v138, v0
	s_waitcnt vmcnt(0)
	v_cvt_f32_f16_e32 v139, v139
.LBB74_12:                              ;   in Loop: Header=BB74_5 Depth=1
	s_or_b64 exec, exec, s[36:37]
	v_lshl_add_u64 v[140:141], v[136:137], 0, 1
	v_cmp_gt_i64_e32 vcc, s[12:13], v[140:141]
	s_and_b64 s[38:39], s[6:7], vcc
	v_mov_b32_e32 v140, 0
	v_mov_b32_e32 v142, 0
	v_mov_b32_e32 v141, 0
	s_and_saveexec_b64 s[36:37], s[38:39]
	s_cbranch_execz .LBB74_14
; %bb.13:                               ;   in Loop: Header=BB74_5 Depth=1
	v_lshl_add_u64 v[142:143], v[128:129], 0, v[4:5]
	global_load_ushort v0, v[142:143], off
	v_lshl_add_u64 v[142:143], v[130:131], 0, v[4:5]
	global_load_ushort v141, v[142:143], off
	s_waitcnt vmcnt(1)
	v_cvt_f32_f16_e32 v142, v0
	s_waitcnt vmcnt(0)
	v_cvt_f32_f16_e32 v141, v141
.LBB74_14:                              ;   in Loop: Header=BB74_5 Depth=1
	s_or_b64 exec, exec, s[36:37]
	v_lshl_add_u64 v[144:145], v[136:137], 0, 2
	v_cmp_gt_i64_e32 vcc, s[12:13], v[144:145]
	s_and_b64 s[38:39], s[6:7], vcc
	v_mov_b32_e32 v145, 0
	s_and_saveexec_b64 s[36:37], s[38:39]
	s_cbranch_execz .LBB74_16
; %bb.15:                               ;   in Loop: Header=BB74_5 Depth=1
	v_lshl_add_u64 v[144:145], v[124:125], 0, v[4:5]
	global_load_ushort v0, v[144:145], off
	v_lshl_add_u64 v[144:145], v[126:127], 0, v[4:5]
	global_load_ushort v143, v[144:145], off
	s_waitcnt vmcnt(1)
	v_cvt_f32_f16_e32 v140, v0
	s_waitcnt vmcnt(0)
	v_cvt_f32_f16_e32 v145, v143
.LBB74_16:                              ;   in Loop: Header=BB74_5 Depth=1
	s_or_b64 exec, exec, s[36:37]
	v_lshl_add_u64 v[146:147], v[136:137], 0, 3
	v_cmp_gt_i64_e32 vcc, s[12:13], v[146:147]
	s_and_b64 s[38:39], s[6:7], vcc
	v_mov_b32_e32 v144, 0
	v_mov_b32_e32 v146, 0
	v_mov_b32_e32 v147, 0
	s_and_saveexec_b64 s[36:37], s[38:39]
	s_cbranch_execz .LBB74_18
; %bb.17:                               ;   in Loop: Header=BB74_5 Depth=1
	v_lshl_add_u64 v[146:147], v[120:121], 0, v[4:5]
	global_load_ushort v0, v[146:147], off
	v_lshl_add_u64 v[146:147], v[122:123], 0, v[4:5]
	global_load_ushort v143, v[146:147], off
	s_waitcnt vmcnt(1)
	v_cvt_f32_f16_e32 v146, v0
	s_waitcnt vmcnt(0)
	v_cvt_f32_f16_e32 v147, v143
.LBB74_18:                              ;   in Loop: Header=BB74_5 Depth=1
	s_or_b64 exec, exec, s[36:37]
	v_lshl_add_u64 v[150:151], v[136:137], 0, 4
	;; [unrolled: 36-line block ×15, first 2 shown]
	v_cmp_gt_i64_e32 vcc, s[12:13], v[210:211]
	s_and_b64 s[38:39], s[6:7], vcc
	v_mov_b32_e32 v207, 0
	s_and_saveexec_b64 s[36:37], s[38:39]
	s_cbranch_execz .LBB74_72
; %bb.71:                               ;   in Loop: Header=BB74_5 Depth=1
	v_lshl_add_u64 v[210:211], v[10:11], 0, v[4:5]
	global_load_ushort v0, v[210:211], off
	v_lshl_add_u64 v[210:211], v[12:13], 0, v[4:5]
	global_load_ushort v143, v[210:211], off
	s_waitcnt vmcnt(1)
	v_cvt_f32_f16_e32 v198, v0
	s_waitcnt vmcnt(0)
	v_cvt_f32_f16_e32 v207, v143
.LBB74_72:                              ;   in Loop: Header=BB74_5 Depth=1
	s_or_b64 exec, exec, s[36:37]
	v_lshl_add_u64 v[210:211], v[136:137], 0, 31
	v_cmp_gt_i64_e32 vcc, s[12:13], v[210:211]
	s_and_b64 s[38:39], s[6:7], vcc
	v_mov_b32_e32 v148, 0
	v_mov_b32_e32 v0, 0
	s_and_saveexec_b64 s[36:37], s[38:39]
	s_cbranch_execz .LBB74_74
; %bb.73:                               ;   in Loop: Header=BB74_5 Depth=1
	v_lshl_add_u64 v[210:211], v[6:7], 0, v[4:5]
	global_load_ushort v0, v[210:211], off
	v_lshl_add_u64 v[210:211], v[8:9], 0, v[4:5]
	global_load_ushort v143, v[210:211], off
	s_waitcnt vmcnt(1)
	v_cvt_f32_f16_e32 v148, v0
	s_waitcnt vmcnt(0)
	v_cvt_f32_f16_e32 v0, v143
.LBB74_74:                              ;   in Loop: Header=BB74_5 Depth=1
	s_or_b64 exec, exec, s[36:37]
	s_waitcnt vmcnt(1)
	ds_bpermute_b32 v143, v204, v199
	s_waitcnt vmcnt(0)
	ds_bpermute_b32 v161, v204, v149
	ds_bpermute_b32 v209, v204, v199 offset:4
	ds_bpermute_b32 v169, v204, v149 offset:4
	;; [unrolled: 1-line block ×3, first 2 shown]
	s_waitcnt lgkmcnt(4)
	v_sub_f32_e32 v139, v139, v143
	v_mul_f32_e32 v139, v138, v139
	s_waitcnt lgkmcnt(3)
	v_mul_f32_e32 v139, v139, v161
	ds_bpermute_b32 v161, v204, v149 offset:8
	s_waitcnt lgkmcnt(3)
	v_sub_f32_e32 v141, v141, v209
	v_mul_f32_e32 v141, v142, v141
	s_waitcnt lgkmcnt(2)
	v_mul_f32_e32 v143, v141, v169
	s_waitcnt lgkmcnt(1)
	v_sub_f32_e32 v141, v145, v210
	ds_bpermute_b32 v145, v204, v199 offset:12
	v_mul_f32_e32 v141, v140, v141
	s_waitcnt lgkmcnt(1)
	v_mul_f32_e32 v141, v141, v161
	ds_bpermute_b32 v161, v204, v149 offset:12
	ds_bpermute_b32 v169, v204, v199 offset:16
	s_waitcnt lgkmcnt(2)
	v_sub_f32_e32 v145, v147, v145
	v_mul_f32_e32 v145, v146, v145
	ds_bpermute_b32 v209, v204, v149 offset:16
	s_waitcnt lgkmcnt(2)
	v_mul_f32_e32 v147, v145, v161
	s_waitcnt lgkmcnt(1)
	v_sub_f32_e32 v145, v151, v169
	ds_bpermute_b32 v151, v204, v199 offset:20
	ds_bpermute_b32 v161, v204, v149 offset:20
	;; [unrolled: 1-line block ×3, first 2 shown]
	v_pk_add_f32 v[138:139], v[70:71], v[138:139]
	v_mul_f32_e32 v145, v144, v145
	s_waitcnt lgkmcnt(2)
	v_sub_f32_e32 v151, v153, v151
	v_mul_f32_e32 v151, v152, v151
	s_waitcnt lgkmcnt(1)
	v_mul_f32_e32 v153, v151, v161
	s_waitcnt lgkmcnt(0)
	v_sub_f32_e32 v151, v155, v169
	ds_bpermute_b32 v155, v204, v199 offset:28
	ds_bpermute_b32 v161, v204, v149 offset:28
	;; [unrolled: 1-line block ×3, first 2 shown]
	v_pk_add_f32 v[138:139], v[138:139], v[142:143]
	v_mul_f32_e32 v145, v145, v209
	s_waitcnt lgkmcnt(2)
	v_sub_f32_e32 v155, v157, v155
	ds_bpermute_b32 v157, v204, v149 offset:32
	v_mul_f32_e32 v155, v160, v155
	ds_bpermute_b32 v209, v204, v149 offset:24
	s_waitcnt lgkmcnt(3)
	v_mul_f32_e32 v161, v155, v161
	s_waitcnt lgkmcnt(2)
	v_sub_f32_e32 v155, v159, v169
	ds_bpermute_b32 v159, v204, v199 offset:36
	v_pk_add_f32 v[138:139], v[138:139], v[140:141]
	ds_bpermute_b32 v140, v204, v199 offset:44
	v_mul_f32_e32 v155, v154, v155
	s_waitcnt lgkmcnt(3)
	v_mul_f32_e32 v155, v155, v157
	ds_bpermute_b32 v157, v204, v149 offset:36
	ds_bpermute_b32 v141, v204, v149 offset:44
	v_mul_f32_e32 v151, v150, v151
	s_waitcnt lgkmcnt(4)
	v_mul_f32_e32 v151, v151, v209
	ds_bpermute_b32 v209, v204, v199 offset:40
	s_waitcnt lgkmcnt(4)
	v_sub_f32_e32 v159, v163, v159
	s_waitcnt lgkmcnt(3)
	v_sub_f32_e32 v140, v167, v140
	ds_bpermute_b32 v142, v204, v199 offset:48
	v_mul_f32_e32 v159, v168, v159
	v_mul_f32_e32 v140, v158, v140
	ds_bpermute_b32 v163, v204, v149 offset:40
	s_waitcnt lgkmcnt(4)
	v_mul_f32_e32 v169, v159, v157
	s_waitcnt lgkmcnt(3)
	v_mul_f32_e32 v159, v140, v141
	ds_bpermute_b32 v140, v204, v149 offset:48
	ds_bpermute_b32 v141, v204, v199 offset:52
	;; [unrolled: 1-line block ×3, first 2 shown]
	s_waitcnt lgkmcnt(5)
	v_sub_f32_e32 v157, v165, v209
	s_waitcnt lgkmcnt(4)
	v_sub_f32_e32 v142, v171, v142
	v_mul_f32_e32 v157, v164, v157
	v_mul_f32_e32 v142, v156, v142
	s_waitcnt lgkmcnt(3)
	v_mul_f32_e32 v165, v157, v163
	s_waitcnt lgkmcnt(2)
	;; [unrolled: 2-line block ×3, first 2 shown]
	v_sub_f32_e32 v140, v173, v141
	ds_bpermute_b32 v141, v204, v199 offset:56
	v_mul_f32_e32 v140, v166, v140
	s_waitcnt lgkmcnt(1)
	v_mul_f32_e32 v167, v140, v143
	ds_bpermute_b32 v140, v204, v149 offset:56
	ds_bpermute_b32 v142, v204, v199 offset:60
	ds_bpermute_b32 v143, v204, v149 offset:60
	s_waitcnt lgkmcnt(3)
	v_sub_f32_e32 v141, v175, v141
	v_mul_f32_e32 v141, v162, v141
	s_waitcnt lgkmcnt(2)
	v_mul_f32_e32 v163, v141, v140
	s_waitcnt lgkmcnt(1)
	v_sub_f32_e32 v140, v177, v142
	ds_bpermute_b32 v141, v204, v199 offset:64
	v_mul_f32_e32 v140, v172, v140
	s_waitcnt lgkmcnt(1)
	v_mul_f32_e32 v173, v140, v143
	ds_bpermute_b32 v140, v204, v149 offset:64
	ds_bpermute_b32 v142, v204, v199 offset:68
	ds_bpermute_b32 v143, v204, v149 offset:68
	s_waitcnt lgkmcnt(3)
	v_sub_f32_e32 v141, v179, v141
	v_mul_f32_e32 v141, v170, v141
	s_waitcnt lgkmcnt(2)
	v_mul_f32_e32 v171, v141, v140
	s_waitcnt lgkmcnt(1)
	;; [unrolled: 14-line block ×4, first 2 shown]
	v_sub_f32_e32 v140, v193, v142
	v_mul_f32_e32 v140, v188, v140
	s_waitcnt lgkmcnt(0)
	v_mul_f32_e32 v189, v140, v143
	ds_bpermute_b32 v140, v204, v199 offset:88
	ds_bpermute_b32 v141, v204, v149 offset:88
	ds_bpermute_b32 v142, v204, v199 offset:92
	ds_bpermute_b32 v143, v204, v149 offset:92
	v_pk_add_f32 v[138:139], v[138:139], v[146:147]
	s_waitcnt lgkmcnt(3)
	v_sub_f32_e32 v140, v187, v140
	v_mul_f32_e32 v140, v178, v140
	s_waitcnt lgkmcnt(2)
	v_mul_f32_e32 v179, v140, v141
	s_waitcnt lgkmcnt(1)
	v_sub_f32_e32 v140, v191, v142
	ds_bpermute_b32 v141, v204, v199 offset:96
	v_mul_f32_e32 v140, v186, v140
	s_waitcnt lgkmcnt(1)
	v_mul_f32_e32 v187, v140, v143
	ds_bpermute_b32 v140, v204, v149 offset:96
	ds_bpermute_b32 v142, v204, v199 offset:100
	;; [unrolled: 1-line block ×3, first 2 shown]
	s_waitcnt lgkmcnt(3)
	v_sub_f32_e32 v141, v195, v141
	v_pk_add_f32 v[138:139], v[138:139], v[144:145]
	v_mul_f32_e32 v141, v184, v141
	v_pk_add_f32 v[138:139], v[138:139], v[152:153]
	s_waitcnt lgkmcnt(2)
	v_mul_f32_e32 v185, v141, v140
	s_waitcnt lgkmcnt(1)
	v_sub_f32_e32 v140, v197, v142
	ds_bpermute_b32 v141, v204, v199 offset:104
	v_pk_add_f32 v[138:139], v[138:139], v[150:151]
	v_mul_f32_e32 v140, v192, v140
	v_pk_add_f32 v[138:139], v[138:139], v[160:161]
	s_waitcnt lgkmcnt(1)
	v_mul_f32_e32 v193, v140, v143
	ds_bpermute_b32 v140, v204, v149 offset:104
	ds_bpermute_b32 v142, v204, v199 offset:108
	v_pk_add_f32 v[138:139], v[138:139], v[154:155]
	ds_bpermute_b32 v143, v204, v149 offset:108
	v_pk_add_f32 v[138:139], v[138:139], v[168:169]
	s_waitcnt lgkmcnt(3)
	v_sub_f32_e32 v141, v201, v141
	v_pk_add_f32 v[138:139], v[138:139], v[164:165]
	v_mul_f32_e32 v141, v190, v141
	v_pk_add_f32 v[138:139], v[138:139], v[158:159]
	s_waitcnt lgkmcnt(2)
	v_mul_f32_e32 v191, v141, v140
	v_pk_add_f32 v[138:139], v[138:139], v[156:157]
	s_waitcnt lgkmcnt(1)
	v_sub_f32_e32 v140, v205, v142
	ds_bpermute_b32 v141, v204, v199 offset:112
	v_pk_add_f32 v[138:139], v[138:139], v[166:167]
	v_mul_f32_e32 v140, v196, v140
	v_pk_add_f32 v[138:139], v[138:139], v[162:163]
	s_waitcnt lgkmcnt(1)
	v_mul_f32_e32 v197, v140, v143
	ds_bpermute_b32 v140, v204, v149 offset:112
	ds_bpermute_b32 v142, v204, v199 offset:116
	v_pk_add_f32 v[138:139], v[138:139], v[172:173]
	ds_bpermute_b32 v143, v204, v149 offset:116
	v_pk_add_f32 v[138:139], v[138:139], v[170:171]
	s_waitcnt lgkmcnt(3)
	v_sub_f32_e32 v141, v206, v141
	v_pk_add_f32 v[138:139], v[138:139], v[176:177]
	v_mul_f32_e32 v141, v194, v141
	v_pk_add_f32 v[138:139], v[138:139], v[174:175]
	s_waitcnt lgkmcnt(2)
	v_mul_f32_e32 v195, v141, v140
	v_pk_add_f32 v[138:139], v[138:139], v[182:183]
	s_waitcnt lgkmcnt(1)
	v_sub_f32_e32 v140, v208, v142
	v_pk_add_f32 v[138:139], v[138:139], v[180:181]
	v_mul_f32_e32 v140, v200, v140
	v_pk_add_f32 v[138:139], v[138:139], v[188:189]
	s_waitcnt lgkmcnt(0)
	v_mul_f32_e32 v201, v140, v143
	ds_bpermute_b32 v140, v204, v199 offset:120
	v_pk_add_f32 v[138:139], v[138:139], v[178:179]
	ds_bpermute_b32 v142, v204, v149 offset:120
	v_pk_add_f32 v[138:139], v[138:139], v[186:187]
	;; [unrolled: 2-line block ×3, first 2 shown]
	s_waitcnt lgkmcnt(2)
	v_sub_f32_e32 v143, v207, v140
	v_pk_add_f32 v[138:139], v[138:139], v[192:193]
	ds_bpermute_b32 v140, v204, v149 offset:124
	v_pk_add_f32 v[138:139], v[138:139], v[190:191]
	v_mul_f32_e32 v143, v198, v143
	v_pk_add_f32 v[138:139], v[138:139], v[196:197]
	s_waitcnt lgkmcnt(2)
	v_mul_f32_e32 v199, v143, v142
	v_pk_add_f32 v[138:139], v[138:139], v[194:195]
	s_nop 0
	v_pk_add_f32 v[138:139], v[138:139], v[200:201]
	s_nop 0
	v_pk_add_f32 v[138:139], v[138:139], v[198:199]
	s_branch .LBB74_4
.LBB74_75:                              ;   in Loop: Header=BB74_5 Depth=1
                                        ; implicit-def: $vgpr138_vgpr139
                                        ; implicit-def: $vgpr140
                                        ; implicit-def: $vgpr148
                                        ; implicit-def: $vgpr0
                                        ; implicit-def: $vgpr141
	s_cbranch_execz .LBB74_4
; %bb.76:                               ;   in Loop: Header=BB74_5 Depth=1
	s_load_dword s9, s[26:27], 0x0
	v_mov_b32_e32 v138, 0
	v_mov_b32_e32 v149, 0
	;; [unrolled: 1-line block ×3, first 2 shown]
	s_waitcnt lgkmcnt(0)
	s_cmp_lt_u32 s2, s9
	s_cselect_b32 s9, 12, 18
	s_add_u32 s36, s26, s9
	s_addc_u32 s37, s27, 0
	global_load_ushort v0, v1, s[36:37]
	s_waitcnt vmcnt(0)
	v_mad_u32_u24 v0, v203, v0, v202
	v_and_b32_e32 v0, 63, v0
	v_cmp_gt_u32_e32 vcc, 32, v0
	s_and_saveexec_b64 s[36:37], vcc
	s_cbranch_execz .LBB74_80
; %bb.77:                               ;   in Loop: Header=BB74_5 Depth=1
	v_lshl_add_u64 v[136:137], v[136:137], 0, v[0:1]
	v_cmp_gt_i64_e32 vcc, s[12:13], v[136:137]
	v_mov_b32_e32 v197, 0
	v_mov_b32_e32 v149, 0
	s_and_saveexec_b64 s[38:39], vcc
	s_cbranch_execz .LBB74_79
; %bb.78:                               ;   in Loop: Header=BB74_5 Depth=1
	v_lshlrev_b64 v[136:137], 2, v[136:137]
	v_lshl_add_u64 v[140:141], s[22:23], 0, v[136:137]
	v_lshl_add_u64 v[136:137], s[20:21], 0, v[136:137]
	global_load_dword v197, v[136:137], off
	global_load_dword v149, v[140:141], off
.LBB74_79:                              ;   in Loop: Header=BB74_5 Depth=1
	s_or_b64 exec, exec, s[38:39]
.LBB74_80:                              ;   in Loop: Header=BB74_5 Depth=1
	s_or_b64 exec, exec, s[36:37]
	v_mov_b32_e32 v137, 0
	s_and_saveexec_b64 s[36:37], s[6:7]
	s_cbranch_execz .LBB74_82
; %bb.81:                               ;   in Loop: Header=BB74_5 Depth=1
	v_lshl_add_u64 v[136:137], v[132:133], 0, v[4:5]
	global_load_ushort v0, v[136:137], off
	v_lshl_add_u64 v[136:137], v[134:135], 0, v[4:5]
	global_load_ushort v136, v[136:137], off
	s_waitcnt vmcnt(1)
	v_cvt_f32_f16_e32 v138, v0
	s_waitcnt vmcnt(0)
	v_cvt_f32_f16_e32 v137, v136
.LBB74_82:                              ;   in Loop: Header=BB74_5 Depth=1
	s_or_b64 exec, exec, s[36:37]
	v_mov_b32_e32 v136, 0
	v_mov_b32_e32 v140, 0
	v_mov_b32_e32 v141, 0
	s_and_saveexec_b64 s[36:37], s[6:7]
	s_cbranch_execz .LBB74_84
; %bb.83:                               ;   in Loop: Header=BB74_5 Depth=1
	v_lshl_add_u64 v[140:141], v[128:129], 0, v[4:5]
	global_load_ushort v0, v[140:141], off
	v_lshl_add_u64 v[140:141], v[130:131], 0, v[4:5]
	global_load_ushort v139, v[140:141], off
	s_waitcnt vmcnt(1)
	v_cvt_f32_f16_e32 v140, v0
	s_waitcnt vmcnt(0)
	v_cvt_f32_f16_e32 v141, v139
.LBB74_84:                              ;   in Loop: Header=BB74_5 Depth=1
	s_or_b64 exec, exec, s[36:37]
	v_mov_b32_e32 v143, 0
	s_and_saveexec_b64 s[36:37], s[6:7]
	s_cbranch_execz .LBB74_86
; %bb.85:                               ;   in Loop: Header=BB74_5 Depth=1
	v_lshl_add_u64 v[142:143], v[124:125], 0, v[4:5]
	global_load_ushort v0, v[142:143], off
	v_lshl_add_u64 v[142:143], v[126:127], 0, v[4:5]
	global_load_ushort v139, v[142:143], off
	s_waitcnt vmcnt(1)
	v_cvt_f32_f16_e32 v136, v0
	s_waitcnt vmcnt(0)
	v_cvt_f32_f16_e32 v143, v139
.LBB74_86:                              ;   in Loop: Header=BB74_5 Depth=1
	s_or_b64 exec, exec, s[36:37]
	v_mov_b32_e32 v142, 0
	v_mov_b32_e32 v144, 0
	v_mov_b32_e32 v145, 0
	s_and_saveexec_b64 s[36:37], s[6:7]
	s_cbranch_execz .LBB74_88
; %bb.87:                               ;   in Loop: Header=BB74_5 Depth=1
	v_lshl_add_u64 v[144:145], v[120:121], 0, v[4:5]
	global_load_ushort v0, v[144:145], off
	v_lshl_add_u64 v[144:145], v[122:123], 0, v[4:5]
	global_load_ushort v139, v[144:145], off
	s_waitcnt vmcnt(1)
	v_cvt_f32_f16_e32 v144, v0
	s_waitcnt vmcnt(0)
	v_cvt_f32_f16_e32 v145, v139
.LBB74_88:                              ;   in Loop: Header=BB74_5 Depth=1
	;; [unrolled: 30-line block ×4, first 2 shown]
	s_or_b64 exec, exec, s[36:37]
	v_mov_b32_e32 v157, 0
	s_and_saveexec_b64 s[36:37], s[6:7]
	s_cbranch_execz .LBB74_98
; %bb.97:                               ;   in Loop: Header=BB74_5 Depth=1
	v_lshl_add_u64 v[156:157], v[100:101], 0, v[4:5]
	global_load_ushort v0, v[156:157], off
	v_lshl_add_u64 v[156:157], v[102:103], 0, v[4:5]
	global_load_ushort v139, v[156:157], off
	s_waitcnt vmcnt(1)
	v_cvt_f32_f16_e32 v156, v0
	s_waitcnt vmcnt(0)
	v_cvt_f32_f16_e32 v157, v139
.LBB74_98:                              ;   in Loop: Header=BB74_5 Depth=1
	s_or_b64 exec, exec, s[36:37]
	v_mov_b32_e32 v164, 0
	v_mov_b32_e32 v166, 0
	;; [unrolled: 1-line block ×3, first 2 shown]
	s_and_saveexec_b64 s[36:37], s[6:7]
	s_cbranch_execz .LBB74_100
; %bb.99:                               ;   in Loop: Header=BB74_5 Depth=1
	v_lshl_add_u64 v[160:161], v[96:97], 0, v[4:5]
	global_load_ushort v0, v[160:161], off
	v_lshl_add_u64 v[160:161], v[98:99], 0, v[4:5]
	global_load_ushort v139, v[160:161], off
	s_waitcnt vmcnt(1)
	v_cvt_f32_f16_e32 v166, v0
	s_waitcnt vmcnt(0)
	v_cvt_f32_f16_e32 v163, v139
.LBB74_100:                             ;   in Loop: Header=BB74_5 Depth=1
	s_or_b64 exec, exec, s[36:37]
	v_mov_b32_e32 v165, 0
	s_and_saveexec_b64 s[36:37], s[6:7]
	s_cbranch_execz .LBB74_102
; %bb.101:                              ;   in Loop: Header=BB74_5 Depth=1
	v_lshl_add_u64 v[160:161], v[92:93], 0, v[4:5]
	global_load_ushort v0, v[160:161], off
	v_lshl_add_u64 v[160:161], v[94:95], 0, v[4:5]
	global_load_ushort v139, v[160:161], off
	s_waitcnt vmcnt(1)
	v_cvt_f32_f16_e32 v164, v0
	s_waitcnt vmcnt(0)
	v_cvt_f32_f16_e32 v165, v139
.LBB74_102:                             ;   in Loop: Header=BB74_5 Depth=1
	s_or_b64 exec, exec, s[36:37]
	v_mov_b32_e32 v152, 0
	v_mov_b32_e32 v154, 0
	v_mov_b32_e32 v161, 0
	s_and_saveexec_b64 s[36:37], s[6:7]
	s_cbranch_execz .LBB74_104
; %bb.103:                              ;   in Loop: Header=BB74_5 Depth=1
	v_lshl_add_u64 v[160:161], v[88:89], 0, v[4:5]
	global_load_ushort v0, v[160:161], off
	v_lshl_add_u64 v[160:161], v[90:91], 0, v[4:5]
	global_load_ushort v139, v[160:161], off
	s_waitcnt vmcnt(1)
	v_cvt_f32_f16_e32 v154, v0
	s_waitcnt vmcnt(0)
	v_cvt_f32_f16_e32 v161, v139
.LBB74_104:                             ;   in Loop: Header=BB74_5 Depth=1
	s_or_b64 exec, exec, s[36:37]
	v_mov_b32_e32 v169, 0
	s_and_saveexec_b64 s[36:37], s[6:7]
	s_cbranch_execz .LBB74_106
; %bb.105:                              ;   in Loop: Header=BB74_5 Depth=1
	v_lshl_add_u64 v[168:169], v[84:85], 0, v[4:5]
	global_load_ushort v0, v[168:169], off
	v_lshl_add_u64 v[168:169], v[86:87], 0, v[4:5]
	global_load_ushort v139, v[168:169], off
	s_waitcnt vmcnt(1)
	v_cvt_f32_f16_e32 v152, v0
	s_waitcnt vmcnt(0)
	v_cvt_f32_f16_e32 v169, v139
.LBB74_106:                             ;   in Loop: Header=BB74_5 Depth=1
	s_or_b64 exec, exec, s[36:37]
	v_mov_b32_e32 v160, 0
	v_mov_b32_e32 v162, 0
	v_mov_b32_e32 v171, 0
	s_and_saveexec_b64 s[36:37], s[6:7]
	s_cbranch_execz .LBB74_108
; %bb.107:                              ;   in Loop: Header=BB74_5 Depth=1
	v_lshl_add_u64 v[170:171], v[80:81], 0, v[4:5]
	global_load_ushort v0, v[170:171], off
	v_lshl_add_u64 v[170:171], v[82:83], 0, v[4:5]
	global_load_ushort v139, v[170:171], off
	s_waitcnt vmcnt(1)
	v_cvt_f32_f16_e32 v162, v0
	s_waitcnt vmcnt(0)
	v_cvt_f32_f16_e32 v171, v139
.LBB74_108:                             ;   in Loop: Header=BB74_5 Depth=1
	;; [unrolled: 30-line block ×10, first 2 shown]
	s_or_b64 exec, exec, s[36:37]
	v_mov_b32_e32 v205, 0
	s_and_saveexec_b64 s[36:37], s[6:7]
	s_cbranch_execz .LBB74_142
; %bb.141:                              ;   in Loop: Header=BB74_5 Depth=1
	v_lshl_add_u64 v[208:209], v[10:11], 0, v[4:5]
	global_load_ushort v0, v[208:209], off
	v_lshl_add_u64 v[208:209], v[12:13], 0, v[4:5]
	global_load_ushort v139, v[208:209], off
	s_waitcnt vmcnt(1)
	v_cvt_f32_f16_e32 v196, v0
	s_waitcnt vmcnt(0)
	v_cvt_f32_f16_e32 v205, v139
.LBB74_142:                             ;   in Loop: Header=BB74_5 Depth=1
	s_or_b64 exec, exec, s[36:37]
	v_mov_b32_e32 v148, 0
	v_mov_b32_e32 v0, 0
	s_and_saveexec_b64 s[36:37], s[6:7]
	s_cbranch_execz .LBB74_3
; %bb.143:                              ;   in Loop: Header=BB74_5 Depth=1
	v_lshl_add_u64 v[208:209], v[6:7], 0, v[4:5]
	global_load_ushort v0, v[208:209], off
	v_lshl_add_u64 v[208:209], v[8:9], 0, v[4:5]
	global_load_ushort v139, v[208:209], off
	s_waitcnt vmcnt(1)
	v_cvt_f32_f16_e32 v148, v0
	s_waitcnt vmcnt(0)
	v_cvt_f32_f16_e32 v0, v139
	s_branch .LBB74_3
.LBB74_144:
                                        ; implicit-def: $vgpr70_vgpr71
	s_branch .LBB74_146
.LBB74_145:
	s_cbranch_execnz .LBB74_226
.LBB74_146:
	s_mov_b32 s7, 0
	s_mov_b32 s6, s7
	s_and_b64 vcc, exec, s[4:5]
	v_mov_b64_e32 v[70:71], s[6:7]
	s_cbranch_vccnz .LBB74_226
; %bb.147:
	v_and_b32_e32 v0, 0x3ff, v212
	v_accvgpr_write_b32 a1, v0
	v_add_u32_e32 v72, s3, v0
	v_mov_b32_e32 v73, 0
	v_bfe_u32 v0, v212, 10, 10
	v_lshlrev_b64 v[6:7], 1, v[72:73]
	v_lshlrev_b32_e32 v72, 6, v0
	v_lshlrev_b32_e32 v4, 5, v0
	v_accvgpr_write_b32 a4, v0
	v_lshl_add_u64 v[0:1], s[10:11], 1, v[72:73]
	v_lshl_add_u64 v[42:43], v[0:1], 0, 2
	v_mov_b64_e32 v[10:11], s[16:17]
	v_mad_u64_u32 v[2:3], s[24:25], s14, v42, v[10:11]
	v_mul_lo_u32 v43, s14, v43
	v_mul_lo_u32 v72, s15, v42
	v_add3_u32 v3, v72, v3, v43
	v_accvgpr_write_b32 a7, v3
	v_lshl_add_u64 v[50:51], v[0:1], 0, 4
	v_accvgpr_write_b32 a6, v2
	v_mad_u64_u32 v[2:3], s[26:27], s14, v50, v[10:11]
	v_mul_lo_u32 v51, s14, v51
	v_mul_lo_u32 v80, s15, v50
	v_add3_u32 v3, v80, v3, v51
	v_accvgpr_write_b32 a9, v3
	v_lshl_add_u64 v[52:53], v[0:1], 0, 6
	v_accvgpr_write_b32 a8, v2
	;; [unrolled: 7-line block ×29, first 2 shown]
	v_mad_u64_u32 v[2:3], s[26:27], s14, v8, v[10:11]
	v_mul_lo_u32 v132, s14, v9
	v_mul_lo_u32 v133, s15, v8
	v_add3_u32 v3, v133, v3, v132
	v_accvgpr_write_b32 a65, v3
	v_accvgpr_write_b32 a64, v2
	v_lshl_add_u64 v[2:3], v[0:1], 0, 62
	v_mad_u64_u32 v[0:1], s[26:27], s14, v2, v[10:11]
	v_mul_lo_u32 v134, s14, v3
	v_mul_lo_u32 v135, s15, v2
	v_add3_u32 v1, v135, v1, v134
	v_mov_b32_e32 v5, v73
	v_accvgpr_write_b32 a67, v1
	v_accvgpr_write_b32 a66, v0
	v_lshl_add_u64 v[0:1], v[4:5], 0, s[10:11]
	v_mul_lo_u32 v3, s15, v0
	v_mul_lo_u32 v9, s14, v1
	v_mad_u64_u32 v[10:11], s[26:27], s14, v0, 0
	v_add3_u32 v11, v11, v9, v3
	v_lshlrev_b64 v[10:11], 1, v[10:11]
	v_lshl_add_u64 v[70:71], s[16:17], 0, v[10:11]
	v_accvgpr_write_b32 a68, v70
	v_accvgpr_write_b32 a69, v71
	v_mov_b64_e32 v[70:71], s[18:19]
	v_mad_u64_u32 v[88:89], s[26:27], s14, v66, v[70:71]
	v_add3_u32 v89, v90, v89, v67
	v_mad_u64_u32 v[90:91], s[26:27], s14, v60, v[70:71]
	v_add3_u32 v91, v92, v91, v61
	;; [unrolled: 2-line block ×23, first 2 shown]
	v_lshl_add_u64 v[134:135], s[18:19], 0, v[10:11]
	v_lshl_add_u64 v[10:11], v[0:1], 0, 31
	v_mul_lo_u32 v2, s15, v10
	v_mul_lo_u32 v8, s14, v11
	v_mad_u64_u32 v[10:11], s[28:29], s14, v10, 0
	v_add3_u32 v11, v11, v8, v2
	v_lshlrev_b64 v[10:11], 1, v[10:11]
	v_lshl_add_u64 v[136:137], s[16:17], 0, v[10:11]
	v_lshl_add_u64 v[138:139], s[18:19], 0, v[10:11]
	v_lshl_add_u64 v[10:11], v[0:1], 0, 30
	v_mul_lo_u32 v2, s15, v10
	v_mul_lo_u32 v8, s14, v11
	v_mad_u64_u32 v[10:11], s[28:29], s14, v10, 0
	v_add3_u32 v11, v11, v8, v2
	v_lshlrev_b64 v[10:11], 1, v[10:11]
	v_lshl_add_u64 v[140:141], s[16:17], 0, v[10:11]
	;; [unrolled: 8-line block ×19, first 2 shown]
	v_lshl_add_u64 v[210:211], s[18:19], 0, v[10:11]
	v_lshl_add_u64 v[10:11], v[0:1], 0, 12
	v_mul_lo_u32 v2, s15, v10
	v_mul_lo_u32 v8, s14, v11
	v_mad_u64_u32 v[10:11], s[28:29], s14, v10, 0
	v_add3_u32 v11, v11, v8, v2
	v_lshlrev_b64 v[10:11], 1, v[10:11]
	v_accvgpr_write_b32 a0, v212
	v_lshl_add_u64 v[212:213], s[16:17], 0, v[10:11]
	v_lshl_add_u64 v[214:215], s[18:19], 0, v[10:11]
	v_lshl_add_u64 v[10:11], v[0:1], 0, 11
	v_mul_lo_u32 v2, s15, v10
	v_mul_lo_u32 v8, s14, v11
	v_mad_u64_u32 v[10:11], s[28:29], s14, v10, 0
	v_add3_u32 v11, v11, v8, v2
	v_lshlrev_b64 v[10:11], 1, v[10:11]
	v_lshl_add_u64 v[216:217], s[16:17], 0, v[10:11]
	v_lshl_add_u64 v[218:219], s[18:19], 0, v[10:11]
	v_lshl_add_u64 v[10:11], v[0:1], 0, 10
	v_mul_lo_u32 v2, s15, v10
	v_mul_lo_u32 v8, s14, v11
	v_mad_u64_u32 v[10:11], s[28:29], s14, v10, 0
	v_add3_u32 v11, v11, v8, v2
	v_lshlrev_b64 v[10:11], 1, v[10:11]
	;; [unrolled: 8-line block ×4, first 2 shown]
	v_lshl_add_u64 v[228:229], s[16:17], 0, v[10:11]
	v_lshl_add_u64 v[230:231], s[18:19], 0, v[10:11]
	;; [unrolled: 1-line block ×3, first 2 shown]
	v_mul_lo_u32 v2, s15, v10
	v_mul_lo_u32 v8, s14, v11
	v_mad_u64_u32 v[10:11], s[28:29], s14, v10, 0
	v_lshl_add_u64 v[12:13], v[0:1], 0, 6
	v_add3_u32 v11, v11, v8, v2
	v_mul_lo_u32 v2, s15, v12
	v_mul_lo_u32 v8, s14, v13
	v_mad_u64_u32 v[12:13], s[28:29], s14, v12, 0
	v_lshl_add_u64 v[14:15], v[0:1], 0, 5
	v_add3_u32 v13, v13, v8, v2
	;; [unrolled: 5-line block ×3, first 2 shown]
	v_mul_lo_u32 v2, s15, v16
	v_mul_lo_u32 v8, s14, v17
	v_mad_u64_u32 v[16:17], s[28:29], s14, v16, 0
	v_lshl_add_u64 v[18:19], v[0:1], 0, 3
	v_mad_u64_u32 v[82:83], s[26:27], s14, v42, v[70:71]
	v_add3_u32 v17, v17, v8, v2
	v_mul_lo_u32 v2, s15, v18
	v_mul_lo_u32 v8, s14, v19
	v_mad_u64_u32 v[18:19], s[28:29], s14, v18, 0
	v_lshl_add_u64 v[20:21], v[0:1], 0, 2
	v_add3_u32 v83, v72, v83, v43
	v_mad_u64_u32 v[42:43], s[26:27], s14, v50, v[70:71]
	v_add3_u32 v19, v19, v8, v2
	v_mul_lo_u32 v1, s15, v20
	v_mul_lo_u32 v2, s14, v21
	v_mad_u64_u32 v[20:21], s[28:29], s14, v20, 0
	v_mov_b64_e32 v[22:23], s[14:15]
	s_load_dword s3, s[0:1], 0x44
	v_add3_u32 v43, v80, v43, v51
	v_add3_u32 v21, v21, v2, v1
	v_mad_u64_u32 v[0:1], s[28:29], s14, v0, v[22:23]
	v_accvgpr_write_b32 a73, v43
	v_add3_u32 v1, v3, v1, v9
	v_lshlrev_b64 v[2:3], 1, v[14:15]
	v_accvgpr_write_b32 a72, v42
	v_mad_u64_u32 v[42:43], s[26:27], s14, v52, v[70:71]
	v_lshl_add_u64 v[240:241], s[16:17], 0, v[2:3]
	v_lshl_add_u64 v[242:243], s[18:19], 0, v[2:3]
	v_lshlrev_b64 v[2:3], 1, v[16:17]
	v_add3_u32 v43, v74, v43, v53
	v_lshl_add_u64 v[244:245], s[16:17], 0, v[2:3]
	v_lshl_add_u64 v[246:247], s[18:19], 0, v[2:3]
	v_lshlrev_b64 v[2:3], 1, v[18:19]
	s_add_u32 s4, s0, 64
	v_accvgpr_write_b32 a75, v43
	v_lshl_add_u64 v[248:249], s[16:17], 0, v[2:3]
	v_lshl_add_u64 v[250:251], s[18:19], 0, v[2:3]
	v_lshlrev_b64 v[2:3], 1, v[20:21]
	v_lshlrev_b64 v[0:1], 1, v[0:1]
	s_addc_u32 s5, s1, 0
	s_waitcnt lgkmcnt(0)
	s_lshl_b32 s6, s3, 5
	v_accvgpr_write_b32 a74, v42
	v_mad_u64_u32 v[42:43], s[26:27], s14, v54, v[70:71]
	v_lshl_add_u64 v[252:253], s[16:17], 0, v[2:3]
	v_lshl_add_u64 v[254:255], s[18:19], 0, v[2:3]
	;; [unrolled: 1-line block ×4, first 2 shown]
	v_mbcnt_lo_u32_b32 v0, -1, 0
	s_mul_i32 s3, s15, s6
	s_mul_hi_u32 s9, s14, s6
	v_accvgpr_write_b32 a70, v82
	v_add3_u32 v43, v75, v43, v55
	v_lshlrev_b64 v[10:11], 1, v[10:11]
	v_mbcnt_hi_u32_b32 v0, -1, v0
	s_add_i32 s25, s9, s3
	s_mul_i32 s24, s14, s6
	v_accvgpr_write_b32 a71, v83
	v_accvgpr_write_b32 a77, v43
	v_mad_u64_u32 v[80:81], s[26:27], s14, v58, v[70:71]
	v_mad_u64_u32 v[82:83], s[26:27], s14, v62, v[70:71]
	;; [unrolled: 1-line block ×4, first 2 shown]
	v_lshl_add_u64 v[232:233], s[16:17], 0, v[10:11]
	v_lshl_add_u64 v[234:235], s[18:19], 0, v[10:11]
	v_lshlrev_b64 v[10:11], 1, v[12:13]
	v_lshlrev_b32_e32 v0, 2, v0
	s_lshl_b64 s[24:25], s[24:25], 1
	v_accvgpr_write_b32 a76, v42
	v_add3_u32 v81, v76, v81, v59
	v_add3_u32 v83, v77, v83, v63
	;; [unrolled: 1-line block ×4, first 2 shown]
	s_mov_b64 s[26:27], 31
	v_lshl_add_u64 v[236:237], s[16:17], 0, v[10:11]
	v_lshl_add_u64 v[238:239], s[18:19], 0, v[10:11]
	v_and_b32_e32 v76, 0x100, v0
	v_mov_b32_e32 v0, v73
	v_accvgpr_write_b32 a3, v73
	v_mov_b32_e32 v1, v73
	s_mov_b64 s[16:17], s[10:11]
	s_branch .LBB74_151
.LBB74_148:                             ;   in Loop: Header=BB74_151 Depth=1
	s_or_b64 exec, exec, s[28:29]
.LBB74_149:                             ;   in Loop: Header=BB74_151 Depth=1
	s_or_b64 exec, exec, s[18:19]
	v_accvgpr_read_b32 v10, a68
	v_accvgpr_read_b32 v11, a69
	v_lshl_add_u64 v[10:11], v[10:11], 0, v[6:7]
	v_lshl_add_u64 v[12:13], v[134:135], 0, v[6:7]
	global_load_ushort v10, v[10:11], off
	v_lshl_add_u64 v[68:69], v[130:131], 0, v[6:7]
	global_load_ushort v11, v[12:13], off
	v_accvgpr_read_b32 v13, a7
	v_accvgpr_read_b32 v12, a6
	v_lshl_add_u64 v[12:13], v[12:13], 0, v[6:7]
	global_load_ushort v12, v[12:13], off
	s_waitcnt vmcnt(3)
	ds_bpermute_b32 v67, v76, v57
	s_waitcnt vmcnt(2)
	v_cvt_f32_f16_e32 v10, v10
	s_waitcnt vmcnt(1)
	v_cvt_f32_f16_e32 v11, v11
	;; [unrolled: 2-line block ×3, first 2 shown]
	v_accvgpr_read_b32 v12, a70
	v_accvgpr_read_b32 v13, a71
	v_lshl_add_u64 v[12:13], v[12:13], 0, v[6:7]
	global_load_ushort v12, v[12:13], off
	s_waitcnt vmcnt(0)
	v_cvt_f32_f16_e32 v37, v12
	v_accvgpr_read_b32 v13, a9
	v_accvgpr_read_b32 v12, a8
	v_lshl_add_u64 v[12:13], v[12:13], 0, v[6:7]
	global_load_ushort v12, v[12:13], off
	s_waitcnt vmcnt(0)
	v_cvt_f32_f16_e32 v38, v12
	;; [unrolled: 6-line block ×8, first 2 shown]
	v_lshl_add_u64 v[12:13], v[80:81], 0, v[6:7]
	global_load_ushort v12, v[12:13], off
	s_waitcnt vmcnt(0)
	v_cvt_f32_f16_e32 v45, v12
	v_accvgpr_read_b32 v12, a16
	v_accvgpr_read_b32 v13, a17
	v_lshl_add_u64 v[12:13], v[12:13], 0, v[6:7]
	global_load_ushort v12, v[12:13], off
	s_waitcnt vmcnt(0)
	v_cvt_f32_f16_e32 v46, v12
	v_lshl_add_u64 v[12:13], v[82:83], 0, v[6:7]
	global_load_ushort v12, v[12:13], off
	s_waitcnt vmcnt(0)
	v_cvt_f32_f16_e32 v47, v12
	v_accvgpr_read_b32 v12, a18
	v_accvgpr_read_b32 v13, a19
	v_lshl_add_u64 v[12:13], v[12:13], 0, v[6:7]
	global_load_ushort v12, v[12:13], off
	s_waitcnt vmcnt(0)
	v_cvt_f32_f16_e32 v48, v12
	;; [unrolled: 10-line block ×21, first 2 shown]
	v_accvgpr_write_b32 a82, v12
	v_lshl_add_u64 v[12:13], v[122:123], 0, v[6:7]
	global_load_ushort v12, v[12:13], off
	s_waitcnt vmcnt(0)
	v_cvt_f32_f16_e32 v62, v12
	v_accvgpr_read_b32 v12, a58
	v_accvgpr_read_b32 v13, a59
	v_lshl_add_u64 v[12:13], v[12:13], 0, v[6:7]
	global_load_ushort v12, v[12:13], off
	s_waitcnt vmcnt(0)
	v_cvt_f32_f16_e32 v12, v12
	v_accvgpr_write_b32 a80, v12
	v_lshl_add_u64 v[12:13], v[124:125], 0, v[6:7]
	global_load_ushort v12, v[12:13], off
	s_waitcnt vmcnt(0)
	v_cvt_f32_f16_e32 v77, v12
	v_accvgpr_read_b32 v12, a60
	v_accvgpr_read_b32 v13, a61
	v_lshl_add_u64 v[12:13], v[12:13], 0, v[6:7]
	global_load_ushort v12, v[12:13], off
	s_waitcnt vmcnt(0)
	v_cvt_f32_f16_e32 v12, v12
	;; [unrolled: 11-line block ×3, first 2 shown]
	v_lshl_add_u64 v[12:13], v[128:129], 0, v[6:7]
	global_load_ushort v12, v[12:13], off
	s_waitcnt vmcnt(0)
	v_cvt_f32_f16_e32 v59, v12
	v_accvgpr_read_b32 v12, a64
	v_accvgpr_read_b32 v13, a65
	v_lshl_add_u64 v[12:13], v[12:13], 0, v[6:7]
	global_load_ushort v12, v[12:13], off
	s_waitcnt vmcnt(0)
	v_cvt_f32_f16_e32 v12, v12
	global_load_ushort v13, v[68:69], off
	v_accvgpr_read_b32 v69, a67
	v_accvgpr_read_b32 v68, a66
	v_lshl_add_u64 v[68:69], v[68:69], 0, v[6:7]
	global_load_ushort v58, v[68:69], off
	v_lshl_add_u64 v[68:69], v[132:133], 0, v[6:7]
	s_waitcnt vmcnt(1)
	v_cvt_f32_f16_e32 v13, v13
	s_waitcnt vmcnt(0)
	v_cvt_f32_f16_e32 v58, v58
	v_accvgpr_write_b32 a2, v58
	global_load_ushort v58, v[68:69], off
	ds_bpermute_b32 v68, v76, v56
	s_waitcnt lgkmcnt(0)
	v_sub_f32_e32 v11, v11, v68
	v_mul_f32_e32 v11, v11, v10
	v_mul_f32_e32 v11, v11, v67
	v_pk_add_f32 v[0:1], v[0:1], v[10:11]
	ds_bpermute_b32 v11, v76, v56 offset:44
	ds_bpermute_b32 v10, v76, v57 offset:44
	;; [unrolled: 1-line block ×4, first 2 shown]
	s_waitcnt lgkmcnt(3)
	v_sub_f32_e32 v11, v15, v11
	v_mul_f32_e32 v11, v11, v14
	s_waitcnt lgkmcnt(2)
	v_mul_f32_e32 v15, v11, v10
	ds_bpermute_b32 v11, v76, v56 offset:48
	ds_bpermute_b32 v10, v76, v57 offset:48
	s_waitcnt lgkmcnt(3)
	v_sub_f32_e32 v37, v37, v68
	ds_bpermute_b32 v68, v76, v56 offset:8
	v_mul_f32_e32 v37, v37, v36
	s_waitcnt lgkmcnt(2)
	v_sub_f32_e32 v11, v17, v11
	v_mul_f32_e32 v11, v11, v16
	s_waitcnt lgkmcnt(1)
	v_mul_f32_e32 v17, v11, v10
	ds_bpermute_b32 v11, v76, v56 offset:52
	ds_bpermute_b32 v10, v76, v57 offset:52
	v_mul_f32_e32 v37, v37, v67
	ds_bpermute_b32 v67, v76, v57 offset:8
	s_waitcnt lgkmcnt(3)
	v_sub_f32_e32 v39, v39, v68
	s_waitcnt lgkmcnt(2)
	v_sub_f32_e32 v11, v19, v11
	v_mul_f32_e32 v11, v11, v18
	s_waitcnt lgkmcnt(1)
	v_mul_f32_e32 v19, v11, v10
	ds_bpermute_b32 v11, v76, v56 offset:56
	ds_bpermute_b32 v10, v76, v57 offset:56
	;; [unrolled: 1-line block ×3, first 2 shown]
	v_mul_f32_e32 v39, v39, v38
	s_waitcnt lgkmcnt(3)
	v_mul_f32_e32 v39, v39, v67
	s_waitcnt lgkmcnt(2)
	v_sub_f32_e32 v11, v21, v11
	v_mul_f32_e32 v11, v11, v20
	s_waitcnt lgkmcnt(1)
	v_mul_f32_e32 v21, v11, v10
	ds_bpermute_b32 v11, v76, v56 offset:60
	ds_bpermute_b32 v10, v76, v57 offset:60
	;; [unrolled: 1-line block ×3, first 2 shown]
	s_waitcnt lgkmcnt(3)
	v_sub_f32_e32 v41, v41, v68
	ds_bpermute_b32 v68, v76, v56 offset:16
	s_waitcnt lgkmcnt(3)
	v_sub_f32_e32 v11, v23, v11
	v_mul_f32_e32 v11, v11, v22
	s_waitcnt lgkmcnt(2)
	v_mul_f32_e32 v23, v11, v10
	ds_bpermute_b32 v11, v76, v56 offset:64
	ds_bpermute_b32 v10, v76, v57 offset:64
	v_mul_f32_e32 v41, v41, v40
	s_waitcnt lgkmcnt(3)
	v_mul_f32_e32 v41, v41, v67
	ds_bpermute_b32 v67, v76, v57 offset:16
	s_waitcnt lgkmcnt(2)
	v_sub_f32_e32 v11, v25, v11
	v_mul_f32_e32 v11, v11, v24
	s_waitcnt lgkmcnt(1)
	v_mul_f32_e32 v25, v11, v10
	ds_bpermute_b32 v11, v76, v56 offset:68
	ds_bpermute_b32 v10, v76, v57 offset:68
	v_sub_f32_e32 v43, v43, v68
	ds_bpermute_b32 v68, v76, v56 offset:20
	v_mul_f32_e32 v43, v43, v42
	s_waitcnt lgkmcnt(2)
	v_sub_f32_e32 v11, v27, v11
	v_mul_f32_e32 v11, v11, v26
	s_waitcnt lgkmcnt(1)
	v_mul_f32_e32 v27, v11, v10
	ds_bpermute_b32 v11, v76, v56 offset:72
	ds_bpermute_b32 v10, v76, v57 offset:72
	v_mul_f32_e32 v43, v43, v67
	ds_bpermute_b32 v67, v76, v57 offset:20
	s_waitcnt lgkmcnt(3)
	v_sub_f32_e32 v45, v45, v68
	s_waitcnt lgkmcnt(2)
	v_sub_f32_e32 v11, v29, v11
	v_mul_f32_e32 v11, v11, v28
	s_waitcnt lgkmcnt(1)
	v_mul_f32_e32 v29, v11, v10
	ds_bpermute_b32 v11, v76, v56 offset:76
	ds_bpermute_b32 v10, v76, v57 offset:76
	ds_bpermute_b32 v68, v76, v56 offset:24
	v_mul_f32_e32 v45, v45, v44
	s_waitcnt lgkmcnt(3)
	v_mul_f32_e32 v45, v45, v67
	s_waitcnt lgkmcnt(2)
	v_sub_f32_e32 v11, v31, v11
	v_mul_f32_e32 v11, v11, v30
	s_waitcnt lgkmcnt(1)
	v_mul_f32_e32 v31, v11, v10
	ds_bpermute_b32 v11, v76, v56 offset:80
	ds_bpermute_b32 v10, v76, v57 offset:80
	;; [unrolled: 1-line block ×3, first 2 shown]
	s_waitcnt lgkmcnt(3)
	v_sub_f32_e32 v47, v47, v68
	ds_bpermute_b32 v68, v76, v56 offset:28
	s_waitcnt lgkmcnt(3)
	v_sub_f32_e32 v11, v33, v11
	v_mul_f32_e32 v11, v11, v32
	s_waitcnt lgkmcnt(2)
	v_mul_f32_e32 v33, v11, v10
	ds_bpermute_b32 v11, v76, v56 offset:84
	ds_bpermute_b32 v10, v76, v57 offset:84
	v_mul_f32_e32 v47, v47, v46
	s_waitcnt lgkmcnt(3)
	v_mul_f32_e32 v47, v47, v67
	ds_bpermute_b32 v67, v76, v57 offset:28
	s_waitcnt lgkmcnt(2)
	v_sub_f32_e32 v11, v35, v11
	v_mul_f32_e32 v11, v11, v34
	s_waitcnt lgkmcnt(1)
	v_mul_f32_e32 v35, v11, v10
	ds_bpermute_b32 v11, v76, v56 offset:88
	ds_bpermute_b32 v10, v76, v57 offset:88
	v_sub_f32_e32 v49, v49, v68
	ds_bpermute_b32 v68, v76, v56 offset:32
	v_mul_f32_e32 v49, v49, v48
	s_waitcnt lgkmcnt(2)
	v_sub_f32_e32 v11, v66, v11
	v_mul_f32_e32 v11, v11, v72
	s_waitcnt lgkmcnt(1)
	v_mul_f32_e32 v73, v11, v10
	ds_bpermute_b32 v11, v76, v56 offset:92
	ds_bpermute_b32 v10, v76, v57 offset:92
	v_mul_f32_e32 v49, v49, v67
	ds_bpermute_b32 v67, v76, v57 offset:32
	s_waitcnt lgkmcnt(3)
	v_sub_f32_e32 v51, v51, v68
	s_waitcnt lgkmcnt(2)
	v_sub_f32_e32 v11, v65, v11
	v_mul_f32_e32 v11, v11, v74
	s_waitcnt lgkmcnt(1)
	v_mul_f32_e32 v75, v11, v10
	ds_bpermute_b32 v11, v76, v56 offset:96
	ds_bpermute_b32 v10, v76, v57 offset:96
	;; [unrolled: 1-line block ×3, first 2 shown]
	v_mul_f32_e32 v51, v51, v50
	s_waitcnt lgkmcnt(3)
	v_mul_f32_e32 v51, v51, v67
	s_waitcnt lgkmcnt(2)
	v_sub_f32_e32 v11, v64, v11
	v_mul_f32_e32 v11, v11, v78
	ds_bpermute_b32 v67, v76, v57 offset:36
	s_waitcnt lgkmcnt(2)
	v_mul_f32_e32 v79, v11, v10
	ds_bpermute_b32 v11, v76, v56 offset:100
	v_pk_add_f32 v[0:1], v[0:1], v[36:37]
	ds_bpermute_b32 v10, v76, v57 offset:100
	s_waitcnt lgkmcnt(3)
	v_sub_f32_e32 v53, v53, v68
	ds_bpermute_b32 v68, v76, v56 offset:40
	v_pk_add_f32 v[0:1], v[0:1], v[38:39]
	v_mul_f32_e32 v53, v53, v52
	v_pk_add_f32 v[0:1], v[0:1], v[40:41]
	s_waitcnt lgkmcnt(3)
	v_mul_f32_e32 v53, v53, v67
	ds_bpermute_b32 v67, v76, v57 offset:40
	v_pk_add_f32 v[0:1], v[0:1], v[42:43]
	s_waitcnt lgkmcnt(3)
	v_sub_f32_e32 v11, v63, v11
	v_pk_add_f32 v[0:1], v[0:1], v[44:45]
	v_mul_f32_e32 v11, v11, v60
	v_pk_add_f32 v[0:1], v[0:1], v[46:47]
	s_waitcnt lgkmcnt(2)
	v_mul_f32_e32 v61, v11, v10
	ds_bpermute_b32 v11, v76, v56 offset:104
	s_waitcnt lgkmcnt(2)
	v_sub_f32_e32 v55, v55, v68
	v_pk_add_f32 v[0:1], v[0:1], v[48:49]
	v_mul_f32_e32 v55, v55, v54
	v_pk_add_f32 v[0:1], v[0:1], v[50:51]
	ds_bpermute_b32 v10, v76, v57 offset:104
	s_waitcnt lgkmcnt(2)
	v_mul_f32_e32 v55, v55, v67
	v_pk_add_f32 v[0:1], v[0:1], v[52:53]
	s_waitcnt lgkmcnt(1)
	v_sub_f32_e32 v11, v62, v11
	v_pk_add_f32 v[0:1], v[0:1], v[54:55]
	s_waitcnt vmcnt(0)
	v_cvt_f32_f16_e32 v58, v58
	v_pk_add_f32 v[0:1], v[0:1], v[14:15]
	v_accvgpr_read_b32 v14, a82
	v_mul_f32_e32 v11, v11, v14
	s_waitcnt lgkmcnt(0)
	v_mul_f32_e32 v15, v11, v10
	ds_bpermute_b32 v11, v76, v56 offset:108
	ds_bpermute_b32 v10, v76, v57 offset:108
	v_pk_add_f32 v[0:1], v[0:1], v[16:17]
	v_accvgpr_read_b32 v16, a80
	v_pk_add_f32 v[0:1], v[0:1], v[18:19]
	s_waitcnt lgkmcnt(1)
	v_sub_f32_e32 v11, v77, v11
	v_mul_f32_e32 v11, v11, v16
	s_waitcnt lgkmcnt(0)
	v_mul_f32_e32 v17, v11, v10
	ds_bpermute_b32 v11, v76, v56 offset:112
	ds_bpermute_b32 v10, v76, v57 offset:112
	v_accvgpr_read_b32 v18, a78
	v_pk_add_f32 v[0:1], v[0:1], v[20:21]
	s_waitcnt lgkmcnt(1)
	v_sub_f32_e32 v11, v71, v11
	v_mul_f32_e32 v11, v11, v18
	s_waitcnt lgkmcnt(0)
	v_mul_f32_e32 v19, v11, v10
	ds_bpermute_b32 v11, v76, v56 offset:116
	ds_bpermute_b32 v10, v76, v57 offset:116
	v_pk_add_f32 v[0:1], v[0:1], v[22:23]
	s_waitcnt lgkmcnt(1)
	v_sub_f32_e32 v11, v59, v11
	v_pk_add_f32 v[0:1], v[0:1], v[24:25]
	v_mul_f32_e32 v11, v11, v70
	v_pk_add_f32 v[0:1], v[0:1], v[26:27]
	s_waitcnt lgkmcnt(0)
	v_mul_f32_e32 v71, v11, v10
	v_pk_add_f32 v[0:1], v[0:1], v[28:29]
	ds_bpermute_b32 v11, v76, v56 offset:120
	v_pk_add_f32 v[0:1], v[0:1], v[30:31]
	ds_bpermute_b32 v10, v76, v57 offset:120
	v_pk_add_f32 v[0:1], v[0:1], v[32:33]
	s_waitcnt lgkmcnt(1)
	v_sub_f32_e32 v11, v13, v11
	v_pk_add_f32 v[0:1], v[0:1], v[34:35]
	v_mul_f32_e32 v11, v11, v12
	v_pk_add_f32 v[0:1], v[0:1], v[72:73]
	s_waitcnt lgkmcnt(0)
	v_mul_f32_e32 v13, v11, v10
	v_pk_add_f32 v[0:1], v[0:1], v[74:75]
	ds_bpermute_b32 v11, v76, v56 offset:124
	v_pk_add_f32 v[0:1], v[0:1], v[78:79]
	ds_bpermute_b32 v10, v76, v57 offset:124
	v_pk_add_f32 v[0:1], v[0:1], v[60:61]
	s_waitcnt lgkmcnt(1)
	v_sub_f32_e32 v11, v58, v11
	v_pk_add_f32 v[0:1], v[0:1], v[14:15]
	s_nop 0
	v_pk_add_f32 v[0:1], v[0:1], v[16:17]
	s_nop 0
	;; [unrolled: 2-line block ×4, first 2 shown]
	v_pk_add_f32 v[0:1], v[0:1], v[12:13]
	v_accvgpr_read_b32 v12, a2
	v_mul_f32_e32 v11, v11, v12
	s_waitcnt lgkmcnt(0)
	v_mul_f32_e32 v13, v11, v10
	v_pk_add_f32 v[70:71], v[0:1], v[12:13]
.LBB74_150:                             ;   in Loop: Header=BB74_151 Depth=1
	s_add_u32 s16, s16, s6
	s_addc_u32 s17, s17, 0
	v_mov_b64_e32 v[0:1], s[12:13]
	v_cmp_ge_i64_e32 vcc, s[16:17], v[0:1]
	v_accvgpr_read_b32 v0, a6
	v_accvgpr_read_b32 v1, a7
	v_lshl_add_u64 v[0:1], v[0:1], 0, s[24:25]
	v_accvgpr_write_b32 a7, v1
	v_accvgpr_write_b32 a6, v0
	v_accvgpr_read_b32 v0, a8
	v_accvgpr_read_b32 v1, a9
	v_lshl_add_u64 v[0:1], v[0:1], 0, s[24:25]
	v_accvgpr_write_b32 a9, v1
	v_accvgpr_write_b32 a8, v0
	;; [unrolled: 5-line block ×35, first 2 shown]
	v_accvgpr_read_b32 v0, a76
	v_accvgpr_read_b32 v1, a77
	v_lshl_add_u64 v[0:1], v[0:1], 0, s[24:25]
	v_accvgpr_write_b32 a77, v1
	s_add_u32 s26, s26, s6
	v_lshl_add_u64 v[4:5], v[4:5], 0, s[6:7]
	v_accvgpr_write_b32 a76, v0
	v_lshl_add_u64 v[80:81], v[80:81], 0, s[24:25]
	v_lshl_add_u64 v[82:83], v[82:83], 0, s[24:25]
	v_lshl_add_u64 v[84:85], v[84:85], 0, s[24:25]
	v_lshl_add_u64 v[86:87], v[86:87], 0, s[24:25]
	v_lshl_add_u64 v[88:89], v[88:89], 0, s[24:25]
	v_lshl_add_u64 v[90:91], v[90:91], 0, s[24:25]
	v_lshl_add_u64 v[92:93], v[92:93], 0, s[24:25]
	v_lshl_add_u64 v[94:95], v[94:95], 0, s[24:25]
	v_lshl_add_u64 v[96:97], v[96:97], 0, s[24:25]
	v_lshl_add_u64 v[98:99], v[98:99], 0, s[24:25]
	v_lshl_add_u64 v[100:101], v[100:101], 0, s[24:25]
	v_lshl_add_u64 v[102:103], v[102:103], 0, s[24:25]
	v_lshl_add_u64 v[104:105], v[104:105], 0, s[24:25]
	v_lshl_add_u64 v[106:107], v[106:107], 0, s[24:25]
	v_lshl_add_u64 v[108:109], v[108:109], 0, s[24:25]
	v_lshl_add_u64 v[110:111], v[110:111], 0, s[24:25]
	v_lshl_add_u64 v[112:113], v[112:113], 0, s[24:25]
	v_lshl_add_u64 v[114:115], v[114:115], 0, s[24:25]
	v_lshl_add_u64 v[116:117], v[116:117], 0, s[24:25]
	v_lshl_add_u64 v[118:119], v[118:119], 0, s[24:25]
	v_lshl_add_u64 v[120:121], v[120:121], 0, s[24:25]
	v_lshl_add_u64 v[122:123], v[122:123], 0, s[24:25]
	v_lshl_add_u64 v[124:125], v[124:125], 0, s[24:25]
	v_lshl_add_u64 v[126:127], v[126:127], 0, s[24:25]
	v_lshl_add_u64 v[128:129], v[128:129], 0, s[24:25]
	v_lshl_add_u64 v[130:131], v[130:131], 0, s[24:25]
	v_lshl_add_u64 v[132:133], v[132:133], 0, s[24:25]
	v_lshl_add_u64 v[134:135], v[134:135], 0, s[24:25]
	v_lshl_add_u64 v[136:137], v[136:137], 0, s[24:25]
	v_lshl_add_u64 v[138:139], v[138:139], 0, s[24:25]
	v_lshl_add_u64 v[140:141], v[140:141], 0, s[24:25]
	v_lshl_add_u64 v[142:143], v[142:143], 0, s[24:25]
	v_lshl_add_u64 v[144:145], v[144:145], 0, s[24:25]
	v_lshl_add_u64 v[146:147], v[146:147], 0, s[24:25]
	v_lshl_add_u64 v[148:149], v[148:149], 0, s[24:25]
	v_lshl_add_u64 v[150:151], v[150:151], 0, s[24:25]
	v_lshl_add_u64 v[152:153], v[152:153], 0, s[24:25]
	v_lshl_add_u64 v[154:155], v[154:155], 0, s[24:25]
	v_lshl_add_u64 v[156:157], v[156:157], 0, s[24:25]
	v_lshl_add_u64 v[158:159], v[158:159], 0, s[24:25]
	v_lshl_add_u64 v[160:161], v[160:161], 0, s[24:25]
	v_lshl_add_u64 v[162:163], v[162:163], 0, s[24:25]
	v_lshl_add_u64 v[164:165], v[164:165], 0, s[24:25]
	v_lshl_add_u64 v[166:167], v[166:167], 0, s[24:25]
	v_lshl_add_u64 v[168:169], v[168:169], 0, s[24:25]
	v_lshl_add_u64 v[170:171], v[170:171], 0, s[24:25]
	v_lshl_add_u64 v[172:173], v[172:173], 0, s[24:25]
	v_lshl_add_u64 v[174:175], v[174:175], 0, s[24:25]
	v_lshl_add_u64 v[176:177], v[176:177], 0, s[24:25]
	v_lshl_add_u64 v[178:179], v[178:179], 0, s[24:25]
	v_lshl_add_u64 v[180:181], v[180:181], 0, s[24:25]
	v_lshl_add_u64 v[182:183], v[182:183], 0, s[24:25]
	v_lshl_add_u64 v[184:185], v[184:185], 0, s[24:25]
	v_lshl_add_u64 v[186:187], v[186:187], 0, s[24:25]
	v_lshl_add_u64 v[188:189], v[188:189], 0, s[24:25]
	v_lshl_add_u64 v[190:191], v[190:191], 0, s[24:25]
	v_lshl_add_u64 v[192:193], v[192:193], 0, s[24:25]
	v_lshl_add_u64 v[194:195], v[194:195], 0, s[24:25]
	v_lshl_add_u64 v[196:197], v[196:197], 0, s[24:25]
	v_lshl_add_u64 v[198:199], v[198:199], 0, s[24:25]
	v_lshl_add_u64 v[200:201], v[200:201], 0, s[24:25]
	v_lshl_add_u64 v[202:203], v[202:203], 0, s[24:25]
	v_lshl_add_u64 v[204:205], v[204:205], 0, s[24:25]
	v_lshl_add_u64 v[206:207], v[206:207], 0, s[24:25]
	v_lshl_add_u64 v[208:209], v[208:209], 0, s[24:25]
	v_lshl_add_u64 v[210:211], v[210:211], 0, s[24:25]
	v_lshl_add_u64 v[212:213], v[212:213], 0, s[24:25]
	v_lshl_add_u64 v[214:215], v[214:215], 0, s[24:25]
	v_lshl_add_u64 v[216:217], v[216:217], 0, s[24:25]
	v_lshl_add_u64 v[218:219], v[218:219], 0, s[24:25]
	v_lshl_add_u64 v[220:221], v[220:221], 0, s[24:25]
	v_lshl_add_u64 v[222:223], v[222:223], 0, s[24:25]
	v_lshl_add_u64 v[224:225], v[224:225], 0, s[24:25]
	v_lshl_add_u64 v[226:227], v[226:227], 0, s[24:25]
	v_lshl_add_u64 v[228:229], v[228:229], 0, s[24:25]
	v_lshl_add_u64 v[230:231], v[230:231], 0, s[24:25]
	v_lshl_add_u64 v[232:233], v[232:233], 0, s[24:25]
	v_lshl_add_u64 v[234:235], v[234:235], 0, s[24:25]
	v_lshl_add_u64 v[236:237], v[236:237], 0, s[24:25]
	v_lshl_add_u64 v[238:239], v[238:239], 0, s[24:25]
	v_lshl_add_u64 v[240:241], v[240:241], 0, s[24:25]
	v_lshl_add_u64 v[242:243], v[242:243], 0, s[24:25]
	v_lshl_add_u64 v[244:245], v[244:245], 0, s[24:25]
	v_lshl_add_u64 v[246:247], v[246:247], 0, s[24:25]
	v_lshl_add_u64 v[248:249], v[248:249], 0, s[24:25]
	v_lshl_add_u64 v[250:251], v[250:251], 0, s[24:25]
	v_lshl_add_u64 v[252:253], v[252:253], 0, s[24:25]
	v_lshl_add_u64 v[254:255], v[254:255], 0, s[24:25]
	v_lshl_add_u64 v[2:3], v[2:3], 0, s[24:25]
	v_lshl_add_u64 v[8:9], v[8:9], 0, s[24:25]
	s_addc_u32 s27, s27, 0
	v_mov_b32_e32 v0, v70
	v_mov_b32_e32 v1, v71
	s_cbranch_vccnz .LBB74_225
.LBB74_151:                             ; =>This Inner Loop Header: Depth=1
	s_add_u32 s18, s10, s26
	s_addc_u32 s19, 0, s27
	v_mov_b64_e32 v[10:11], s[12:13]
	v_cmp_ge_i64_e32 vcc, s[18:19], v[10:11]
	v_lshl_add_u64 v[12:13], s[10:11], 0, v[4:5]
	s_cbranch_vccz .LBB74_221
; %bb.152:                              ;   in Loop: Header=BB74_151 Depth=1
	s_load_dword s3, s[4:5], 0xc
	v_accvgpr_read_b32 v10, a1
	v_accvgpr_read_b32 v11, a4
	v_mov_b32_e32 v22, 0
	v_mov_b32_e32 v77, 0
	s_waitcnt lgkmcnt(0)
	s_and_b32 s3, s3, 0xffff
	v_mad_u32_u24 v10, v11, s3, v10
	v_and_b32_e32 v10, 63, v10
	v_accvgpr_read_b32 v11, a3
	v_accvgpr_write_b32 a2, v10
	v_accvgpr_write_b32 a3, v11
	v_cmp_gt_u32_e32 vcc, 32, v10
	v_mov_b32_e32 v57, 0
	s_and_saveexec_b64 s[18:19], vcc
	s_cbranch_execz .LBB74_156
; %bb.153:                              ;   in Loop: Header=BB74_151 Depth=1
	v_accvgpr_read_b32 v11, a3
	v_accvgpr_read_b32 v10, a2
	v_lshl_add_u64 v[10:11], v[12:13], 0, v[10:11]
	v_cmp_gt_i64_e32 vcc, s[12:13], v[10:11]
	v_mov_b32_e32 v57, 0
	v_mov_b32_e32 v77, 0
	s_and_saveexec_b64 s[28:29], vcc
	s_cbranch_execz .LBB74_155
; %bb.154:                              ;   in Loop: Header=BB74_151 Depth=1
	v_lshlrev_b64 v[10:11], 2, v[10:11]
	v_lshl_add_u64 v[14:15], s[22:23], 0, v[10:11]
	v_lshl_add_u64 v[10:11], s[20:21], 0, v[10:11]
	global_load_dword v57, v[10:11], off
	global_load_dword v77, v[14:15], off
.LBB74_155:                             ;   in Loop: Header=BB74_151 Depth=1
	s_or_b64 exec, exec, s[28:29]
.LBB74_156:                             ;   in Loop: Header=BB74_151 Depth=1
	s_or_b64 exec, exec, s[18:19]
	v_cmp_gt_i64_e32 vcc, s[12:13], v[12:13]
	v_mov_b32_e32 v23, 0
	s_and_saveexec_b64 s[18:19], vcc
	s_cbranch_execz .LBB74_158
; %bb.157:                              ;   in Loop: Header=BB74_151 Depth=1
	v_accvgpr_read_b32 v10, a68
	v_accvgpr_read_b32 v11, a69
	v_lshl_add_u64 v[10:11], v[10:11], 0, v[6:7]
	global_load_ushort v14, v[10:11], off
	v_lshl_add_u64 v[10:11], v[134:135], 0, v[6:7]
	global_load_ushort v10, v[10:11], off
	s_waitcnt vmcnt(1)
	v_cvt_f32_f16_e32 v22, v14
	s_waitcnt vmcnt(0)
	v_cvt_f32_f16_e32 v23, v10
.LBB74_158:                             ;   in Loop: Header=BB74_151 Depth=1
	s_or_b64 exec, exec, s[18:19]
	v_lshl_add_u64 v[10:11], v[12:13], 0, 1
	v_cmp_gt_i64_e32 vcc, s[12:13], v[10:11]
	v_mov_b32_e32 v34, 0
	v_mov_b32_e32 v38, 0
	v_mov_b32_e32 v39, 0
	s_and_saveexec_b64 s[18:19], vcc
	s_cbranch_execz .LBB74_160
; %bb.159:                              ;   in Loop: Header=BB74_151 Depth=1
	v_lshl_add_u64 v[10:11], v[2:3], 0, v[6:7]
	global_load_ushort v14, v[10:11], off
	v_lshl_add_u64 v[10:11], v[8:9], 0, v[6:7]
	global_load_ushort v10, v[10:11], off
	s_waitcnt vmcnt(1)
	v_cvt_f32_f16_e32 v38, v14
	s_waitcnt vmcnt(0)
	v_cvt_f32_f16_e32 v39, v10
.LBB74_160:                             ;   in Loop: Header=BB74_151 Depth=1
	s_or_b64 exec, exec, s[18:19]
	v_lshl_add_u64 v[10:11], v[12:13], 0, 2
	v_cmp_gt_i64_e32 vcc, s[12:13], v[10:11]
	v_mov_b32_e32 v35, 0
	s_and_saveexec_b64 s[18:19], vcc
	s_cbranch_execz .LBB74_162
; %bb.161:                              ;   in Loop: Header=BB74_151 Depth=1
	v_lshl_add_u64 v[10:11], v[252:253], 0, v[6:7]
	global_load_ushort v14, v[10:11], off
	v_lshl_add_u64 v[10:11], v[254:255], 0, v[6:7]
	global_load_ushort v10, v[10:11], off
	s_waitcnt vmcnt(1)
	v_cvt_f32_f16_e32 v34, v14
	s_waitcnt vmcnt(0)
	v_cvt_f32_f16_e32 v35, v10
.LBB74_162:                             ;   in Loop: Header=BB74_151 Depth=1
	s_or_b64 exec, exec, s[18:19]
	v_lshl_add_u64 v[10:11], v[12:13], 0, 3
	v_cmp_gt_i64_e32 vcc, s[12:13], v[10:11]
	v_mov_b32_e32 v46, 0
	v_mov_b32_e32 v50, 0
	v_mov_b32_e32 v51, 0
	s_and_saveexec_b64 s[18:19], vcc
	s_cbranch_execz .LBB74_164
; %bb.163:                              ;   in Loop: Header=BB74_151 Depth=1
	v_lshl_add_u64 v[10:11], v[248:249], 0, v[6:7]
	global_load_ushort v14, v[10:11], off
	v_lshl_add_u64 v[10:11], v[250:251], 0, v[6:7]
	global_load_ushort v10, v[10:11], off
	s_waitcnt vmcnt(1)
	v_cvt_f32_f16_e32 v50, v14
	s_waitcnt vmcnt(0)
	v_cvt_f32_f16_e32 v51, v10
.LBB74_164:                             ;   in Loop: Header=BB74_151 Depth=1
	s_or_b64 exec, exec, s[18:19]
	v_lshl_add_u64 v[10:11], v[12:13], 0, 4
	v_cmp_gt_i64_e32 vcc, s[12:13], v[10:11]
	v_mov_b32_e32 v47, 0
	s_and_saveexec_b64 s[18:19], vcc
	s_cbranch_execz .LBB74_166
; %bb.165:                              ;   in Loop: Header=BB74_151 Depth=1
	v_lshl_add_u64 v[10:11], v[244:245], 0, v[6:7]
	global_load_ushort v14, v[10:11], off
	v_lshl_add_u64 v[10:11], v[246:247], 0, v[6:7]
	global_load_ushort v10, v[10:11], off
	s_waitcnt vmcnt(1)
	v_cvt_f32_f16_e32 v46, v14
	s_waitcnt vmcnt(0)
	v_cvt_f32_f16_e32 v47, v10
.LBB74_166:                             ;   in Loop: Header=BB74_151 Depth=1
	;; [unrolled: 34-line block ×15, first 2 shown]
	s_or_b64 exec, exec, s[18:19]
	v_lshl_add_u64 v[78:79], v[12:13], 0, 31
	v_accvgpr_write_b32 a2, v56
	v_cmp_gt_i64_e32 vcc, s[12:13], v[78:79]
	v_mov_b32_e32 v56, 0
	v_mov_b32_e32 v79, 0
	s_and_saveexec_b64 s[18:19], vcc
	s_cbranch_execz .LBB74_220
; %bb.219:                              ;   in Loop: Header=BB74_151 Depth=1
	v_lshl_add_u64 v[78:79], v[136:137], 0, v[6:7]
	global_load_ushort v56, v[78:79], off
	v_lshl_add_u64 v[78:79], v[138:139], 0, v[6:7]
	global_load_ushort v75, v[78:79], off
	s_waitcnt vmcnt(1)
	v_cvt_f32_f16_e32 v56, v56
	s_waitcnt vmcnt(0)
	v_cvt_f32_f16_e32 v79, v75
.LBB74_220:                             ;   in Loop: Header=BB74_151 Depth=1
	s_or_b64 exec, exec, s[18:19]
	s_waitcnt vmcnt(1)
	ds_bpermute_b32 v78, v76, v57
	s_waitcnt vmcnt(0)
	ds_bpermute_b32 v75, v76, v77
	s_waitcnt lgkmcnt(1)
	v_sub_f32_e32 v23, v23, v78
	ds_bpermute_b32 v78, v76, v57 offset:4
	v_mul_f32_e32 v23, v22, v23
	s_waitcnt lgkmcnt(1)
	v_mul_f32_e32 v23, v23, v75
	ds_bpermute_b32 v75, v76, v77 offset:4
	v_pk_add_f32 v[22:23], v[0:1], v[22:23]
	s_waitcnt lgkmcnt(1)
	v_sub_f32_e32 v39, v39, v78
	ds_bpermute_b32 v78, v76, v57 offset:8
	v_mul_f32_e32 v39, v38, v39
	s_waitcnt lgkmcnt(1)
	v_mul_f32_e32 v39, v39, v75
	ds_bpermute_b32 v75, v76, v77 offset:8
	v_pk_add_f32 v[22:23], v[22:23], v[38:39]
	;; [unrolled: 8-line block ×3, first 2 shown]
	s_waitcnt lgkmcnt(1)
	v_sub_f32_e32 v51, v51, v78
	ds_bpermute_b32 v78, v76, v57 offset:16
	v_mul_f32_e32 v51, v50, v51
	s_waitcnt lgkmcnt(1)
	v_mul_f32_e32 v51, v51, v75
	ds_bpermute_b32 v75, v76, v77 offset:16
	ds_bpermute_b32 v34, v76, v57 offset:44
	s_waitcnt lgkmcnt(2)
	v_sub_f32_e32 v47, v47, v78
	ds_bpermute_b32 v78, v76, v57 offset:20
	v_mul_f32_e32 v47, v46, v47
	s_waitcnt lgkmcnt(2)
	v_mul_f32_e32 v47, v47, v75
	ds_bpermute_b32 v75, v76, v77 offset:20
	s_waitcnt lgkmcnt(2)
	v_sub_f32_e32 v15, v15, v34
	s_waitcnt lgkmcnt(1)
	v_sub_f32_e32 v65, v65, v78
	ds_bpermute_b32 v78, v76, v57 offset:24
	v_mul_f32_e32 v65, v64, v65
	s_waitcnt lgkmcnt(1)
	v_mul_f32_e32 v65, v65, v75
	ds_bpermute_b32 v75, v76, v77 offset:24
	ds_bpermute_b32 v34, v76, v57 offset:48
	s_waitcnt lgkmcnt(2)
	v_sub_f32_e32 v59, v59, v78
	ds_bpermute_b32 v78, v76, v57 offset:28
	v_mul_f32_e32 v59, v58, v59
	s_waitcnt lgkmcnt(2)
	v_mul_f32_e32 v59, v59, v75
	ds_bpermute_b32 v75, v76, v77 offset:28
	v_mul_f32_e32 v15, v16, v15
	s_waitcnt lgkmcnt(1)
	v_sub_f32_e32 v69, v69, v78
	ds_bpermute_b32 v78, v76, v57 offset:32
	v_mul_f32_e32 v69, v68, v69
	s_waitcnt lgkmcnt(1)
	v_mul_f32_e32 v69, v69, v75
	ds_bpermute_b32 v75, v76, v77 offset:32
	v_sub_f32_e32 v27, v27, v34
	s_waitcnt lgkmcnt(1)
	v_sub_f32_e32 v67, v67, v78
	ds_bpermute_b32 v78, v76, v57 offset:36
	v_mul_f32_e32 v67, v66, v67
	s_waitcnt lgkmcnt(1)
	v_mul_f32_e32 v67, v67, v75
	ds_bpermute_b32 v75, v76, v77 offset:36
	ds_bpermute_b32 v34, v76, v57 offset:52
	s_waitcnt lgkmcnt(2)
	v_sub_f32_e32 v73, v73, v78
	ds_bpermute_b32 v78, v76, v57 offset:40
	v_mul_f32_e32 v73, v74, v73
	s_waitcnt lgkmcnt(2)
	v_mul_f32_e32 v75, v73, v75
	ds_bpermute_b32 v73, v76, v77 offset:40
	v_mul_f32_e32 v27, v14, v27
	s_waitcnt lgkmcnt(1)
	v_sub_f32_e32 v17, v17, v78
	v_mul_f32_e32 v17, v72, v17
	v_sub_f32_e32 v25, v25, v34
	s_waitcnt lgkmcnt(0)
	v_mul_f32_e32 v73, v17, v73
	ds_bpermute_b32 v17, v76, v77 offset:44
	ds_bpermute_b32 v34, v76, v57 offset:56
	v_mul_f32_e32 v25, v26, v25
	ds_bpermute_b32 v35, v76, v57 offset:60
	v_pk_add_f32 v[22:23], v[22:23], v[50:51]
	s_waitcnt lgkmcnt(2)
	v_mul_f32_e32 v17, v15, v17
	ds_bpermute_b32 v15, v76, v77 offset:48
	s_waitcnt lgkmcnt(2)
	v_sub_f32_e32 v34, v37, v34
	v_mul_f32_e32 v34, v24, v34
	s_waitcnt lgkmcnt(1)
	v_sub_f32_e32 v33, v33, v35
	v_mul_f32_e32 v33, v36, v33
	s_waitcnt lgkmcnt(0)
	v_mul_f32_e32 v15, v27, v15
	ds_bpermute_b32 v27, v76, v77 offset:52
	ds_bpermute_b32 v35, v76, v57 offset:68
	v_pk_add_f32 v[22:23], v[22:23], v[46:47]
	s_waitcnt lgkmcnt(1)
	v_mul_f32_e32 v27, v25, v27
	ds_bpermute_b32 v25, v76, v77 offset:56
	s_waitcnt lgkmcnt(1)
	v_sub_f32_e32 v35, v45, v35
	v_mul_f32_e32 v35, v48, v35
	v_pk_add_f32 v[22:23], v[22:23], v[64:65]
	s_waitcnt lgkmcnt(0)
	v_mul_f32_e32 v25, v34, v25
	ds_bpermute_b32 v34, v76, v77 offset:60
	v_pk_add_f32 v[22:23], v[22:23], v[58:59]
	s_waitcnt lgkmcnt(0)
	v_mul_f32_e32 v37, v33, v34
	ds_bpermute_b32 v34, v76, v57 offset:64
	ds_bpermute_b32 v33, v76, v77 offset:64
	v_pk_add_f32 v[22:23], v[22:23], v[68:69]
	s_waitcnt lgkmcnt(1)
	v_sub_f32_e32 v34, v49, v34
	v_mul_f32_e32 v34, v32, v34
	s_waitcnt lgkmcnt(0)
	v_mul_f32_e32 v33, v34, v33
	ds_bpermute_b32 v34, v76, v77 offset:68
	v_pk_add_f32 v[22:23], v[22:23], v[66:67]
	s_waitcnt lgkmcnt(0)
	v_mul_f32_e32 v49, v35, v34
	ds_bpermute_b32 v35, v76, v57 offset:72
	ds_bpermute_b32 v34, v76, v77 offset:72
	v_pk_add_f32 v[22:23], v[22:23], v[74:75]
	s_waitcnt lgkmcnt(1)
	v_sub_f32_e32 v35, v63, v35
	v_mul_f32_e32 v35, v44, v35
	s_waitcnt lgkmcnt(0)
	v_mul_f32_e32 v45, v35, v34
	ds_bpermute_b32 v35, v76, v57 offset:76
	ds_bpermute_b32 v34, v76, v77 offset:76
	v_pk_add_f32 v[22:23], v[22:23], v[72:73]
	s_waitcnt lgkmcnt(1)
	v_sub_f32_e32 v35, v61, v35
	v_mul_f32_e32 v35, v62, v35
	;; [unrolled: 8-line block ×3, first 2 shown]
	v_pk_add_f32 v[14:15], v[16:17], v[14:15]
	s_waitcnt lgkmcnt(0)
	v_mul_f32_e32 v61, v35, v34
	ds_bpermute_b32 v35, v76, v57 offset:84
	v_pk_add_f32 v[14:15], v[14:15], v[26:27]
	ds_bpermute_b32 v34, v76, v77 offset:84
	v_pk_add_f32 v[14:15], v[14:15], v[24:25]
	v_accvgpr_read_b32 v16, a2
	v_pk_add_f32 v[14:15], v[14:15], v[36:37]
	s_waitcnt lgkmcnt(1)
	v_sub_f32_e32 v11, v11, v35
	v_pk_add_f32 v[14:15], v[14:15], v[32:33]
	v_mul_f32_e32 v11, v10, v11
	v_pk_add_f32 v[14:15], v[14:15], v[48:49]
	s_waitcnt lgkmcnt(0)
	v_mul_f32_e32 v11, v11, v34
	v_pk_add_f32 v[14:15], v[14:15], v[44:45]
	s_nop 0
	v_pk_add_f32 v[14:15], v[14:15], v[62:63]
	s_nop 0
	;; [unrolled: 2-line block ×3, first 2 shown]
	v_pk_add_f32 v[10:11], v[14:15], v[10:11]
	ds_bpermute_b32 v15, v76, v57 offset:88
	ds_bpermute_b32 v14, v76, v77 offset:88
	s_waitcnt lgkmcnt(1)
	v_sub_f32_e32 v15, v21, v15
	v_mul_f32_e32 v15, v70, v15
	s_waitcnt lgkmcnt(0)
	v_mul_f32_e32 v71, v15, v14
	ds_bpermute_b32 v15, v76, v57 offset:92
	ds_bpermute_b32 v14, v76, v77 offset:92
	v_pk_add_f32 v[10:11], v[10:11], v[70:71]
	s_waitcnt lgkmcnt(1)
	v_sub_f32_e32 v15, v53, v15
	v_mul_f32_e32 v15, v20, v15
	s_waitcnt lgkmcnt(0)
	v_mul_f32_e32 v21, v15, v14
	ds_bpermute_b32 v15, v76, v57 offset:96
	ds_bpermute_b32 v14, v76, v77 offset:96
	v_pk_add_f32 v[10:11], v[10:11], v[20:21]
	;; [unrolled: 8-line block ×9, first 2 shown]
	s_waitcnt lgkmcnt(1)
	v_sub_f32_e32 v15, v79, v15
	v_mul_f32_e32 v15, v56, v15
	s_waitcnt lgkmcnt(0)
	v_mul_f32_e32 v57, v15, v14
	v_pk_add_f32 v[70:71], v[10:11], v[56:57]
	s_branch .LBB74_150
.LBB74_221:                             ;   in Loop: Header=BB74_151 Depth=1
                                        ; implicit-def: $vgpr70_vgpr71
	s_cbranch_execz .LBB74_150
; %bb.222:                              ;   in Loop: Header=BB74_151 Depth=1
	s_load_dword s3, s[4:5], 0x0
	v_accvgpr_read_b32 v15, a3
	v_accvgpr_read_b32 v11, a1
	;; [unrolled: 1-line block ×3, first 2 shown]
	v_mov_b32_e32 v57, 0
	s_waitcnt lgkmcnt(0)
	s_cmp_lt_u32 s2, s3
	s_cselect_b32 s3, 12, 18
	s_add_u32 s18, s4, s3
	s_addc_u32 s19, s5, 0
	global_load_ushort v10, v15, s[18:19]
	v_mov_b32_e32 v56, 0
	s_waitcnt vmcnt(0)
	v_mad_u32_u24 v10, v14, v10, v11
	v_and_b32_e32 v14, 63, v10
	v_accvgpr_write_b32 a2, v14
	v_accvgpr_write_b32 a3, v15
	v_cmp_gt_u32_e32 vcc, 32, v14
	s_and_saveexec_b64 s[18:19], vcc
	s_cbranch_execz .LBB74_149
; %bb.223:                              ;   in Loop: Header=BB74_151 Depth=1
	v_accvgpr_read_b32 v11, a3
	v_accvgpr_read_b32 v10, a2
	v_lshl_add_u64 v[10:11], v[12:13], 0, v[10:11]
	v_cmp_gt_i64_e32 vcc, s[12:13], v[10:11]
	v_mov_b32_e32 v56, 0
	v_mov_b32_e32 v57, 0
	s_and_saveexec_b64 s[28:29], vcc
	s_cbranch_execz .LBB74_148
; %bb.224:                              ;   in Loop: Header=BB74_151 Depth=1
	v_lshlrev_b64 v[10:11], 2, v[10:11]
	v_lshl_add_u64 v[12:13], s[22:23], 0, v[10:11]
	v_lshl_add_u64 v[10:11], s[20:21], 0, v[10:11]
	global_load_dword v56, v[10:11], off
	global_load_dword v57, v[12:13], off
	s_branch .LBB74_148
.LBB74_225:
	v_accvgpr_read_b32 v212, a0
.LBB74_226:
	s_mov_b32 s3, 0
	s_lshl_b64 s[2:3], s[2:3], 6
	v_and_b32_e32 v0, 0x3ff, v212
	v_or_b32_e32 v0, s2, v0
	v_mov_b32_e32 v1, s3
	v_cmp_gt_i64_e32 vcc, s[14:15], v[0:1]
	s_and_saveexec_b64 s[2:3], vcc
	s_cbranch_execz .LBB74_231
; %bb.227:
	s_load_dword s2, s[0:1], 0x4c
	s_load_dwordx4 s[4:7], s[0:1], 0x30
	v_bfe_u32 v2, v212, 10, 10
	v_mov_b32_e32 v3, 0
	v_mov_b32_e32 v4, s8
	s_waitcnt lgkmcnt(0)
	s_lshr_b32 s0, s2, 16
	v_mad_u64_u32 v[2:3], s[0:1], s0, v4, v[2:3]
	s_cmp_eq_u64 s[4:5], 0
	v_mul_lo_u32 v3, v3, s14
	v_mul_lo_u32 v4, v2, s15
	s_cbranch_scc1 .LBB74_229
; %bb.228:
	v_cvt_f16_f32_e32 v5, v71
	v_mad_u64_u32 v[6:7], s[0:1], v2, s14, 0
	v_add3_u32 v7, v7, v4, v3
	v_lshl_add_u64 v[6:7], v[6:7], 1, s[4:5]
	v_lshl_add_u64 v[6:7], v[0:1], 1, v[6:7]
	global_store_short v[6:7], v5, off
.LBB74_229:
	s_cmp_eq_u64 s[6:7], 0
	s_cbranch_scc1 .LBB74_231
; %bb.230:
	v_cvt_f16_f32_e32 v5, v70
	v_mad_u64_u32 v[6:7], s[0:1], v2, s14, 0
	v_add3_u32 v7, v7, v4, v3
	v_lshl_add_u64 v[2:3], v[6:7], 1, s[6:7]
	v_lshl_add_u64 v[0:1], v[0:1], 1, v[2:3]
	global_store_short v[0:1], v5, off
.LBB74_231:
	s_endpgm
	.section	.rodata,"a",@progbits
	.p2align	6, 0x0
	.amdhsa_kernel _ZN2at6native12_GLOBAL__N_135GammaBetaBackwardCUDAKernelTemplateIN3c104HalfEfLj64ELj1ELj32ELb1ELb0ELb0EEEvllPKT_S7_PKT0_SA_PS5_SB_
		.amdhsa_group_segment_fixed_size 0
		.amdhsa_private_segment_fixed_size 0
		.amdhsa_kernarg_size 320
		.amdhsa_user_sgpr_count 2
		.amdhsa_user_sgpr_dispatch_ptr 0
		.amdhsa_user_sgpr_queue_ptr 0
		.amdhsa_user_sgpr_kernarg_segment_ptr 1
		.amdhsa_user_sgpr_dispatch_id 0
		.amdhsa_user_sgpr_kernarg_preload_length 0
		.amdhsa_user_sgpr_kernarg_preload_offset 0
		.amdhsa_user_sgpr_private_segment_size 0
		.amdhsa_uses_dynamic_stack 0
		.amdhsa_enable_private_segment 0
		.amdhsa_system_sgpr_workgroup_id_x 1
		.amdhsa_system_sgpr_workgroup_id_y 1
		.amdhsa_system_sgpr_workgroup_id_z 0
		.amdhsa_system_sgpr_workgroup_info 0
		.amdhsa_system_vgpr_workitem_id 1
		.amdhsa_next_free_vgpr 339
		.amdhsa_next_free_sgpr 40
		.amdhsa_accum_offset 256
		.amdhsa_reserve_vcc 1
		.amdhsa_float_round_mode_32 0
		.amdhsa_float_round_mode_16_64 0
		.amdhsa_float_denorm_mode_32 3
		.amdhsa_float_denorm_mode_16_64 3
		.amdhsa_dx10_clamp 1
		.amdhsa_ieee_mode 1
		.amdhsa_fp16_overflow 0
		.amdhsa_tg_split 0
		.amdhsa_exception_fp_ieee_invalid_op 0
		.amdhsa_exception_fp_denorm_src 0
		.amdhsa_exception_fp_ieee_div_zero 0
		.amdhsa_exception_fp_ieee_overflow 0
		.amdhsa_exception_fp_ieee_underflow 0
		.amdhsa_exception_fp_ieee_inexact 0
		.amdhsa_exception_int_div_zero 0
	.end_amdhsa_kernel
	.section	.text._ZN2at6native12_GLOBAL__N_135GammaBetaBackwardCUDAKernelTemplateIN3c104HalfEfLj64ELj1ELj32ELb1ELb0ELb0EEEvllPKT_S7_PKT0_SA_PS5_SB_,"axG",@progbits,_ZN2at6native12_GLOBAL__N_135GammaBetaBackwardCUDAKernelTemplateIN3c104HalfEfLj64ELj1ELj32ELb1ELb0ELb0EEEvllPKT_S7_PKT0_SA_PS5_SB_,comdat
.Lfunc_end74:
	.size	_ZN2at6native12_GLOBAL__N_135GammaBetaBackwardCUDAKernelTemplateIN3c104HalfEfLj64ELj1ELj32ELb1ELb0ELb0EEEvllPKT_S7_PKT0_SA_PS5_SB_, .Lfunc_end74-_ZN2at6native12_GLOBAL__N_135GammaBetaBackwardCUDAKernelTemplateIN3c104HalfEfLj64ELj1ELj32ELb1ELb0ELb0EEEvllPKT_S7_PKT0_SA_PS5_SB_
                                        ; -- End function
	.section	.AMDGPU.csdata,"",@progbits
; Kernel info:
; codeLenInByte = 25792
; NumSgprs: 46
; NumVgprs: 256
; NumAgprs: 83
; TotalNumVgprs: 339
; ScratchSize: 0
; MemoryBound: 0
; FloatMode: 240
; IeeeMode: 1
; LDSByteSize: 0 bytes/workgroup (compile time only)
; SGPRBlocks: 5
; VGPRBlocks: 42
; NumSGPRsForWavesPerEU: 46
; NumVGPRsForWavesPerEU: 339
; AccumOffset: 256
; Occupancy: 1
; WaveLimiterHint : 0
; COMPUTE_PGM_RSRC2:SCRATCH_EN: 0
; COMPUTE_PGM_RSRC2:USER_SGPR: 2
; COMPUTE_PGM_RSRC2:TRAP_HANDLER: 0
; COMPUTE_PGM_RSRC2:TGID_X_EN: 1
; COMPUTE_PGM_RSRC2:TGID_Y_EN: 1
; COMPUTE_PGM_RSRC2:TGID_Z_EN: 0
; COMPUTE_PGM_RSRC2:TIDIG_COMP_CNT: 1
; COMPUTE_PGM_RSRC3_GFX90A:ACCUM_OFFSET: 63
; COMPUTE_PGM_RSRC3_GFX90A:TG_SPLIT: 0
	.section	.text._ZN2at6native12_GLOBAL__N_135GammaBetaBackwardCUDAKernelTemplateIN3c104HalfEfLj64ELj1ELj8ELb1ELb1ELb0EEEvllPKT_S7_PKT0_SA_PS5_SB_,"axG",@progbits,_ZN2at6native12_GLOBAL__N_135GammaBetaBackwardCUDAKernelTemplateIN3c104HalfEfLj64ELj1ELj8ELb1ELb1ELb0EEEvllPKT_S7_PKT0_SA_PS5_SB_,comdat
	.globl	_ZN2at6native12_GLOBAL__N_135GammaBetaBackwardCUDAKernelTemplateIN3c104HalfEfLj64ELj1ELj8ELb1ELb1ELb0EEEvllPKT_S7_PKT0_SA_PS5_SB_ ; -- Begin function _ZN2at6native12_GLOBAL__N_135GammaBetaBackwardCUDAKernelTemplateIN3c104HalfEfLj64ELj1ELj8ELb1ELb1ELb0EEEvllPKT_S7_PKT0_SA_PS5_SB_
	.p2align	8
	.type	_ZN2at6native12_GLOBAL__N_135GammaBetaBackwardCUDAKernelTemplateIN3c104HalfEfLj64ELj1ELj8ELb1ELb1ELb0EEEvllPKT_S7_PKT0_SA_PS5_SB_,@function
_ZN2at6native12_GLOBAL__N_135GammaBetaBackwardCUDAKernelTemplateIN3c104HalfEfLj64ELj1ELj8ELb1ELb1ELb0EEEvllPKT_S7_PKT0_SA_PS5_SB_: ; @_ZN2at6native12_GLOBAL__N_135GammaBetaBackwardCUDAKernelTemplateIN3c104HalfEfLj64ELj1ELj8ELb1ELb1ELb0EEEvllPKT_S7_PKT0_SA_PS5_SB_
; %bb.0:
	s_load_dwordx4 s[16:19], s[0:1], 0x0
	s_lshl_b32 s6, s3, 3
	s_mov_b32 s7, 0
	s_mov_b32 s4, s3
	v_bfe_u32 v1, v0, 10, 10
	s_waitcnt lgkmcnt(0)
	v_mov_b64_e32 v[2:3], s[16:17]
	v_cmp_lt_i64_e32 vcc, s[6:7], v[2:3]
	s_cbranch_vccnz .LBB75_2
; %bb.1:
	s_add_u32 s24, s0, 64
	s_addc_u32 s25, s1, 0
	s_mov_b64 s[8:9], 0
	v_bfe_u32 v2, v0, 10, 10
	s_branch .LBB75_3
.LBB75_2:
	s_mov_b64 s[8:9], -1
                                        ; implicit-def: $sgpr24_sgpr25
                                        ; implicit-def: $vgpr2
.LBB75_3:
	s_load_dwordx4 s[20:23], s[0:1], 0x30
	v_and_b32_e32 v0, 0x3ff, v0
	s_andn2_b64 vcc, exec, s[8:9]
	v_mov_b32_e32 v6, s7
	s_cbranch_vccnz .LBB75_11
; %bb.4:
	s_load_dword s3, s[0:1], 0x4c
	s_load_dword s5, s[0:1], 0x44
	s_load_dwordx8 s[8:15], s[0:1], 0x10
	s_add_u32 s24, s0, 64
	s_addc_u32 s25, s1, 0
	s_waitcnt lgkmcnt(0)
	s_and_b32 s0, s3, 0xffff
	v_mad_u32_u24 v2, v1, s0, v0
	v_and_b32_e32 v4, 63, v2
	v_lshlrev_b32_e32 v2, 3, v1
	v_mov_b32_e32 v3, 0
	v_mbcnt_lo_u32_b32 v6, -1, 0
	v_mov_b32_e32 v5, v3
	v_mbcnt_hi_u32_b32 v6, -1, v6
	s_lshl_b32 s26, s5, 3
	v_lshl_add_u64 v[10:11], v[2:3], 0, s[6:7]
	v_cmp_gt_u32_e64 s[0:1], 8, v4
	v_lshl_add_u32 v8, s2, 6, v0
	v_mov_b32_e32 v9, v3
	v_lshlrev_b32_e32 v6, 2, v6
	v_lshl_add_u64 v[4:5], v[10:11], 0, v[4:5]
	v_mul_lo_u32 v2, s19, v10
	v_mul_lo_u32 v20, s18, v11
	v_mad_u64_u32 v[10:11], s[30:31], s18, v10, 0
	s_mul_i32 s3, s19, s26
	s_mul_hi_u32 s5, s18, s26
	s_mov_b32 s27, 0
	v_and_b32_e32 v12, 0x100, v6
	v_add3_u32 v11, v11, v20, v2
	v_lshlrev_b64 v[8:9], 1, v[8:9]
	s_add_i32 s31, s5, s3
	s_mul_i32 s30, s18, s26
	v_or_b32_e32 v13, 4, v12
	v_or_b32_e32 v14, 8, v12
	;; [unrolled: 1-line block ×7, first 2 shown]
	v_lshlrev_b64 v[6:7], 2, v[4:5]
	s_lshl_b64 s[28:29], s[26:27], 2
	v_lshl_add_u64 v[8:9], v[10:11], 1, v[8:9]
	s_lshl_b64 s[30:31], s[30:31], 1
	s_lshl_b64 s[34:35], s[18:19], 1
	v_mov_b64_e32 v[10:11], s[16:17]
	v_mov_b32_e32 v2, v3
	s_branch .LBB75_7
.LBB75_5:                               ;   in Loop: Header=BB75_7 Depth=1
	s_or_b64 exec, exec, s[38:39]
.LBB75_6:                               ;   in Loop: Header=BB75_7 Depth=1
	s_or_b64 exec, exec, s[36:37]
	v_lshl_add_u64 v[22:23], s[8:9], 0, v[8:9]
	global_load_ushort v26, v[22:23], off
	v_lshl_add_u64 v[24:25], s[10:11], 0, v[8:9]
	v_lshl_add_u64 v[22:23], v[22:23], 0, s[34:35]
	global_load_ushort v27, v[24:25], off
	global_load_ushort v28, v[22:23], off
	v_lshl_add_u64 v[24:25], v[24:25], 0, s[34:35]
	v_lshl_add_u64 v[22:23], v[22:23], 0, s[34:35]
	global_load_ushort v29, v[24:25], off
	;; [unrolled: 4-line block ×7, first 2 shown]
	global_load_ushort v40, v[22:23], off
	v_lshl_add_u64 v[22:23], v[24:25], 0, s[34:35]
	global_load_ushort v23, v[22:23], off
	s_waitcnt vmcnt(17)
	ds_bpermute_b32 v41, v12, v20
	s_waitcnt vmcnt(16)
	ds_bpermute_b32 v25, v12, v21
	ds_bpermute_b32 v42, v13, v21
	;; [unrolled: 1-line block ×15, first 2 shown]
	s_add_u32 s6, s6, s26
	s_addc_u32 s7, s7, 0
	v_cmp_lt_i64_e32 vcc, s[6:7], v[10:11]
	v_lshl_add_u64 v[6:7], v[6:7], 0, s[28:29]
	v_lshl_add_u64 v[4:5], v[4:5], 0, s[26:27]
	;; [unrolled: 1-line block ×3, first 2 shown]
	s_and_b64 vcc, exec, vcc
	s_waitcnt vmcnt(15)
	v_cvt_f32_f16_e32 v20, v26
	s_waitcnt vmcnt(14)
	v_cvt_f32_f16_e32 v21, v27
	;; [unrolled: 2-line block ×5, first 2 shown]
	s_waitcnt lgkmcnt(14)
	v_sub_f32_e32 v21, v21, v41
	v_mul_f32_e32 v21, v21, v20
	s_waitcnt vmcnt(10)
	v_cvt_f32_f16_e32 v29, v31
	s_waitcnt vmcnt(9)
	v_cvt_f32_f16_e32 v26, v32
	s_waitcnt lgkmcnt(12)
	v_sub_f32_e32 v27, v27, v43
	v_mul_f32_e32 v21, v21, v25
	s_waitcnt vmcnt(8)
	v_cvt_f32_f16_e32 v31, v33
	s_waitcnt vmcnt(7)
	v_cvt_f32_f16_e32 v28, v34
	v_mul_f32_e32 v25, v27, v22
	s_waitcnt lgkmcnt(5)
	v_sub_f32_e32 v27, v29, v45
	s_waitcnt vmcnt(6)
	v_cvt_f32_f16_e32 v33, v35
	s_waitcnt vmcnt(5)
	v_cvt_f32_f16_e32 v30, v36
	v_pk_add_f32 v[2:3], v[2:3], v[20:21]
	s_waitcnt vmcnt(4)
	v_cvt_f32_f16_e32 v35, v37
	s_waitcnt vmcnt(3)
	v_cvt_f32_f16_e32 v32, v38
	s_waitcnt lgkmcnt(3)
	v_sub_f32_e32 v21, v33, v49
	s_waitcnt vmcnt(2)
	v_cvt_f32_f16_e32 v36, v39
	s_waitcnt vmcnt(1)
	v_cvt_f32_f16_e32 v34, v40
	;; [unrolled: 2-line block ×3, first 2 shown]
	v_mul_f32_e32 v23, v25, v42
	v_mul_f32_e32 v25, v27, v24
	v_sub_f32_e32 v27, v31, v47
	v_mul_f32_e32 v25, v25, v44
	v_mul_f32_e32 v20, v27, v26
	v_pk_add_f32 v[2:3], v[2:3], v[22:23]
	v_mul_f32_e32 v27, v20, v46
	v_mul_f32_e32 v20, v21, v28
	s_waitcnt lgkmcnt(2)
	v_sub_f32_e32 v21, v35, v51
	v_pk_add_f32 v[2:3], v[2:3], v[24:25]
	v_mul_f32_e32 v29, v20, v48
	v_mul_f32_e32 v20, v21, v30
	s_waitcnt lgkmcnt(1)
	v_sub_f32_e32 v21, v36, v53
	v_pk_add_f32 v[2:3], v[2:3], v[26:27]
	v_mul_f32_e32 v31, v20, v50
	v_mul_f32_e32 v20, v21, v32
	v_pk_add_f32 v[2:3], v[2:3], v[28:29]
	s_waitcnt lgkmcnt(0)
	v_sub_f32_e32 v21, v37, v55
	v_mul_f32_e32 v33, v20, v52
	v_pk_add_f32 v[2:3], v[2:3], v[30:31]
	v_mul_f32_e32 v20, v21, v34
	v_pk_add_f32 v[2:3], v[2:3], v[32:33]
	v_mul_f32_e32 v35, v20, v54
	v_pk_add_f32 v[2:3], v[2:3], v[34:35]
	s_cbranch_vccz .LBB75_10
.LBB75_7:                               ; =>This Inner Loop Header: Depth=1
	v_mov_b32_e32 v21, 0
	v_mov_b32_e32 v20, 0
	s_and_saveexec_b64 s[36:37], s[0:1]
	s_cbranch_execz .LBB75_6
; %bb.8:                                ;   in Loop: Header=BB75_7 Depth=1
	v_cmp_gt_i64_e32 vcc, s[16:17], v[4:5]
	v_mov_b32_e32 v20, 0
	v_mov_b32_e32 v21, 0
	s_and_saveexec_b64 s[38:39], vcc
	s_cbranch_execz .LBB75_5
; %bb.9:                                ;   in Loop: Header=BB75_7 Depth=1
	v_lshl_add_u64 v[24:25], s[12:13], 0, v[6:7]
	v_lshl_add_u64 v[22:23], s[14:15], 0, v[6:7]
	global_load_dword v20, v[24:25], off
	global_load_dword v21, v[22:23], off
	s_branch .LBB75_5
.LBB75_10:
	v_cvt_f16_f32_e32 v3, v3
	v_cvt_f16_f32_e32 v2, v2
	v_pack_b32_f16 v6, v2, v3
	v_mov_b32_e32 v2, v1
.LBB75_11:
	s_load_dword s5, s[24:25], 0xc
	s_mov_b32 s3, 0
	v_mov_b32_e32 v1, 0
	s_lshl_b64 s[0:1], s[2:3], 6
	v_lshl_add_u64 v[4:5], s[0:1], 0, v[0:1]
	s_waitcnt lgkmcnt(0)
	s_lshr_b32 s0, s5, 16
	v_mov_b32_e32 v3, v1
	v_mov_b32_e32 v0, s4
	v_mad_u64_u32 v[0:1], s[0:1], s0, v0, v[2:3]
	s_cmp_eq_u64 s[20:21], 0
	v_mul_lo_u32 v1, v1, s18
	v_mul_lo_u32 v2, v0, s19
	s_cbranch_scc1 .LBB75_13
; %bb.12:
	v_mad_u64_u32 v[8:9], s[0:1], v0, s18, 0
	v_add3_u32 v9, v9, v2, v1
	v_lshl_add_u64 v[8:9], v[8:9], 1, s[20:21]
	v_lshl_add_u64 v[8:9], v[4:5], 1, v[8:9]
	global_store_short_d16_hi v[8:9], v6, off
.LBB75_13:
	s_cmp_eq_u64 s[22:23], 0
	s_cbranch_scc1 .LBB75_15
; %bb.14:
	v_mad_u64_u32 v[8:9], s[0:1], v0, s18, 0
	v_add3_u32 v9, v9, v2, v1
	v_lshl_add_u64 v[0:1], v[8:9], 1, s[22:23]
	v_lshl_add_u64 v[0:1], v[4:5], 1, v[0:1]
	global_store_short v[0:1], v6, off
.LBB75_15:
	s_endpgm
	.section	.rodata,"a",@progbits
	.p2align	6, 0x0
	.amdhsa_kernel _ZN2at6native12_GLOBAL__N_135GammaBetaBackwardCUDAKernelTemplateIN3c104HalfEfLj64ELj1ELj8ELb1ELb1ELb0EEEvllPKT_S7_PKT0_SA_PS5_SB_
		.amdhsa_group_segment_fixed_size 0
		.amdhsa_private_segment_fixed_size 0
		.amdhsa_kernarg_size 320
		.amdhsa_user_sgpr_count 2
		.amdhsa_user_sgpr_dispatch_ptr 0
		.amdhsa_user_sgpr_queue_ptr 0
		.amdhsa_user_sgpr_kernarg_segment_ptr 1
		.amdhsa_user_sgpr_dispatch_id 0
		.amdhsa_user_sgpr_kernarg_preload_length 0
		.amdhsa_user_sgpr_kernarg_preload_offset 0
		.amdhsa_user_sgpr_private_segment_size 0
		.amdhsa_uses_dynamic_stack 0
		.amdhsa_enable_private_segment 0
		.amdhsa_system_sgpr_workgroup_id_x 1
		.amdhsa_system_sgpr_workgroup_id_y 1
		.amdhsa_system_sgpr_workgroup_id_z 0
		.amdhsa_system_sgpr_workgroup_info 0
		.amdhsa_system_vgpr_workitem_id 1
		.amdhsa_next_free_vgpr 56
		.amdhsa_next_free_sgpr 40
		.amdhsa_accum_offset 56
		.amdhsa_reserve_vcc 1
		.amdhsa_float_round_mode_32 0
		.amdhsa_float_round_mode_16_64 0
		.amdhsa_float_denorm_mode_32 3
		.amdhsa_float_denorm_mode_16_64 3
		.amdhsa_dx10_clamp 1
		.amdhsa_ieee_mode 1
		.amdhsa_fp16_overflow 0
		.amdhsa_tg_split 0
		.amdhsa_exception_fp_ieee_invalid_op 0
		.amdhsa_exception_fp_denorm_src 0
		.amdhsa_exception_fp_ieee_div_zero 0
		.amdhsa_exception_fp_ieee_overflow 0
		.amdhsa_exception_fp_ieee_underflow 0
		.amdhsa_exception_fp_ieee_inexact 0
		.amdhsa_exception_int_div_zero 0
	.end_amdhsa_kernel
	.section	.text._ZN2at6native12_GLOBAL__N_135GammaBetaBackwardCUDAKernelTemplateIN3c104HalfEfLj64ELj1ELj8ELb1ELb1ELb0EEEvllPKT_S7_PKT0_SA_PS5_SB_,"axG",@progbits,_ZN2at6native12_GLOBAL__N_135GammaBetaBackwardCUDAKernelTemplateIN3c104HalfEfLj64ELj1ELj8ELb1ELb1ELb0EEEvllPKT_S7_PKT0_SA_PS5_SB_,comdat
.Lfunc_end75:
	.size	_ZN2at6native12_GLOBAL__N_135GammaBetaBackwardCUDAKernelTemplateIN3c104HalfEfLj64ELj1ELj8ELb1ELb1ELb0EEEvllPKT_S7_PKT0_SA_PS5_SB_, .Lfunc_end75-_ZN2at6native12_GLOBAL__N_135GammaBetaBackwardCUDAKernelTemplateIN3c104HalfEfLj64ELj1ELj8ELb1ELb1ELb0EEEvllPKT_S7_PKT0_SA_PS5_SB_
                                        ; -- End function
	.section	.AMDGPU.csdata,"",@progbits
; Kernel info:
; codeLenInByte = 1384
; NumSgprs: 46
; NumVgprs: 56
; NumAgprs: 0
; TotalNumVgprs: 56
; ScratchSize: 0
; MemoryBound: 0
; FloatMode: 240
; IeeeMode: 1
; LDSByteSize: 0 bytes/workgroup (compile time only)
; SGPRBlocks: 5
; VGPRBlocks: 6
; NumSGPRsForWavesPerEU: 46
; NumVGPRsForWavesPerEU: 56
; AccumOffset: 56
; Occupancy: 8
; WaveLimiterHint : 0
; COMPUTE_PGM_RSRC2:SCRATCH_EN: 0
; COMPUTE_PGM_RSRC2:USER_SGPR: 2
; COMPUTE_PGM_RSRC2:TRAP_HANDLER: 0
; COMPUTE_PGM_RSRC2:TGID_X_EN: 1
; COMPUTE_PGM_RSRC2:TGID_Y_EN: 1
; COMPUTE_PGM_RSRC2:TGID_Z_EN: 0
; COMPUTE_PGM_RSRC2:TIDIG_COMP_CNT: 1
; COMPUTE_PGM_RSRC3_GFX90A:ACCUM_OFFSET: 13
; COMPUTE_PGM_RSRC3_GFX90A:TG_SPLIT: 0
	.section	.text._ZN2at6native12_GLOBAL__N_135GammaBetaBackwardCUDAKernelTemplateIN3c104HalfEfLj64ELj1ELj8ELb1ELb0ELb0EEEvllPKT_S7_PKT0_SA_PS5_SB_,"axG",@progbits,_ZN2at6native12_GLOBAL__N_135GammaBetaBackwardCUDAKernelTemplateIN3c104HalfEfLj64ELj1ELj8ELb1ELb0ELb0EEEvllPKT_S7_PKT0_SA_PS5_SB_,comdat
	.globl	_ZN2at6native12_GLOBAL__N_135GammaBetaBackwardCUDAKernelTemplateIN3c104HalfEfLj64ELj1ELj8ELb1ELb0ELb0EEEvllPKT_S7_PKT0_SA_PS5_SB_ ; -- Begin function _ZN2at6native12_GLOBAL__N_135GammaBetaBackwardCUDAKernelTemplateIN3c104HalfEfLj64ELj1ELj8ELb1ELb0ELb0EEEvllPKT_S7_PKT0_SA_PS5_SB_
	.p2align	8
	.type	_ZN2at6native12_GLOBAL__N_135GammaBetaBackwardCUDAKernelTemplateIN3c104HalfEfLj64ELj1ELj8ELb1ELb0ELb0EEEvllPKT_S7_PKT0_SA_PS5_SB_,@function
_ZN2at6native12_GLOBAL__N_135GammaBetaBackwardCUDAKernelTemplateIN3c104HalfEfLj64ELj1ELj8ELb1ELb0ELb0EEEvllPKT_S7_PKT0_SA_PS5_SB_: ; @_ZN2at6native12_GLOBAL__N_135GammaBetaBackwardCUDAKernelTemplateIN3c104HalfEfLj64ELj1ELj8ELb1ELb0ELb0EEEvllPKT_S7_PKT0_SA_PS5_SB_
; %bb.0:
	s_load_dwordx8 s[12:19], s[0:1], 0x0
	s_load_dwordx4 s[28:31], s[0:1], 0x20
	s_mov_b32 s8, s3
	s_lshl_b32 s3, s2, 6
	s_mov_b32 s20, 0
	s_or_b32 s4, s3, 63
	s_mov_b32 s5, s20
	s_waitcnt lgkmcnt(0)
	v_mov_b64_e32 v[2:3], s[14:15]
	v_cmp_ge_i64_e32 vcc, s[4:5], v[2:3]
	s_lshl_b32 s10, s8, 3
	s_mov_b32 s11, s20
	v_mov_b64_e32 v[2:3], s[12:13]
	v_cmp_lt_i64_e64 s[4:5], s[10:11], v[2:3]
	s_nop 1
	v_cndmask_b32_e64 v1, 0, 1, s[4:5]
	v_cmp_ne_u32_e64 s[4:5], 1, v1
	s_cbranch_vccz .LBB76_48
; %bb.1:
	v_mov_b32_e32 v31, 0
	s_and_b64 vcc, exec, s[4:5]
	v_mov_b32_e32 v30, v31
	s_cbranch_vccnz .LBB76_49
; %bb.2:
	v_mov_b32_e32 v3, 0
	v_bfe_u32 v66, v0, 10, 10
	s_load_dword s9, s[0:1], 0x44
	v_lshlrev_b32_e32 v26, 3, v66
	v_mov_b32_e32 v27, v3
	v_and_b32_e32 v1, 0x3ff, v0
	v_lshl_add_u64 v[4:5], v[26:27], 0, s[10:11]
	v_add_u32_e32 v2, s3, v1
	v_lshl_add_u64 v[6:7], v[4:5], 0, 7
	s_add_u32 s34, s0, 64
	v_cmp_gt_i64_e64 s[6:7], s[14:15], v[2:3]
	v_lshlrev_b64 v[28:29], 1, v[2:3]
	v_mul_lo_u32 v2, s15, v6
	v_mul_lo_u32 v8, s14, v7
	v_mad_u64_u32 v[6:7], s[22:23], s14, v6, 0
	s_addc_u32 s35, s1, 0
	s_waitcnt lgkmcnt(0)
	s_lshl_b32 s36, s9, 3
	v_add3_u32 v7, v7, v8, v2
	v_lshlrev_b64 v[6:7], 1, v[6:7]
	s_mul_i32 s9, s15, s36
	s_mul_hi_u32 s21, s14, s36
	v_lshl_add_u64 v[32:33], s[16:17], 0, v[6:7]
	s_add_i32 s23, s21, s9
	s_mul_i32 s22, s14, s36
	v_lshl_add_u64 v[34:35], s[18:19], 0, v[6:7]
	v_lshl_add_u64 v[6:7], v[4:5], 0, 6
	s_lshl_b64 s[40:41], s[22:23], 1
	v_mul_lo_u32 v2, s15, v6
	v_mul_lo_u32 v8, s14, v7
	v_mad_u64_u32 v[6:7], s[22:23], s14, v6, 0
	v_add3_u32 v7, v7, v8, v2
	v_lshlrev_b64 v[6:7], 1, v[6:7]
	v_lshl_add_u64 v[36:37], s[16:17], 0, v[6:7]
	v_lshl_add_u64 v[38:39], s[18:19], 0, v[6:7]
	v_lshl_add_u64 v[6:7], v[4:5], 0, 5
	v_mul_lo_u32 v2, s15, v6
	v_mul_lo_u32 v8, s14, v7
	v_mad_u64_u32 v[6:7], s[22:23], s14, v6, 0
	v_add3_u32 v7, v7, v8, v2
	v_lshlrev_b64 v[6:7], 1, v[6:7]
	v_lshl_add_u64 v[40:41], s[16:17], 0, v[6:7]
	v_lshl_add_u64 v[42:43], s[18:19], 0, v[6:7]
	v_lshl_add_u64 v[6:7], v[4:5], 0, 4
	;; [unrolled: 8-line block ×4, first 2 shown]
	v_mul_lo_u32 v2, s15, v6
	v_mul_lo_u32 v8, s14, v7
	v_mad_u64_u32 v[6:7], s[22:23], s14, v6, 0
	v_add3_u32 v7, v7, v8, v2
	v_lshlrev_b64 v[6:7], 1, v[6:7]
	v_lshl_add_u64 v[52:53], s[16:17], 0, v[6:7]
	v_lshl_add_u64 v[54:55], s[18:19], 0, v[6:7]
	v_mov_b64_e32 v[6:7], s[14:15]
	v_mad_u64_u32 v[6:7], s[22:23], s14, v4, v[6:7]
	v_mul_lo_u32 v2, s14, v5
	v_mul_lo_u32 v8, s15, v4
	v_mad_u64_u32 v[4:5], s[22:23], s14, v4, 0
	v_add3_u32 v7, v8, v7, v2
	v_add3_u32 v5, v5, v2, v8
	v_mbcnt_lo_u32_b32 v2, -1, 0
	v_mbcnt_hi_u32_b32 v2, -1, v2
	v_lshlrev_b64 v[6:7], 1, v[6:7]
	v_lshlrev_b64 v[4:5], 1, v[4:5]
	v_lshlrev_b32_e32 v2, 2, v2
	s_mov_b32 s37, s20
	s_mov_b64 s[38:39], 7
	v_lshl_add_u64 v[56:57], s[16:17], 0, v[6:7]
	v_lshl_add_u64 v[58:59], s[18:19], 0, v[6:7]
	;; [unrolled: 1-line block ×4, first 2 shown]
	v_and_b32_e32 v67, 0x100, v2
	s_mov_b64 s[42:43], s[10:11]
	v_mov_b32_e32 v30, v3
	v_mov_b32_e32 v31, v3
	s_branch .LBB76_5
.LBB76_3:                               ;   in Loop: Header=BB76_5 Depth=1
	s_or_b64 exec, exec, s[22:23]
	s_waitcnt vmcnt(1)
	ds_bpermute_b32 v2, v67, v69
	ds_bpermute_b32 v4, v67, v69 offset:4
	s_waitcnt vmcnt(0)
	ds_bpermute_b32 v5, v67, v68
	ds_bpermute_b32 v6, v67, v68 offset:4
	ds_bpermute_b32 v8, v67, v68 offset:12
	s_waitcnt lgkmcnt(4)
	v_sub_f32_e32 v2, v10, v2
	v_mul_f32_e32 v2, v18, v2
	s_waitcnt lgkmcnt(3)
	v_sub_f32_e32 v4, v11, v4
	s_waitcnt lgkmcnt(2)
	v_mul_f32_e32 v5, v2, v5
	ds_bpermute_b32 v2, v67, v69 offset:8
	v_mul_f32_e32 v4, v19, v4
	s_waitcnt lgkmcnt(2)
	v_mul_f32_e32 v7, v4, v6
	ds_bpermute_b32 v4, v67, v68 offset:8
	ds_bpermute_b32 v6, v67, v69 offset:12
	s_waitcnt lgkmcnt(2)
	v_sub_f32_e32 v2, v12, v2
	v_mul_f32_e32 v2, v20, v2
	v_mov_b32_e32 v10, v21
	s_waitcnt lgkmcnt(1)
	v_mul_f32_e32 v9, v2, v4
	s_waitcnt lgkmcnt(0)
	v_sub_f32_e32 v2, v13, v6
	ds_bpermute_b32 v4, v67, v69 offset:16
	v_mul_f32_e32 v2, v21, v2
	v_mul_f32_e32 v11, v2, v8
	ds_bpermute_b32 v2, v67, v68 offset:16
	ds_bpermute_b32 v6, v67, v69 offset:20
	;; [unrolled: 1-line block ×3, first 2 shown]
	s_waitcnt lgkmcnt(3)
	v_sub_f32_e32 v4, v14, v4
	v_mul_f32_e32 v4, v22, v4
	s_waitcnt lgkmcnt(2)
	v_mul_f32_e32 v13, v4, v2
	s_waitcnt lgkmcnt(1)
	v_sub_f32_e32 v2, v15, v6
	v_mul_f32_e32 v2, v23, v2
	s_waitcnt lgkmcnt(0)
	v_mul_f32_e32 v15, v2, v8
	v_mov_b32_e32 v4, v18
	ds_bpermute_b32 v2, v67, v69 offset:24
	v_pk_add_f32 v[4:5], v[30:31], v[4:5]
	v_mov_b32_e32 v6, v19
	v_pk_add_f32 v[4:5], v[6:7], v[4:5]
	ds_bpermute_b32 v7, v67, v68 offset:24
	v_mov_b32_e32 v8, v20
	v_pk_add_f32 v[4:5], v[8:9], v[4:5]
	v_mov_b32_e32 v12, v22
	v_pk_add_f32 v[4:5], v[10:11], v[4:5]
	s_waitcnt lgkmcnt(1)
	v_sub_f32_e32 v8, v16, v2
	v_pk_add_f32 v[4:5], v[12:13], v[4:5]
	v_mov_b32_e32 v14, v23
	v_mul_f32_e32 v8, v24, v8
	v_pk_add_f32 v[4:5], v[14:15], v[4:5]
	s_waitcnt lgkmcnt(0)
	v_mul_f32_e32 v9, v8, v7
	v_mov_b32_e32 v8, v24
	ds_bpermute_b32 v2, v67, v68 offset:28
	ds_bpermute_b32 v6, v67, v69 offset:28
	v_pk_add_f32 v[4:5], v[8:9], v[4:5]
.LBB76_4:                               ;   in Loop: Header=BB76_5 Depth=1
	s_waitcnt lgkmcnt(0)
	v_sub_f32_e32 v6, v17, v6
	v_mul_f32_e32 v6, v25, v6
	v_mul_f32_e32 v7, v6, v2
	v_mov_b32_e32 v6, v25
	s_add_u32 s42, s42, s36
	v_pk_add_f32 v[30:31], v[4:5], v[6:7]
	s_addc_u32 s43, s43, 0
	v_mov_b64_e32 v[4:5], s[12:13]
	s_add_u32 s38, s38, s36
	v_cmp_lt_i64_e32 vcc, s[42:43], v[4:5]
	v_lshl_add_u64 v[32:33], v[32:33], 0, s[40:41]
	v_lshl_add_u64 v[34:35], v[34:35], 0, s[40:41]
	v_lshl_add_u64 v[36:37], v[36:37], 0, s[40:41]
	v_lshl_add_u64 v[38:39], v[38:39], 0, s[40:41]
	v_lshl_add_u64 v[40:41], v[40:41], 0, s[40:41]
	v_lshl_add_u64 v[42:43], v[42:43], 0, s[40:41]
	v_lshl_add_u64 v[44:45], v[44:45], 0, s[40:41]
	v_lshl_add_u64 v[46:47], v[46:47], 0, s[40:41]
	v_lshl_add_u64 v[48:49], v[48:49], 0, s[40:41]
	v_lshl_add_u64 v[50:51], v[50:51], 0, s[40:41]
	v_lshl_add_u64 v[52:53], v[52:53], 0, s[40:41]
	v_lshl_add_u64 v[54:55], v[54:55], 0, s[40:41]
	v_lshl_add_u64 v[56:57], v[56:57], 0, s[40:41]
	v_lshl_add_u64 v[58:59], v[58:59], 0, s[40:41]
	v_lshl_add_u64 v[26:27], v[26:27], 0, s[36:37]
	v_lshl_add_u64 v[60:61], v[60:61], 0, s[40:41]
	v_lshl_add_u64 v[62:63], v[62:63], 0, s[40:41]
	s_addc_u32 s39, s39, 0
	s_cbranch_vccz .LBB76_49
.LBB76_5:                               ; =>This Inner Loop Header: Depth=1
	s_add_u32 s22, s10, s38
	s_addc_u32 s23, 0, s39
	v_mov_b64_e32 v[4:5], s[12:13]
	v_cmp_ge_i64_e32 vcc, s[22:23], v[4:5]
	v_lshl_add_u64 v[64:65], s[10:11], 0, v[26:27]
	s_cbranch_vccz .LBB76_27
; %bb.6:                                ;   in Loop: Header=BB76_5 Depth=1
	s_load_dword s9, s[34:35], 0xc
	v_mov_b32_e32 v68, 0
	v_mov_b32_e32 v69, 0
	s_waitcnt lgkmcnt(0)
	s_and_b32 s9, s9, 0xffff
	v_mad_u32_u24 v2, v66, s9, v1
	v_and_b32_e32 v2, 63, v2
	v_cmp_gt_u32_e32 vcc, 8, v2
	s_and_saveexec_b64 s[22:23], vcc
	s_cbranch_execz .LBB76_10
; %bb.7:                                ;   in Loop: Header=BB76_5 Depth=1
	v_lshl_add_u64 v[4:5], v[64:65], 0, v[2:3]
	v_cmp_gt_i64_e32 vcc, s[12:13], v[4:5]
	v_mov_b32_e32 v69, 0
	v_mov_b32_e32 v68, 0
	s_and_saveexec_b64 s[24:25], vcc
	s_cbranch_execz .LBB76_9
; %bb.8:                                ;   in Loop: Header=BB76_5 Depth=1
	v_lshlrev_b64 v[4:5], 2, v[4:5]
	v_lshl_add_u64 v[6:7], s[30:31], 0, v[4:5]
	v_lshl_add_u64 v[4:5], s[28:29], 0, v[4:5]
	global_load_dword v69, v[4:5], off
	global_load_dword v68, v[6:7], off
.LBB76_9:                               ;   in Loop: Header=BB76_5 Depth=1
	s_or_b64 exec, exec, s[24:25]
.LBB76_10:                              ;   in Loop: Header=BB76_5 Depth=1
	s_or_b64 exec, exec, s[22:23]
	s_mov_b32 s21, s20
	s_mov_b32 s22, s20
	s_mov_b32 s23, s20
	s_mov_b32 s24, s20
	s_mov_b32 s25, s20
	s_mov_b32 s26, s20
	s_mov_b32 s27, s20
	v_mov_b64_e32 v[10:11], s[20:21]
	v_mov_b64_e32 v[16:17], s[26:27]
	v_cmp_gt_i64_e32 vcc, s[12:13], v[64:65]
	v_mov_b64_e32 v[12:13], s[22:23]
	v_mov_b64_e32 v[14:15], s[24:25]
	;; [unrolled: 1-line block ×3, first 2 shown]
	s_and_b64 s[44:45], s[6:7], vcc
	v_mov_b64_e32 v[22:23], v[14:15]
	v_mov_b64_e32 v[20:21], v[12:13]
	;; [unrolled: 1-line block ×3, first 2 shown]
	s_and_saveexec_b64 s[22:23], s[44:45]
	s_cbranch_execz .LBB76_12
; %bb.11:                               ;   in Loop: Header=BB76_5 Depth=1
	v_lshl_add_u64 v[4:5], v[60:61], 0, v[28:29]
	global_load_ushort v2, v[4:5], off
	v_lshl_add_u64 v[4:5], v[62:63], 0, v[28:29]
	global_load_ushort v10, v[4:5], off
	v_mov_b32_e32 v8, v3
	v_mov_b32_e32 v9, v3
	;; [unrolled: 1-line block ×13, first 2 shown]
	s_waitcnt vmcnt(1)
	v_cvt_f32_f16_e32 v2, v2
	v_mov_b64_e32 v[24:25], v[8:9]
	s_waitcnt vmcnt(0)
	v_cvt_f32_f16_e32 v10, v10
	v_mov_b64_e32 v[22:23], v[6:7]
	v_mov_b64_e32 v[20:21], v[4:5]
	;; [unrolled: 1-line block ×3, first 2 shown]
.LBB76_12:                              ;   in Loop: Header=BB76_5 Depth=1
	s_or_b64 exec, exec, s[22:23]
	v_lshl_add_u64 v[4:5], v[64:65], 0, 1
	v_cmp_gt_i64_e32 vcc, s[12:13], v[4:5]
	s_and_b64 s[24:25], s[6:7], vcc
	s_and_saveexec_b64 s[22:23], s[24:25]
	s_cbranch_execz .LBB76_14
; %bb.13:                               ;   in Loop: Header=BB76_5 Depth=1
	v_lshl_add_u64 v[4:5], v[56:57], 0, v[28:29]
	global_load_ushort v2, v[4:5], off
	v_lshl_add_u64 v[4:5], v[58:59], 0, v[28:29]
	global_load_ushort v4, v[4:5], off
	s_waitcnt vmcnt(1)
	v_cvt_f32_f16_e32 v19, v2
	s_waitcnt vmcnt(0)
	v_cvt_f32_f16_e32 v11, v4
.LBB76_14:                              ;   in Loop: Header=BB76_5 Depth=1
	s_or_b64 exec, exec, s[22:23]
	v_lshl_add_u64 v[4:5], v[64:65], 0, 2
	v_cmp_gt_i64_e32 vcc, s[12:13], v[4:5]
	s_and_b64 s[24:25], s[6:7], vcc
	s_and_saveexec_b64 s[22:23], s[24:25]
	s_cbranch_execz .LBB76_16
; %bb.15:                               ;   in Loop: Header=BB76_5 Depth=1
	v_lshl_add_u64 v[4:5], v[52:53], 0, v[28:29]
	global_load_ushort v2, v[4:5], off
	v_lshl_add_u64 v[4:5], v[54:55], 0, v[28:29]
	global_load_ushort v4, v[4:5], off
	s_waitcnt vmcnt(1)
	v_cvt_f32_f16_e32 v20, v2
	s_waitcnt vmcnt(0)
	v_cvt_f32_f16_e32 v12, v4
.LBB76_16:                              ;   in Loop: Header=BB76_5 Depth=1
	;; [unrolled: 16-line block ×7, first 2 shown]
	s_or_b64 exec, exec, s[22:23]
	s_waitcnt vmcnt(1)
	ds_bpermute_b32 v2, v67, v69
	ds_bpermute_b32 v4, v67, v69 offset:4
	s_waitcnt vmcnt(0)
	ds_bpermute_b32 v5, v67, v68
	ds_bpermute_b32 v6, v67, v68 offset:4
	ds_bpermute_b32 v8, v67, v68 offset:12
	s_waitcnt lgkmcnt(4)
	v_sub_f32_e32 v2, v10, v2
	v_mul_f32_e32 v2, v18, v2
	s_waitcnt lgkmcnt(3)
	v_sub_f32_e32 v4, v11, v4
	s_waitcnt lgkmcnt(2)
	v_mul_f32_e32 v5, v2, v5
	ds_bpermute_b32 v2, v67, v69 offset:8
	v_mul_f32_e32 v4, v19, v4
	s_waitcnt lgkmcnt(2)
	v_mul_f32_e32 v7, v4, v6
	ds_bpermute_b32 v4, v67, v68 offset:8
	ds_bpermute_b32 v6, v67, v69 offset:12
	s_waitcnt lgkmcnt(2)
	v_sub_f32_e32 v2, v12, v2
	v_mul_f32_e32 v2, v20, v2
	v_mov_b32_e32 v10, v21
	s_waitcnt lgkmcnt(1)
	v_mul_f32_e32 v9, v2, v4
	s_waitcnt lgkmcnt(0)
	v_sub_f32_e32 v2, v13, v6
	ds_bpermute_b32 v4, v67, v69 offset:16
	v_mul_f32_e32 v2, v21, v2
	v_mul_f32_e32 v11, v2, v8
	ds_bpermute_b32 v2, v67, v68 offset:16
	ds_bpermute_b32 v6, v67, v69 offset:20
	;; [unrolled: 1-line block ×3, first 2 shown]
	s_waitcnt lgkmcnt(3)
	v_sub_f32_e32 v4, v14, v4
	v_mul_f32_e32 v4, v22, v4
	s_waitcnt lgkmcnt(2)
	v_mul_f32_e32 v13, v4, v2
	s_waitcnt lgkmcnt(1)
	v_sub_f32_e32 v2, v15, v6
	v_mul_f32_e32 v2, v23, v2
	s_waitcnt lgkmcnt(0)
	v_mul_f32_e32 v15, v2, v8
	ds_bpermute_b32 v2, v67, v69 offset:24
	v_mov_b32_e32 v4, v18
	v_pk_add_f32 v[4:5], v[30:31], v[4:5]
	v_mov_b32_e32 v6, v19
	v_pk_add_f32 v[4:5], v[6:7], v[4:5]
	ds_bpermute_b32 v7, v67, v68 offset:24
	v_mov_b32_e32 v8, v20
	s_waitcnt lgkmcnt(1)
	v_sub_f32_e32 v2, v16, v2
	v_pk_add_f32 v[4:5], v[8:9], v[4:5]
	v_mul_f32_e32 v8, v24, v2
	ds_bpermute_b32 v2, v67, v68 offset:28
	ds_bpermute_b32 v6, v67, v69 offset:28
	v_pk_add_f32 v[4:5], v[10:11], v[4:5]
	v_mov_b32_e32 v12, v22
	v_pk_add_f32 v[4:5], v[12:13], v[4:5]
	v_mov_b32_e32 v14, v23
	v_pk_add_f32 v[4:5], v[14:15], v[4:5]
	s_waitcnt lgkmcnt(2)
	v_mul_f32_e32 v9, v8, v7
	v_mov_b32_e32 v8, v24
	v_pk_add_f32 v[4:5], v[8:9], v[4:5]
	s_branch .LBB76_4
.LBB76_27:                              ;   in Loop: Header=BB76_5 Depth=1
                                        ; implicit-def: $vgpr4_vgpr5
                                        ; implicit-def: $vgpr2
                                        ; implicit-def: $vgpr10_vgpr11_vgpr12_vgpr13_vgpr14_vgpr15_vgpr16_vgpr17
                                        ; implicit-def: $vgpr18_vgpr19_vgpr20_vgpr21_vgpr22_vgpr23_vgpr24_vgpr25
                                        ; implicit-def: $vgpr6
	s_cbranch_execz .LBB76_4
; %bb.28:                               ;   in Loop: Header=BB76_5 Depth=1
	s_load_dword s9, s[34:35], 0x0
	v_mov_b32_e32 v68, 0
	v_mov_b32_e32 v69, 0
	s_waitcnt lgkmcnt(0)
	s_cmp_lt_u32 s2, s9
	s_cselect_b32 s9, 12, 18
	s_add_u32 s22, s34, s9
	s_addc_u32 s23, s35, 0
	global_load_ushort v2, v3, s[22:23]
	s_waitcnt vmcnt(0)
	v_mad_u32_u24 v2, v66, v2, v1
	v_and_b32_e32 v2, 63, v2
	v_cmp_gt_u32_e32 vcc, 8, v2
	s_and_saveexec_b64 s[22:23], vcc
	s_cbranch_execz .LBB76_32
; %bb.29:                               ;   in Loop: Header=BB76_5 Depth=1
	v_lshl_add_u64 v[4:5], v[64:65], 0, v[2:3]
	v_cmp_gt_i64_e32 vcc, s[12:13], v[4:5]
	v_mov_b32_e32 v69, 0
	v_mov_b32_e32 v68, 0
	s_and_saveexec_b64 s[24:25], vcc
	s_cbranch_execz .LBB76_31
; %bb.30:                               ;   in Loop: Header=BB76_5 Depth=1
	v_lshlrev_b64 v[4:5], 2, v[4:5]
	v_lshl_add_u64 v[6:7], s[30:31], 0, v[4:5]
	v_lshl_add_u64 v[4:5], s[28:29], 0, v[4:5]
	global_load_dword v69, v[4:5], off
	global_load_dword v68, v[6:7], off
.LBB76_31:                              ;   in Loop: Header=BB76_5 Depth=1
	s_or_b64 exec, exec, s[24:25]
.LBB76_32:                              ;   in Loop: Header=BB76_5 Depth=1
	s_or_b64 exec, exec, s[22:23]
	s_mov_b32 s21, s20
	s_mov_b32 s22, s20
	;; [unrolled: 1-line block ×7, first 2 shown]
	v_mov_b64_e32 v[10:11], s[20:21]
	v_mov_b64_e32 v[16:17], s[26:27]
	;; [unrolled: 1-line block ×8, first 2 shown]
	s_and_saveexec_b64 s[22:23], s[6:7]
	s_cbranch_execnz .LBB76_40
; %bb.33:                               ;   in Loop: Header=BB76_5 Depth=1
	s_or_b64 exec, exec, s[22:23]
	s_and_saveexec_b64 s[22:23], s[6:7]
	s_cbranch_execnz .LBB76_41
.LBB76_34:                              ;   in Loop: Header=BB76_5 Depth=1
	s_or_b64 exec, exec, s[22:23]
	s_and_saveexec_b64 s[22:23], s[6:7]
	s_cbranch_execnz .LBB76_42
.LBB76_35:                              ;   in Loop: Header=BB76_5 Depth=1
	s_or_b64 exec, exec, s[22:23]
	s_and_saveexec_b64 s[22:23], s[6:7]
	s_cbranch_execnz .LBB76_43
.LBB76_36:                              ;   in Loop: Header=BB76_5 Depth=1
	s_or_b64 exec, exec, s[22:23]
	s_and_saveexec_b64 s[22:23], s[6:7]
	s_cbranch_execnz .LBB76_44
.LBB76_37:                              ;   in Loop: Header=BB76_5 Depth=1
	s_or_b64 exec, exec, s[22:23]
	s_and_saveexec_b64 s[22:23], s[6:7]
	s_cbranch_execnz .LBB76_45
.LBB76_38:                              ;   in Loop: Header=BB76_5 Depth=1
	s_or_b64 exec, exec, s[22:23]
	s_and_saveexec_b64 s[22:23], s[6:7]
	s_cbranch_execnz .LBB76_46
.LBB76_39:                              ;   in Loop: Header=BB76_5 Depth=1
	s_or_b64 exec, exec, s[22:23]
	s_and_saveexec_b64 s[22:23], s[6:7]
	s_cbranch_execz .LBB76_3
	s_branch .LBB76_47
.LBB76_40:                              ;   in Loop: Header=BB76_5 Depth=1
	v_lshl_add_u64 v[4:5], v[60:61], 0, v[28:29]
	global_load_ushort v2, v[4:5], off
	v_lshl_add_u64 v[4:5], v[62:63], 0, v[28:29]
	global_load_ushort v10, v[4:5], off
	v_mov_b32_e32 v8, v3
	v_mov_b32_e32 v9, v3
	;; [unrolled: 1-line block ×13, first 2 shown]
	s_waitcnt vmcnt(1)
	v_cvt_f32_f16_e32 v2, v2
	v_mov_b64_e32 v[24:25], v[8:9]
	s_waitcnt vmcnt(0)
	v_cvt_f32_f16_e32 v10, v10
	v_mov_b64_e32 v[22:23], v[6:7]
	v_mov_b64_e32 v[20:21], v[4:5]
	;; [unrolled: 1-line block ×3, first 2 shown]
	s_or_b64 exec, exec, s[22:23]
	s_and_saveexec_b64 s[22:23], s[6:7]
	s_cbranch_execz .LBB76_34
.LBB76_41:                              ;   in Loop: Header=BB76_5 Depth=1
	v_lshl_add_u64 v[4:5], v[56:57], 0, v[28:29]
	global_load_ushort v2, v[4:5], off
	v_lshl_add_u64 v[4:5], v[58:59], 0, v[28:29]
	global_load_ushort v4, v[4:5], off
	s_waitcnt vmcnt(1)
	v_cvt_f32_f16_e32 v19, v2
	s_waitcnt vmcnt(0)
	v_cvt_f32_f16_e32 v11, v4
	s_or_b64 exec, exec, s[22:23]
	s_and_saveexec_b64 s[22:23], s[6:7]
	s_cbranch_execz .LBB76_35
.LBB76_42:                              ;   in Loop: Header=BB76_5 Depth=1
	v_lshl_add_u64 v[4:5], v[52:53], 0, v[28:29]
	global_load_ushort v2, v[4:5], off
	v_lshl_add_u64 v[4:5], v[54:55], 0, v[28:29]
	global_load_ushort v4, v[4:5], off
	s_waitcnt vmcnt(1)
	v_cvt_f32_f16_e32 v20, v2
	s_waitcnt vmcnt(0)
	v_cvt_f32_f16_e32 v12, v4
	s_or_b64 exec, exec, s[22:23]
	s_and_saveexec_b64 s[22:23], s[6:7]
	s_cbranch_execz .LBB76_36
.LBB76_43:                              ;   in Loop: Header=BB76_5 Depth=1
	v_lshl_add_u64 v[4:5], v[48:49], 0, v[28:29]
	global_load_ushort v2, v[4:5], off
	v_lshl_add_u64 v[4:5], v[50:51], 0, v[28:29]
	global_load_ushort v4, v[4:5], off
	s_waitcnt vmcnt(1)
	v_cvt_f32_f16_e32 v21, v2
	s_waitcnt vmcnt(0)
	v_cvt_f32_f16_e32 v13, v4
	s_or_b64 exec, exec, s[22:23]
	s_and_saveexec_b64 s[22:23], s[6:7]
	s_cbranch_execz .LBB76_37
.LBB76_44:                              ;   in Loop: Header=BB76_5 Depth=1
	v_lshl_add_u64 v[4:5], v[44:45], 0, v[28:29]
	global_load_ushort v2, v[4:5], off
	v_lshl_add_u64 v[4:5], v[46:47], 0, v[28:29]
	global_load_ushort v4, v[4:5], off
	s_waitcnt vmcnt(1)
	v_cvt_f32_f16_e32 v22, v2
	s_waitcnt vmcnt(0)
	v_cvt_f32_f16_e32 v14, v4
	s_or_b64 exec, exec, s[22:23]
	s_and_saveexec_b64 s[22:23], s[6:7]
	s_cbranch_execz .LBB76_38
.LBB76_45:                              ;   in Loop: Header=BB76_5 Depth=1
	v_lshl_add_u64 v[4:5], v[40:41], 0, v[28:29]
	global_load_ushort v2, v[4:5], off
	v_lshl_add_u64 v[4:5], v[42:43], 0, v[28:29]
	global_load_ushort v4, v[4:5], off
	s_waitcnt vmcnt(1)
	v_cvt_f32_f16_e32 v23, v2
	s_waitcnt vmcnt(0)
	v_cvt_f32_f16_e32 v15, v4
	s_or_b64 exec, exec, s[22:23]
	s_and_saveexec_b64 s[22:23], s[6:7]
	s_cbranch_execz .LBB76_39
.LBB76_46:                              ;   in Loop: Header=BB76_5 Depth=1
	v_lshl_add_u64 v[4:5], v[36:37], 0, v[28:29]
	global_load_ushort v2, v[4:5], off
	v_lshl_add_u64 v[4:5], v[38:39], 0, v[28:29]
	global_load_ushort v4, v[4:5], off
	s_waitcnt vmcnt(1)
	v_cvt_f32_f16_e32 v24, v2
	s_waitcnt vmcnt(0)
	v_cvt_f32_f16_e32 v16, v4
	s_or_b64 exec, exec, s[22:23]
	s_and_saveexec_b64 s[22:23], s[6:7]
	s_cbranch_execz .LBB76_3
.LBB76_47:                              ;   in Loop: Header=BB76_5 Depth=1
	v_lshl_add_u64 v[4:5], v[32:33], 0, v[28:29]
	global_load_ushort v2, v[4:5], off
	v_lshl_add_u64 v[4:5], v[34:35], 0, v[28:29]
	global_load_ushort v4, v[4:5], off
	s_waitcnt vmcnt(1)
	v_cvt_f32_f16_e32 v25, v2
	s_waitcnt vmcnt(0)
	v_cvt_f32_f16_e32 v17, v4
	s_branch .LBB76_3
.LBB76_48:
                                        ; implicit-def: $vgpr31
	s_branch .LBB76_50
.LBB76_49:
	s_cbranch_execnz .LBB76_81
.LBB76_50:
	v_mov_b32_e32 v31, 0
	s_mov_b32 s20, 0
	s_and_b64 vcc, exec, s[4:5]
	v_mov_b32_e32 v30, v31
	s_cbranch_vccnz .LBB76_81
; %bb.51:
	v_and_b32_e32 v1, 0x3ff, v0
	v_add_u32_e32 v2, s3, v1
	v_mov_b32_e32 v3, 0
	v_bfe_u32 v96, v0, 10, 10
	v_lshlrev_b64 v[28:29], 1, v[2:3]
	v_lshlrev_b32_e32 v2, 4, v96
	v_lshl_add_u64 v[4:5], s[10:11], 1, v[2:3]
	v_lshl_add_u64 v[6:7], v[4:5], 0, 2
	v_mov_b64_e32 v[8:9], s[16:17]
	v_lshl_add_u64 v[10:11], v[4:5], 0, 4
	v_lshl_add_u64 v[12:13], v[4:5], 0, 6
	;; [unrolled: 1-line block ×6, first 2 shown]
	v_mad_u64_u32 v[32:33], s[4:5], s14, v6, v[8:9]
	v_mad_u64_u32 v[34:35], s[4:5], s14, v10, v[8:9]
	;; [unrolled: 1-line block ×7, first 2 shown]
	v_mov_b64_e32 v[8:9], s[18:19]
	v_lshlrev_b32_e32 v26, 3, v96
	v_mov_b32_e32 v27, v3
	v_mul_lo_u32 v2, s14, v7
	v_mul_lo_u32 v7, s15, v6
	v_mad_u64_u32 v[46:47], s[4:5], s14, v6, v[8:9]
	v_add3_u32 v33, v7, v33, v2
	v_mul_lo_u32 v5, s14, v5
	v_mul_lo_u32 v25, s15, v4
	v_add3_u32 v47, v7, v47, v2
	v_lshl_add_u64 v[6:7], v[26:27], 0, s[10:11]
	v_mad_u64_u32 v[58:59], s[4:5], s14, v4, v[8:9]
	v_add3_u32 v45, v25, v45, v5
	v_add3_u32 v59, v25, v59, v5
	v_lshl_add_u64 v[4:5], v[6:7], 0, 7
	v_mad_u64_u32 v[48:49], s[4:5], s14, v10, v[8:9]
	v_mad_u64_u32 v[50:51], s[4:5], s14, v12, v[8:9]
	;; [unrolled: 1-line block ×5, first 2 shown]
	v_mul_lo_u32 v8, s15, v4
	v_mul_lo_u32 v9, s14, v5
	v_mad_u64_u32 v[4:5], s[4:5], s14, v4, 0
	v_mul_lo_u32 v11, s14, v11
	v_mul_lo_u32 v20, s15, v10
	v_add3_u32 v5, v5, v9, v8
	v_lshl_add_u64 v[8:9], v[6:7], 0, 6
	v_add3_u32 v35, v20, v35, v11
	v_add3_u32 v49, v20, v49, v11
	v_mul_lo_u32 v10, s15, v8
	v_mul_lo_u32 v11, s14, v9
	v_mad_u64_u32 v[8:9], s[4:5], s14, v8, 0
	v_mul_lo_u32 v13, s14, v13
	v_mul_lo_u32 v21, s15, v12
	v_add3_u32 v9, v9, v11, v10
	v_lshl_add_u64 v[10:11], v[6:7], 0, 5
	v_add3_u32 v37, v21, v37, v13
	v_add3_u32 v51, v21, v51, v13
	;; [unrolled: 9-line block ×4, first 2 shown]
	v_mul_lo_u32 v16, s15, v14
	v_mul_lo_u32 v17, s14, v15
	v_mad_u64_u32 v[14:15], s[4:5], s14, v14, 0
	v_mul_lo_u32 v19, s14, v19
	v_mul_lo_u32 v24, s15, v18
	v_add3_u32 v15, v15, v17, v16
	v_lshl_add_u64 v[16:17], v[6:7], 0, 2
	s_load_dword s3, s[0:1], 0x44
	v_add3_u32 v43, v24, v43, v19
	v_add3_u32 v57, v24, v57, v19
	v_mul_lo_u32 v18, s15, v16
	v_mul_lo_u32 v19, s14, v17
	v_mad_u64_u32 v[16:17], s[4:5], s14, v16, 0
	v_lshlrev_b64 v[4:5], 1, v[4:5]
	v_add3_u32 v17, v17, v19, v18
	v_mov_b64_e32 v[18:19], s[14:15]
	v_lshl_add_u64 v[64:65], s[16:17], 0, v[4:5]
	v_lshl_add_u64 v[66:67], s[18:19], 0, v[4:5]
	v_lshlrev_b64 v[4:5], 1, v[8:9]
	v_mul_lo_u32 v2, s15, v6
	v_mad_u64_u32 v[18:19], s[4:5], s14, v6, v[18:19]
	v_mul_lo_u32 v20, s14, v7
	v_mad_u64_u32 v[6:7], s[4:5], s14, v6, 0
	v_lshl_add_u64 v[68:69], s[16:17], 0, v[4:5]
	v_lshl_add_u64 v[70:71], s[18:19], 0, v[4:5]
	v_lshlrev_b64 v[4:5], 1, v[10:11]
	s_add_u32 s4, s0, 64
	v_lshl_add_u64 v[72:73], s[16:17], 0, v[4:5]
	v_lshl_add_u64 v[74:75], s[18:19], 0, v[4:5]
	v_lshlrev_b64 v[4:5], 1, v[12:13]
	v_add3_u32 v7, v7, v20, v2
	v_add3_u32 v19, v2, v19, v20
	s_addc_u32 s5, s1, 0
	s_waitcnt lgkmcnt(0)
	s_lshl_b32 s6, s3, 3
	v_lshl_add_u64 v[76:77], s[16:17], 0, v[4:5]
	v_lshl_add_u64 v[78:79], s[18:19], 0, v[4:5]
	v_lshlrev_b64 v[4:5], 1, v[14:15]
	v_mbcnt_lo_u32_b32 v2, -1, 0
	s_mul_i32 s3, s15, s6
	s_mul_hi_u32 s9, s14, s6
	v_lshl_add_u64 v[80:81], s[16:17], 0, v[4:5]
	v_lshl_add_u64 v[82:83], s[18:19], 0, v[4:5]
	v_lshlrev_b64 v[4:5], 1, v[16:17]
	v_mbcnt_hi_u32_b32 v2, -1, v2
	s_add_i32 s23, s9, s3
	s_mul_i32 s22, s14, s6
	v_lshlrev_b64 v[6:7], 1, v[6:7]
	v_lshl_add_u64 v[84:85], s[16:17], 0, v[4:5]
	v_lshl_add_u64 v[86:87], s[18:19], 0, v[4:5]
	v_lshlrev_b64 v[4:5], 1, v[18:19]
	v_lshlrev_b32_e32 v2, 2, v2
	s_mov_b32 s7, s20
	s_lshl_b64 s[34:35], s[22:23], 1
	v_lshl_add_u64 v[60:61], s[16:17], 0, v[6:7]
	v_lshl_add_u64 v[62:63], s[18:19], 0, v[6:7]
	s_mov_b64 s[36:37], 7
	v_lshl_add_u64 v[88:89], s[16:17], 0, v[4:5]
	v_lshl_add_u64 v[90:91], s[18:19], 0, v[4:5]
	v_and_b32_e32 v97, 0x100, v2
	s_mov_b64 s[16:17], s[10:11]
	v_mov_b32_e32 v30, v3
	v_mov_b32_e32 v31, v3
	s_branch .LBB76_55
.LBB76_52:                              ;   in Loop: Header=BB76_55 Depth=1
	s_or_b64 exec, exec, s[22:23]
.LBB76_53:                              ;   in Loop: Header=BB76_55 Depth=1
	s_or_b64 exec, exec, s[18:19]
	v_lshl_add_u64 v[4:5], v[60:61], 0, v[28:29]
	global_load_ushort v2, v[4:5], off
	v_lshl_add_u64 v[4:5], v[62:63], 0, v[28:29]
	global_load_ushort v8, v[4:5], off
	v_lshl_add_u64 v[4:5], v[32:33], 0, v[28:29]
	global_load_ushort v9, v[4:5], off
	v_lshl_add_u64 v[4:5], v[46:47], 0, v[28:29]
	global_load_ushort v10, v[4:5], off
	v_lshl_add_u64 v[4:5], v[34:35], 0, v[28:29]
	global_load_ushort v11, v[4:5], off
	v_lshl_add_u64 v[4:5], v[48:49], 0, v[28:29]
	global_load_ushort v12, v[4:5], off
	v_lshl_add_u64 v[4:5], v[36:37], 0, v[28:29]
	global_load_ushort v13, v[4:5], off
	v_lshl_add_u64 v[4:5], v[50:51], 0, v[28:29]
	global_load_ushort v14, v[4:5], off
	v_lshl_add_u64 v[4:5], v[38:39], 0, v[28:29]
	global_load_ushort v15, v[4:5], off
	v_lshl_add_u64 v[4:5], v[52:53], 0, v[28:29]
	global_load_ushort v16, v[4:5], off
	v_lshl_add_u64 v[4:5], v[40:41], 0, v[28:29]
	global_load_ushort v17, v[4:5], off
	v_lshl_add_u64 v[4:5], v[54:55], 0, v[28:29]
	global_load_ushort v18, v[4:5], off
	v_lshl_add_u64 v[4:5], v[42:43], 0, v[28:29]
	global_load_ushort v19, v[4:5], off
	v_lshl_add_u64 v[4:5], v[56:57], 0, v[28:29]
	global_load_ushort v20, v[4:5], off
	v_lshl_add_u64 v[4:5], v[44:45], 0, v[28:29]
	global_load_ushort v21, v[4:5], off
	v_lshl_add_u64 v[4:5], v[58:59], 0, v[28:29]
	global_load_ushort v5, v[4:5], off
	s_waitcnt vmcnt(17)
	ds_bpermute_b32 v23, v97, v7
	ds_bpermute_b32 v25, v97, v7 offset:4
	ds_bpermute_b32 v31, v97, v7 offset:8
	ds_bpermute_b32 v95, v97, v7 offset:12
	ds_bpermute_b32 v99, v97, v7 offset:16
	ds_bpermute_b32 v101, v97, v7 offset:20
	ds_bpermute_b32 v103, v97, v7 offset:24
	ds_bpermute_b32 v7, v97, v7 offset:28
	s_waitcnt vmcnt(16)
	ds_bpermute_b32 v22, v97, v6
	ds_bpermute_b32 v24, v97, v6 offset:4
	ds_bpermute_b32 v30, v97, v6 offset:8
	;; [unrolled: 1-line block ×7, first 2 shown]
	s_waitcnt vmcnt(15)
	v_cvt_f32_f16_e32 v4, v2
	s_waitcnt vmcnt(14)
	v_cvt_f32_f16_e32 v2, v8
	;; [unrolled: 2-line block ×4, first 2 shown]
	s_waitcnt lgkmcnt(14)
	v_sub_f32_e32 v2, v2, v23
	s_waitcnt vmcnt(11)
	v_cvt_f32_f16_e32 v8, v11
	v_mul_f32_e32 v2, v2, v4
	s_waitcnt vmcnt(10)
	v_cvt_f32_f16_e32 v11, v12
	v_sub_f32_e32 v9, v9, v25
	s_waitcnt vmcnt(9)
	v_cvt_f32_f16_e32 v10, v13
	s_waitcnt vmcnt(8)
	v_cvt_f32_f16_e32 v13, v14
	s_waitcnt lgkmcnt(13)
	v_sub_f32_e32 v11, v11, v31
	s_waitcnt vmcnt(7)
	v_cvt_f32_f16_e32 v12, v15
	s_waitcnt vmcnt(6)
	v_cvt_f32_f16_e32 v15, v16
	s_waitcnt lgkmcnt(12)
	;; [unrolled: 6-line block ×5, first 2 shown]
	v_sub_f32_e32 v19, v19, v103
	s_waitcnt lgkmcnt(8)
	v_sub_f32_e32 v5, v5, v7
	v_mul_f32_e32 v7, v9, v6
	v_mul_f32_e32 v9, v11, v8
	v_mul_f32_e32 v11, v13, v10
	v_mul_f32_e32 v13, v15, v12
	v_mul_f32_e32 v15, v17, v14
	v_mul_f32_e32 v17, v19, v16
	v_mul_f32_e32 v19, v5, v18
	s_waitcnt lgkmcnt(7)
	v_mul_f32_e32 v5, v2, v22
	s_waitcnt lgkmcnt(6)
	v_mul_f32_e32 v7, v7, v24
	v_pk_add_f32 v[4:5], v[92:93], v[4:5]
	s_waitcnt lgkmcnt(5)
	v_mul_f32_e32 v9, v9, v30
	v_pk_add_f32 v[4:5], v[4:5], v[6:7]
	;; [unrolled: 3-line block ×7, first 2 shown]
	s_nop 0
	v_pk_add_f32 v[30:31], v[4:5], v[18:19]
.LBB76_54:                              ;   in Loop: Header=BB76_55 Depth=1
	s_add_u32 s16, s16, s6
	s_addc_u32 s17, s17, 0
	v_mov_b64_e32 v[4:5], s[12:13]
	s_add_u32 s36, s36, s6
	v_cmp_ge_i64_e32 vcc, s[16:17], v[4:5]
	v_lshl_add_u64 v[26:27], v[26:27], 0, s[6:7]
	v_lshl_add_u64 v[32:33], v[32:33], 0, s[34:35]
	;; [unrolled: 1-line block ×31, first 2 shown]
	s_addc_u32 s37, s37, 0
	s_cbranch_vccnz .LBB76_81
.LBB76_55:                              ; =>This Inner Loop Header: Depth=1
	s_add_u32 s18, s10, s36
	s_addc_u32 s19, 0, s37
	v_mov_b64_e32 v[4:5], s[12:13]
	v_cmp_ge_i64_e32 vcc, s[18:19], v[4:5]
	v_mov_b32_e32 v92, v30
	v_mov_b32_e32 v93, v31
	v_lshl_add_u64 v[94:95], s[10:11], 0, v[26:27]
	s_cbranch_vccz .LBB76_77
; %bb.56:                               ;   in Loop: Header=BB76_55 Depth=1
	s_load_dword s3, s[4:5], 0xc
	v_mov_b32_e32 v30, 0
	v_mov_b32_e32 v31, 0
	s_waitcnt lgkmcnt(0)
	s_and_b32 s3, s3, 0xffff
	v_mad_u32_u24 v2, v96, s3, v1
	v_and_b32_e32 v2, 63, v2
	v_cmp_gt_u32_e32 vcc, 8, v2
	s_and_saveexec_b64 s[18:19], vcc
	s_cbranch_execz .LBB76_60
; %bb.57:                               ;   in Loop: Header=BB76_55 Depth=1
	v_lshl_add_u64 v[4:5], v[94:95], 0, v[2:3]
	v_cmp_gt_i64_e32 vcc, s[12:13], v[4:5]
	v_mov_b32_e32 v31, 0
	v_mov_b32_e32 v30, 0
	s_and_saveexec_b64 s[22:23], vcc
	s_cbranch_execz .LBB76_59
; %bb.58:                               ;   in Loop: Header=BB76_55 Depth=1
	v_lshlrev_b64 v[4:5], 2, v[4:5]
	v_lshl_add_u64 v[6:7], s[30:31], 0, v[4:5]
	v_lshl_add_u64 v[4:5], s[28:29], 0, v[4:5]
	global_load_dword v31, v[4:5], off
	global_load_dword v30, v[6:7], off
.LBB76_59:                              ;   in Loop: Header=BB76_55 Depth=1
	s_or_b64 exec, exec, s[22:23]
.LBB76_60:                              ;   in Loop: Header=BB76_55 Depth=1
	s_or_b64 exec, exec, s[18:19]
	s_mov_b32 s21, s20
	s_mov_b32 s22, s20
	;; [unrolled: 1-line block ×7, first 2 shown]
	v_mov_b64_e32 v[10:11], s[20:21]
	v_mov_b64_e32 v[16:17], s[26:27]
	;; [unrolled: 1-line block ×5, first 2 shown]
	v_cmp_gt_i64_e32 vcc, s[12:13], v[94:95]
	v_mov_b64_e32 v[22:23], v[14:15]
	v_mov_b64_e32 v[20:21], v[12:13]
	v_mov_b64_e32 v[18:19], v[10:11]
	s_and_saveexec_b64 s[18:19], vcc
	s_cbranch_execz .LBB76_62
; %bb.61:                               ;   in Loop: Header=BB76_55 Depth=1
	v_lshl_add_u64 v[4:5], v[60:61], 0, v[28:29]
	global_load_ushort v2, v[4:5], off
	v_lshl_add_u64 v[4:5], v[62:63], 0, v[28:29]
	global_load_ushort v10, v[4:5], off
	v_mov_b32_e32 v8, v3
	v_mov_b32_e32 v9, v3
	;; [unrolled: 1-line block ×13, first 2 shown]
	s_waitcnt vmcnt(1)
	v_cvt_f32_f16_e32 v2, v2
	v_mov_b64_e32 v[24:25], v[8:9]
	s_waitcnt vmcnt(0)
	v_cvt_f32_f16_e32 v10, v10
	v_mov_b64_e32 v[22:23], v[6:7]
	v_mov_b64_e32 v[20:21], v[4:5]
	;; [unrolled: 1-line block ×3, first 2 shown]
.LBB76_62:                              ;   in Loop: Header=BB76_55 Depth=1
	s_or_b64 exec, exec, s[18:19]
	v_lshl_add_u64 v[4:5], v[94:95], 0, 1
	v_cmp_gt_i64_e32 vcc, s[12:13], v[4:5]
	s_and_saveexec_b64 s[18:19], vcc
	s_cbranch_execz .LBB76_64
; %bb.63:                               ;   in Loop: Header=BB76_55 Depth=1
	v_lshl_add_u64 v[4:5], v[88:89], 0, v[28:29]
	global_load_ushort v2, v[4:5], off
	v_lshl_add_u64 v[4:5], v[90:91], 0, v[28:29]
	global_load_ushort v4, v[4:5], off
	s_waitcnt vmcnt(1)
	v_cvt_f32_f16_e32 v19, v2
	s_waitcnt vmcnt(0)
	v_cvt_f32_f16_e32 v11, v4
.LBB76_64:                              ;   in Loop: Header=BB76_55 Depth=1
	s_or_b64 exec, exec, s[18:19]
	v_lshl_add_u64 v[4:5], v[94:95], 0, 2
	v_cmp_gt_i64_e32 vcc, s[12:13], v[4:5]
	s_and_saveexec_b64 s[18:19], vcc
	s_cbranch_execz .LBB76_66
; %bb.65:                               ;   in Loop: Header=BB76_55 Depth=1
	v_lshl_add_u64 v[4:5], v[84:85], 0, v[28:29]
	global_load_ushort v2, v[4:5], off
	v_lshl_add_u64 v[4:5], v[86:87], 0, v[28:29]
	global_load_ushort v4, v[4:5], off
	s_waitcnt vmcnt(1)
	v_cvt_f32_f16_e32 v20, v2
	s_waitcnt vmcnt(0)
	v_cvt_f32_f16_e32 v12, v4
.LBB76_66:                              ;   in Loop: Header=BB76_55 Depth=1
	;; [unrolled: 15-line block ×7, first 2 shown]
	s_or_b64 exec, exec, s[18:19]
	s_waitcnt vmcnt(1)
	ds_bpermute_b32 v2, v97, v31
	s_waitcnt vmcnt(0)
	ds_bpermute_b32 v4, v97, v30
	ds_bpermute_b32 v7, v97, v31 offset:4
	ds_bpermute_b32 v6, v97, v30 offset:4
	;; [unrolled: 1-line block ×3, first 2 shown]
	s_waitcnt lgkmcnt(4)
	v_sub_f32_e32 v2, v10, v2
	v_mul_f32_e32 v2, v18, v2
	s_waitcnt lgkmcnt(3)
	v_mul_f32_e32 v5, v2, v4
	ds_bpermute_b32 v4, v97, v30 offset:8
	s_waitcnt lgkmcnt(3)
	v_sub_f32_e32 v2, v11, v7
	v_mul_f32_e32 v2, v19, v2
	s_waitcnt lgkmcnt(2)
	v_mul_f32_e32 v7, v2, v6
	s_waitcnt lgkmcnt(1)
	v_sub_f32_e32 v2, v12, v8
	ds_bpermute_b32 v6, v97, v31 offset:12
	v_mul_f32_e32 v2, v20, v2
	s_waitcnt lgkmcnt(1)
	v_mul_f32_e32 v9, v2, v4
	ds_bpermute_b32 v2, v97, v30 offset:12
	ds_bpermute_b32 v4, v97, v31 offset:16
	;; [unrolled: 1-line block ×3, first 2 shown]
	s_waitcnt lgkmcnt(3)
	v_sub_f32_e32 v6, v13, v6
	v_mul_f32_e32 v6, v21, v6
	s_waitcnt lgkmcnt(2)
	v_mul_f32_e32 v11, v6, v2
	s_waitcnt lgkmcnt(1)
	v_sub_f32_e32 v2, v14, v4
	ds_bpermute_b32 v4, v97, v31 offset:20
	v_mul_f32_e32 v2, v22, v2
	s_waitcnt lgkmcnt(1)
	v_mul_f32_e32 v13, v2, v8
	ds_bpermute_b32 v2, v97, v30 offset:20
	ds_bpermute_b32 v6, v97, v31 offset:24
	;; [unrolled: 1-line block ×3, first 2 shown]
	s_waitcnt lgkmcnt(3)
	v_sub_f32_e32 v4, v15, v4
	v_mul_f32_e32 v4, v23, v4
	s_waitcnt lgkmcnt(2)
	v_mul_f32_e32 v15, v4, v2
	s_waitcnt lgkmcnt(1)
	v_sub_f32_e32 v2, v16, v6
	v_mul_f32_e32 v2, v24, v2
	s_waitcnt lgkmcnt(0)
	v_mul_f32_e32 v99, v2, v8
	v_mov_b32_e32 v4, v18
	ds_bpermute_b32 v2, v97, v31 offset:28
	v_pk_add_f32 v[4:5], v[92:93], v[4:5]
	v_mov_b32_e32 v6, v19
	v_pk_add_f32 v[4:5], v[6:7], v[4:5]
	v_mov_b32_e32 v8, v20
	ds_bpermute_b32 v6, v97, v30 offset:28
	v_pk_add_f32 v[4:5], v[8:9], v[4:5]
	v_mov_b32_e32 v10, v21
	v_pk_add_f32 v[4:5], v[10:11], v[4:5]
	v_mov_b32_e32 v12, v22
	;; [unrolled: 2-line block ×3, first 2 shown]
	s_waitcnt lgkmcnt(1)
	v_sub_f32_e32 v2, v17, v2
	v_pk_add_f32 v[4:5], v[14:15], v[4:5]
	v_mov_b32_e32 v98, v24
	v_mul_f32_e32 v2, v25, v2
	v_pk_add_f32 v[4:5], v[98:99], v[4:5]
	s_waitcnt lgkmcnt(0)
	v_mul_f32_e32 v7, v2, v6
	v_mov_b32_e32 v6, v25
	v_pk_add_f32 v[30:31], v[6:7], v[4:5]
	s_branch .LBB76_54
.LBB76_77:                              ;   in Loop: Header=BB76_55 Depth=1
                                        ; implicit-def: $vgpr31
	s_cbranch_execz .LBB76_54
; %bb.78:                               ;   in Loop: Header=BB76_55 Depth=1
	s_load_dword s3, s[4:5], 0x0
	v_mov_b32_e32 v6, 0
	v_mov_b32_e32 v7, 0
	s_waitcnt lgkmcnt(0)
	s_cmp_lt_u32 s2, s3
	s_cselect_b32 s3, 12, 18
	s_add_u32 s18, s4, s3
	s_addc_u32 s19, s5, 0
	global_load_ushort v2, v3, s[18:19]
	s_waitcnt vmcnt(0)
	v_mad_u32_u24 v2, v96, v2, v1
	v_and_b32_e32 v2, 63, v2
	v_cmp_gt_u32_e32 vcc, 8, v2
	s_and_saveexec_b64 s[18:19], vcc
	s_cbranch_execz .LBB76_53
; %bb.79:                               ;   in Loop: Header=BB76_55 Depth=1
	v_lshl_add_u64 v[4:5], v[94:95], 0, v[2:3]
	v_cmp_gt_i64_e32 vcc, s[12:13], v[4:5]
	v_mov_b32_e32 v7, 0
	v_mov_b32_e32 v6, 0
	s_and_saveexec_b64 s[22:23], vcc
	s_cbranch_execz .LBB76_52
; %bb.80:                               ;   in Loop: Header=BB76_55 Depth=1
	v_lshlrev_b64 v[4:5], 2, v[4:5]
	v_lshl_add_u64 v[8:9], s[30:31], 0, v[4:5]
	v_lshl_add_u64 v[4:5], s[28:29], 0, v[4:5]
	global_load_dword v7, v[4:5], off
	global_load_dword v6, v[8:9], off
	s_branch .LBB76_52
.LBB76_81:
	s_mov_b32 s3, 0
	s_lshl_b64 s[2:3], s[2:3], 6
	v_and_b32_e32 v1, 0x3ff, v0
	v_or_b32_e32 v2, s2, v1
	v_mov_b32_e32 v3, s3
	v_cmp_gt_i64_e32 vcc, s[14:15], v[2:3]
	s_and_saveexec_b64 s[2:3], vcc
	s_cbranch_execz .LBB76_86
; %bb.82:
	s_load_dword s2, s[0:1], 0x4c
	s_load_dwordx4 s[4:7], s[0:1], 0x30
	v_bfe_u32 v0, v0, 10, 10
	v_mov_b32_e32 v1, 0
	v_mov_b32_e32 v4, s8
	s_waitcnt lgkmcnt(0)
	s_lshr_b32 s0, s2, 16
	v_mad_u64_u32 v[0:1], s[0:1], s0, v4, v[0:1]
	s_cmp_eq_u64 s[4:5], 0
	v_mul_lo_u32 v1, v1, s14
	v_mul_lo_u32 v4, v0, s15
	s_cbranch_scc1 .LBB76_84
; %bb.83:
	v_cvt_f16_f32_e32 v5, v31
	v_mad_u64_u32 v[6:7], s[0:1], v0, s14, 0
	v_add3_u32 v7, v7, v4, v1
	v_lshl_add_u64 v[6:7], v[6:7], 1, s[4:5]
	v_lshl_add_u64 v[6:7], v[2:3], 1, v[6:7]
	global_store_short v[6:7], v5, off
.LBB76_84:
	s_cmp_eq_u64 s[6:7], 0
	s_cbranch_scc1 .LBB76_86
; %bb.85:
	v_cvt_f16_f32_e32 v5, v30
	v_mad_u64_u32 v[6:7], s[0:1], v0, s14, 0
	v_add3_u32 v7, v7, v4, v1
	v_lshl_add_u64 v[0:1], v[6:7], 1, s[6:7]
	v_lshl_add_u64 v[0:1], v[2:3], 1, v[0:1]
	global_store_short v[0:1], v5, off
.LBB76_86:
	s_endpgm
	.section	.rodata,"a",@progbits
	.p2align	6, 0x0
	.amdhsa_kernel _ZN2at6native12_GLOBAL__N_135GammaBetaBackwardCUDAKernelTemplateIN3c104HalfEfLj64ELj1ELj8ELb1ELb0ELb0EEEvllPKT_S7_PKT0_SA_PS5_SB_
		.amdhsa_group_segment_fixed_size 0
		.amdhsa_private_segment_fixed_size 0
		.amdhsa_kernarg_size 320
		.amdhsa_user_sgpr_count 2
		.amdhsa_user_sgpr_dispatch_ptr 0
		.amdhsa_user_sgpr_queue_ptr 0
		.amdhsa_user_sgpr_kernarg_segment_ptr 1
		.amdhsa_user_sgpr_dispatch_id 0
		.amdhsa_user_sgpr_kernarg_preload_length 0
		.amdhsa_user_sgpr_kernarg_preload_offset 0
		.amdhsa_user_sgpr_private_segment_size 0
		.amdhsa_uses_dynamic_stack 0
		.amdhsa_enable_private_segment 0
		.amdhsa_system_sgpr_workgroup_id_x 1
		.amdhsa_system_sgpr_workgroup_id_y 1
		.amdhsa_system_sgpr_workgroup_id_z 0
		.amdhsa_system_sgpr_workgroup_info 0
		.amdhsa_system_vgpr_workitem_id 1
		.amdhsa_next_free_vgpr 105
		.amdhsa_next_free_sgpr 46
		.amdhsa_accum_offset 108
		.amdhsa_reserve_vcc 1
		.amdhsa_float_round_mode_32 0
		.amdhsa_float_round_mode_16_64 0
		.amdhsa_float_denorm_mode_32 3
		.amdhsa_float_denorm_mode_16_64 3
		.amdhsa_dx10_clamp 1
		.amdhsa_ieee_mode 1
		.amdhsa_fp16_overflow 0
		.amdhsa_tg_split 0
		.amdhsa_exception_fp_ieee_invalid_op 0
		.amdhsa_exception_fp_denorm_src 0
		.amdhsa_exception_fp_ieee_div_zero 0
		.amdhsa_exception_fp_ieee_overflow 0
		.amdhsa_exception_fp_ieee_underflow 0
		.amdhsa_exception_fp_ieee_inexact 0
		.amdhsa_exception_int_div_zero 0
	.end_amdhsa_kernel
	.section	.text._ZN2at6native12_GLOBAL__N_135GammaBetaBackwardCUDAKernelTemplateIN3c104HalfEfLj64ELj1ELj8ELb1ELb0ELb0EEEvllPKT_S7_PKT0_SA_PS5_SB_,"axG",@progbits,_ZN2at6native12_GLOBAL__N_135GammaBetaBackwardCUDAKernelTemplateIN3c104HalfEfLj64ELj1ELj8ELb1ELb0ELb0EEEvllPKT_S7_PKT0_SA_PS5_SB_,comdat
.Lfunc_end76:
	.size	_ZN2at6native12_GLOBAL__N_135GammaBetaBackwardCUDAKernelTemplateIN3c104HalfEfLj64ELj1ELj8ELb1ELb0ELb0EEEvllPKT_S7_PKT0_SA_PS5_SB_, .Lfunc_end76-_ZN2at6native12_GLOBAL__N_135GammaBetaBackwardCUDAKernelTemplateIN3c104HalfEfLj64ELj1ELj8ELb1ELb0ELb0EEEvllPKT_S7_PKT0_SA_PS5_SB_
                                        ; -- End function
	.section	.AMDGPU.csdata,"",@progbits
; Kernel info:
; codeLenInByte = 7096
; NumSgprs: 52
; NumVgprs: 105
; NumAgprs: 0
; TotalNumVgprs: 105
; ScratchSize: 0
; MemoryBound: 0
; FloatMode: 240
; IeeeMode: 1
; LDSByteSize: 0 bytes/workgroup (compile time only)
; SGPRBlocks: 6
; VGPRBlocks: 13
; NumSGPRsForWavesPerEU: 52
; NumVGPRsForWavesPerEU: 105
; AccumOffset: 108
; Occupancy: 4
; WaveLimiterHint : 0
; COMPUTE_PGM_RSRC2:SCRATCH_EN: 0
; COMPUTE_PGM_RSRC2:USER_SGPR: 2
; COMPUTE_PGM_RSRC2:TRAP_HANDLER: 0
; COMPUTE_PGM_RSRC2:TGID_X_EN: 1
; COMPUTE_PGM_RSRC2:TGID_Y_EN: 1
; COMPUTE_PGM_RSRC2:TGID_Z_EN: 0
; COMPUTE_PGM_RSRC2:TIDIG_COMP_CNT: 1
; COMPUTE_PGM_RSRC3_GFX90A:ACCUM_OFFSET: 26
; COMPUTE_PGM_RSRC3_GFX90A:TG_SPLIT: 0
	.section	.text._ZN2at6native12_GLOBAL__N_135GammaBetaBackwardCUDAKernelTemplateIN3c104HalfEfLj64ELj8ELj64ELb0ELb1ELb0EEEvllPKT_S7_PKT0_SA_PS5_SB_,"axG",@progbits,_ZN2at6native12_GLOBAL__N_135GammaBetaBackwardCUDAKernelTemplateIN3c104HalfEfLj64ELj8ELj64ELb0ELb1ELb0EEEvllPKT_S7_PKT0_SA_PS5_SB_,comdat
	.globl	_ZN2at6native12_GLOBAL__N_135GammaBetaBackwardCUDAKernelTemplateIN3c104HalfEfLj64ELj8ELj64ELb0ELb1ELb0EEEvllPKT_S7_PKT0_SA_PS5_SB_ ; -- Begin function _ZN2at6native12_GLOBAL__N_135GammaBetaBackwardCUDAKernelTemplateIN3c104HalfEfLj64ELj8ELj64ELb0ELb1ELb0EEEvllPKT_S7_PKT0_SA_PS5_SB_
	.p2align	8
	.type	_ZN2at6native12_GLOBAL__N_135GammaBetaBackwardCUDAKernelTemplateIN3c104HalfEfLj64ELj8ELj64ELb0ELb1ELb0EEEvllPKT_S7_PKT0_SA_PS5_SB_,@function
_ZN2at6native12_GLOBAL__N_135GammaBetaBackwardCUDAKernelTemplateIN3c104HalfEfLj64ELj8ELj64ELb0ELb1ELb0EEEvllPKT_S7_PKT0_SA_PS5_SB_: ; @_ZN2at6native12_GLOBAL__N_135GammaBetaBackwardCUDAKernelTemplateIN3c104HalfEfLj64ELj8ELj64ELb0ELb1ELb0EEEvllPKT_S7_PKT0_SA_PS5_SB_
; %bb.0:
	s_load_dwordx4 s[16:19], s[0:1], 0x0
	s_lshl_b32 s6, s3, 6
	s_mov_b32 s7, 0
	v_bfe_u32 v12, v0, 10, 10
	s_waitcnt lgkmcnt(0)
	v_mov_b64_e32 v[2:3], s[16:17]
	v_cmp_lt_i64_e32 vcc, s[6:7], v[2:3]
	s_cbranch_vccnz .LBB77_2
; %bb.1:
	s_mov_b64 s[4:5], 0
	v_bfe_u32 v4, v0, 10, 10
	s_branch .LBB77_3
.LBB77_2:
	s_mov_b64 s[4:5], -1
                                        ; implicit-def: $vgpr4
.LBB77_3:
	v_and_b32_e32 v10, 0x3ff, v0
	s_andn2_b64 vcc, exec, s[4:5]
	v_mov_b32_e32 v1, s7
	v_mbcnt_lo_u32_b32 v11, -1, 0
	v_mov_b32_e32 v0, s7
	s_cbranch_vccnz .LBB77_11
; %bb.4:
	s_load_dword s3, s[0:1], 0x4c
	s_load_dword s20, s[0:1], 0x44
	s_load_dwordx8 s[8:15], s[0:1], 0x10
	v_lshlrev_b32_e32 v0, 3, v12
	v_mbcnt_hi_u32_b32 v4, -1, v11
	s_waitcnt lgkmcnt(0)
	s_and_b32 s3, s3, 0xffff
	v_mad_u32_u24 v1, v12, s3, v10
	v_and_b32_e32 v2, 63, v1
	v_mov_b32_e32 v1, 0
	v_mov_b32_e32 v3, v1
	v_lshl_add_u64 v[8:9], v[0:1], 0, s[6:7]
	v_cmp_gt_u32_e64 s[4:5], 8, v2
	s_lshl_b32 s20, s20, 6
	v_lshl_add_u64 v[2:3], v[8:9], 0, v[2:3]
	v_mul_lo_u32 v0, s19, v8
	v_mul_lo_u32 v21, s18, v9
	v_mad_u64_u32 v[8:9], s[24:25], s18, v8, 0
	v_lshl_add_u32 v6, s2, 6, v10
	v_mov_b32_e32 v7, v1
	v_lshlrev_b32_e32 v4, 2, v4
	s_mul_i32 s3, s19, s20
	s_mul_hi_u32 s24, s18, s20
	s_mov_b32 s21, 0
	v_and_b32_e32 v13, 0x100, v4
	v_add3_u32 v9, v9, v21, v0
	v_lshlrev_b64 v[6:7], 1, v[6:7]
	s_add_i32 s25, s24, s3
	s_mul_i32 s24, s18, s20
	v_or_b32_e32 v14, 4, v13
	v_or_b32_e32 v15, 8, v13
	;; [unrolled: 1-line block ×7, first 2 shown]
	v_lshlrev_b64 v[4:5], 2, v[2:3]
	s_lshl_b64 s[22:23], s[20:21], 2
	v_lshl_add_u64 v[6:7], v[8:9], 1, v[6:7]
	s_lshl_b64 s[24:25], s[24:25], 1
	s_lshl_b64 s[18:19], s[18:19], 1
	v_mov_b64_e32 v[8:9], s[16:17]
	v_mov_b32_e32 v0, v1
	s_branch .LBB77_7
.LBB77_5:                               ;   in Loop: Header=BB77_7 Depth=1
	s_or_b64 exec, exec, s[28:29]
.LBB77_6:                               ;   in Loop: Header=BB77_7 Depth=1
	s_or_b64 exec, exec, s[26:27]
	v_lshl_add_u64 v[24:25], s[8:9], 0, v[6:7]
	global_load_ushort v23, v[24:25], off
	v_lshl_add_u64 v[26:27], s[10:11], 0, v[6:7]
	v_lshl_add_u64 v[24:25], v[24:25], 0, s[18:19]
	global_load_ushort v28, v[26:27], off
	global_load_ushort v29, v[24:25], off
	v_lshl_add_u64 v[26:27], v[26:27], 0, s[18:19]
	v_lshl_add_u64 v[24:25], v[24:25], 0, s[18:19]
	global_load_ushort v30, v[26:27], off
	;; [unrolled: 4-line block ×7, first 2 shown]
	global_load_ushort v41, v[24:25], off
	v_lshl_add_u64 v[24:25], v[26:27], 0, s[18:19]
	global_load_ushort v25, v[24:25], off
	s_waitcnt vmcnt(17)
	ds_bpermute_b32 v42, v13, v21
	s_waitcnt vmcnt(16)
	ds_bpermute_b32 v27, v13, v22
	ds_bpermute_b32 v43, v14, v22
	;; [unrolled: 1-line block ×15, first 2 shown]
	s_add_u32 s6, s6, s20
	s_addc_u32 s7, s7, 0
	v_cmp_lt_i64_e32 vcc, s[6:7], v[8:9]
	v_lshl_add_u64 v[4:5], v[4:5], 0, s[22:23]
	v_lshl_add_u64 v[2:3], v[2:3], 0, s[20:21]
	;; [unrolled: 1-line block ×3, first 2 shown]
	s_and_b64 vcc, exec, vcc
	s_waitcnt vmcnt(15)
	v_cvt_f32_f16_e32 v22, v23
	s_waitcnt vmcnt(14)
	v_cvt_f32_f16_e32 v23, v28
	s_waitcnt vmcnt(13)
	v_cvt_f32_f16_e32 v24, v29
	s_waitcnt vmcnt(12)
	v_cvt_f32_f16_e32 v29, v30
	s_waitcnt vmcnt(11)
	v_cvt_f32_f16_e32 v26, v31
	s_waitcnt lgkmcnt(14)
	v_sub_f32_e32 v23, v23, v42
	v_mul_f32_e32 v23, v23, v22
	s_waitcnt vmcnt(10)
	v_cvt_f32_f16_e32 v31, v32
	s_waitcnt vmcnt(9)
	v_cvt_f32_f16_e32 v28, v33
	s_waitcnt lgkmcnt(12)
	v_sub_f32_e32 v29, v29, v44
	v_mul_f32_e32 v23, v23, v27
	s_waitcnt vmcnt(8)
	v_cvt_f32_f16_e32 v33, v34
	s_waitcnt vmcnt(7)
	v_cvt_f32_f16_e32 v30, v35
	v_mul_f32_e32 v27, v29, v24
	s_waitcnt lgkmcnt(5)
	v_sub_f32_e32 v29, v31, v46
	s_waitcnt vmcnt(6)
	v_cvt_f32_f16_e32 v35, v36
	s_waitcnt vmcnt(5)
	v_cvt_f32_f16_e32 v32, v37
	v_pk_add_f32 v[0:1], v[0:1], v[22:23]
	s_waitcnt vmcnt(4)
	v_cvt_f32_f16_e32 v37, v38
	s_waitcnt vmcnt(3)
	v_cvt_f32_f16_e32 v34, v39
	s_waitcnt lgkmcnt(3)
	v_sub_f32_e32 v23, v35, v50
	s_waitcnt vmcnt(2)
	v_cvt_f32_f16_e32 v38, v40
	s_waitcnt vmcnt(1)
	v_cvt_f32_f16_e32 v36, v41
	;; [unrolled: 2-line block ×3, first 2 shown]
	v_mul_f32_e32 v25, v27, v43
	v_mul_f32_e32 v27, v29, v26
	v_sub_f32_e32 v29, v33, v48
	v_mul_f32_e32 v27, v27, v45
	v_mul_f32_e32 v22, v29, v28
	v_pk_add_f32 v[0:1], v[0:1], v[24:25]
	v_mul_f32_e32 v29, v22, v47
	v_mul_f32_e32 v22, v23, v30
	s_waitcnt lgkmcnt(2)
	v_sub_f32_e32 v23, v37, v52
	v_pk_add_f32 v[0:1], v[0:1], v[26:27]
	v_mul_f32_e32 v31, v22, v49
	v_mul_f32_e32 v22, v23, v32
	s_waitcnt lgkmcnt(1)
	v_sub_f32_e32 v23, v38, v54
	v_pk_add_f32 v[0:1], v[0:1], v[28:29]
	v_mul_f32_e32 v33, v22, v51
	v_mul_f32_e32 v22, v23, v34
	v_pk_add_f32 v[0:1], v[0:1], v[30:31]
	s_waitcnt lgkmcnt(0)
	v_sub_f32_e32 v21, v39, v21
	v_mul_f32_e32 v35, v22, v53
	v_pk_add_f32 v[0:1], v[0:1], v[32:33]
	v_mul_f32_e32 v21, v21, v36
	v_pk_add_f32 v[0:1], v[0:1], v[34:35]
	;; [unrolled: 2-line block ×3, first 2 shown]
	s_cbranch_vccz .LBB77_10
.LBB77_7:                               ; =>This Inner Loop Header: Depth=1
	v_mov_b32_e32 v22, 0
	v_mov_b32_e32 v21, 0
	s_and_saveexec_b64 s[26:27], s[4:5]
	s_cbranch_execz .LBB77_6
; %bb.8:                                ;   in Loop: Header=BB77_7 Depth=1
	v_cmp_gt_i64_e32 vcc, s[16:17], v[2:3]
	v_mov_b32_e32 v21, 0
	v_mov_b32_e32 v22, 0
	s_and_saveexec_b64 s[28:29], vcc
	s_cbranch_execz .LBB77_5
; %bb.9:                                ;   in Loop: Header=BB77_7 Depth=1
	v_lshl_add_u64 v[26:27], s[12:13], 0, v[4:5]
	v_lshl_add_u64 v[24:25], s[14:15], 0, v[4:5]
	global_load_dword v21, v[26:27], off
	global_load_dword v22, v[24:25], off
	s_branch .LBB77_5
.LBB77_10:
	v_mov_b32_e32 v4, v12
.LBB77_11:
	s_load_dwordx4 s[4:7], s[0:1], 0x30
	s_movk_i32 s0, 0x41
	v_mad_u32_u24 v2, v4, s0, v10
	v_lshl_add_u32 v2, v2, 2, 0
	v_lshrrev_b32_e32 v12, 6, v10
	ds_write_b32 v2, v1
	ds_write_b32 v2, v0 offset:2080
	v_add_u32_e32 v0, v12, v4
	s_mov_b32 s3, 0
	v_cmp_gt_u32_e32 vcc, 64, v0
	s_waitcnt lgkmcnt(0)
	s_barrier
	s_and_saveexec_b64 s[0:1], vcc
	s_cbranch_execz .LBB77_21
; %bb.12:
	v_and_b32_e32 v1, 63, v10
	v_cmp_gt_u32_e64 s[0:1], 8, v1
	v_mul_u32_u24_e32 v13, 0x41, v1
	v_mbcnt_hi_u32_b32 v1, -1, v11
	v_and_b32_e32 v2, 64, v1
	v_add_u32_e32 v2, 64, v2
	v_xor_b32_e32 v3, 4, v1
	v_cmp_lt_i32_e32 vcc, v3, v2
	s_lshl_b64 s[10:11], s[2:3], 6
	v_mov_b32_e32 v5, 0
	v_cndmask_b32_e32 v3, v1, v3, vcc
	v_lshlrev_b32_e32 v6, 2, v3
	v_xor_b32_e32 v3, 2, v1
	v_cmp_lt_i32_e32 vcc, v3, v2
	v_add_u32_e32 v9, -8, v0
	v_or_b32_e32 v0, s10, v12
	v_cndmask_b32_e32 v3, v1, v3, vcc
	v_lshlrev_b32_e32 v7, 2, v3
	v_xor_b32_e32 v3, 1, v1
	v_cmp_lt_i32_e32 vcc, v3, v2
	s_cmp_lg_u64 s[4:5], 0
	s_cselect_b64 s[12:13], -1, 0
	v_cndmask_b32_e32 v1, v1, v3, vcc
	v_lshlrev_b32_e32 v8, 2, v1
	v_mov_b32_e32 v1, s11
	v_lshl_add_u64 v[0:1], v[0:1], 0, v[4:5]
	s_cmp_lg_u64 s[6:7], 0
	v_lshlrev_b64 v[2:3], 1, v[0:1]
	v_add3_u32 v4, v13, v4, v12
	v_cmp_eq_u32_e64 s[2:3], 0, v10
	v_lshl_add_u64 v[0:1], s[6:7], 0, v[2:3]
	v_lshl_add_u32 v10, v4, 2, 0
	v_cndmask_b32_e64 v4, 0, 1, s[12:13]
	s_cselect_b64 s[6:7], -1, 0
	v_lshl_add_u64 v[2:3], s[4:5], 0, v[2:3]
	v_cmp_ne_u32_e64 s[4:5], 1, v4
	v_cndmask_b32_e64 v4, 0, 1, s[6:7]
	s_mov_b64 s[8:9], 0
	v_cmp_ne_u32_e64 s[6:7], 1, v4
                                        ; implicit-def: $vgpr4
	s_branch .LBB77_14
.LBB77_13:                              ;   in Loop: Header=BB77_14 Depth=1
	s_or_b64 exec, exec, s[10:11]
	v_add_u32_e32 v9, 8, v9
	v_cmp_lt_u32_e32 vcc, 55, v9
	v_lshl_add_u64 v[0:1], v[0:1], 0, 16
	v_lshl_add_u64 v[2:3], v[2:3], 0, 16
	s_or_b64 s[8:9], vcc, s[8:9]
	v_add_u32_e32 v10, 32, v10
	s_andn2_b64 exec, exec, s[8:9]
	s_cbranch_execz .LBB77_21
.LBB77_14:                              ; =>This Inner Loop Header: Depth=1
	s_and_saveexec_b64 s[10:11], s[0:1]
	s_cbranch_execz .LBB77_16
; %bb.15:                               ;   in Loop: Header=BB77_14 Depth=1
	ds_read_b32 v5, v10
	ds_read_b32 v4, v10 offset:2080
.LBB77_16:                              ;   in Loop: Header=BB77_14 Depth=1
	s_or_b64 exec, exec, s[10:11]
	s_waitcnt lgkmcnt(1)
	ds_bpermute_b32 v13, v6, v5
	s_waitcnt lgkmcnt(1)
	ds_bpermute_b32 v12, v6, v4
	s_waitcnt lgkmcnt(0)
	v_pk_add_f32 v[4:5], v[4:5], v[12:13]
	ds_bpermute_b32 v13, v7, v5
	ds_bpermute_b32 v12, v7, v4
	s_waitcnt lgkmcnt(0)
	v_pk_add_f32 v[4:5], v[4:5], v[12:13]
	ds_bpermute_b32 v13, v8, v5
	ds_bpermute_b32 v12, v8, v4
	s_waitcnt lgkmcnt(0)
	v_pk_add_f32 v[4:5], v[4:5], v[12:13]
	s_and_saveexec_b64 s[10:11], s[2:3]
	s_cbranch_execz .LBB77_13
; %bb.17:                               ;   in Loop: Header=BB77_14 Depth=1
	s_and_b64 vcc, exec, s[4:5]
	s_cbranch_vccnz .LBB77_19
; %bb.18:                               ;   in Loop: Header=BB77_14 Depth=1
	v_cvt_f16_f32_e32 v11, v5
	global_store_short v[2:3], v11, off
.LBB77_19:                              ;   in Loop: Header=BB77_14 Depth=1
	s_and_b64 vcc, exec, s[6:7]
	s_cbranch_vccnz .LBB77_13
; %bb.20:                               ;   in Loop: Header=BB77_14 Depth=1
	v_cvt_f16_f32_e32 v11, v4
	global_store_short v[0:1], v11, off
	s_branch .LBB77_13
.LBB77_21:
	s_endpgm
	.section	.rodata,"a",@progbits
	.p2align	6, 0x0
	.amdhsa_kernel _ZN2at6native12_GLOBAL__N_135GammaBetaBackwardCUDAKernelTemplateIN3c104HalfEfLj64ELj8ELj64ELb0ELb1ELb0EEEvllPKT_S7_PKT0_SA_PS5_SB_
		.amdhsa_group_segment_fixed_size 0
		.amdhsa_private_segment_fixed_size 0
		.amdhsa_kernarg_size 320
		.amdhsa_user_sgpr_count 2
		.amdhsa_user_sgpr_dispatch_ptr 0
		.amdhsa_user_sgpr_queue_ptr 0
		.amdhsa_user_sgpr_kernarg_segment_ptr 1
		.amdhsa_user_sgpr_dispatch_id 0
		.amdhsa_user_sgpr_kernarg_preload_length 0
		.amdhsa_user_sgpr_kernarg_preload_offset 0
		.amdhsa_user_sgpr_private_segment_size 0
		.amdhsa_uses_dynamic_stack 0
		.amdhsa_enable_private_segment 0
		.amdhsa_system_sgpr_workgroup_id_x 1
		.amdhsa_system_sgpr_workgroup_id_y 1
		.amdhsa_system_sgpr_workgroup_id_z 0
		.amdhsa_system_sgpr_workgroup_info 0
		.amdhsa_system_vgpr_workitem_id 1
		.amdhsa_next_free_vgpr 56
		.amdhsa_next_free_sgpr 30
		.amdhsa_accum_offset 56
		.amdhsa_reserve_vcc 1
		.amdhsa_float_round_mode_32 0
		.amdhsa_float_round_mode_16_64 0
		.amdhsa_float_denorm_mode_32 3
		.amdhsa_float_denorm_mode_16_64 3
		.amdhsa_dx10_clamp 1
		.amdhsa_ieee_mode 1
		.amdhsa_fp16_overflow 0
		.amdhsa_tg_split 0
		.amdhsa_exception_fp_ieee_invalid_op 0
		.amdhsa_exception_fp_denorm_src 0
		.amdhsa_exception_fp_ieee_div_zero 0
		.amdhsa_exception_fp_ieee_overflow 0
		.amdhsa_exception_fp_ieee_underflow 0
		.amdhsa_exception_fp_ieee_inexact 0
		.amdhsa_exception_int_div_zero 0
	.end_amdhsa_kernel
	.section	.text._ZN2at6native12_GLOBAL__N_135GammaBetaBackwardCUDAKernelTemplateIN3c104HalfEfLj64ELj8ELj64ELb0ELb1ELb0EEEvllPKT_S7_PKT0_SA_PS5_SB_,"axG",@progbits,_ZN2at6native12_GLOBAL__N_135GammaBetaBackwardCUDAKernelTemplateIN3c104HalfEfLj64ELj8ELj64ELb0ELb1ELb0EEEvllPKT_S7_PKT0_SA_PS5_SB_,comdat
.Lfunc_end77:
	.size	_ZN2at6native12_GLOBAL__N_135GammaBetaBackwardCUDAKernelTemplateIN3c104HalfEfLj64ELj8ELj64ELb0ELb1ELb0EEEvllPKT_S7_PKT0_SA_PS5_SB_, .Lfunc_end77-_ZN2at6native12_GLOBAL__N_135GammaBetaBackwardCUDAKernelTemplateIN3c104HalfEfLj64ELj8ELj64ELb0ELb1ELb0EEEvllPKT_S7_PKT0_SA_PS5_SB_
                                        ; -- End function
	.section	.AMDGPU.csdata,"",@progbits
; Kernel info:
; codeLenInByte = 1688
; NumSgprs: 36
; NumVgprs: 56
; NumAgprs: 0
; TotalNumVgprs: 56
; ScratchSize: 0
; MemoryBound: 0
; FloatMode: 240
; IeeeMode: 1
; LDSByteSize: 0 bytes/workgroup (compile time only)
; SGPRBlocks: 4
; VGPRBlocks: 6
; NumSGPRsForWavesPerEU: 36
; NumVGPRsForWavesPerEU: 56
; AccumOffset: 56
; Occupancy: 8
; WaveLimiterHint : 0
; COMPUTE_PGM_RSRC2:SCRATCH_EN: 0
; COMPUTE_PGM_RSRC2:USER_SGPR: 2
; COMPUTE_PGM_RSRC2:TRAP_HANDLER: 0
; COMPUTE_PGM_RSRC2:TGID_X_EN: 1
; COMPUTE_PGM_RSRC2:TGID_Y_EN: 1
; COMPUTE_PGM_RSRC2:TGID_Z_EN: 0
; COMPUTE_PGM_RSRC2:TIDIG_COMP_CNT: 1
; COMPUTE_PGM_RSRC3_GFX90A:ACCUM_OFFSET: 13
; COMPUTE_PGM_RSRC3_GFX90A:TG_SPLIT: 0
	.section	.text._ZN2at6native12_GLOBAL__N_135GammaBetaBackwardCUDAKernelTemplateIN3c104HalfEfLj64ELj8ELj64ELb0ELb0ELb0EEEvllPKT_S7_PKT0_SA_PS5_SB_,"axG",@progbits,_ZN2at6native12_GLOBAL__N_135GammaBetaBackwardCUDAKernelTemplateIN3c104HalfEfLj64ELj8ELj64ELb0ELb0ELb0EEEvllPKT_S7_PKT0_SA_PS5_SB_,comdat
	.globl	_ZN2at6native12_GLOBAL__N_135GammaBetaBackwardCUDAKernelTemplateIN3c104HalfEfLj64ELj8ELj64ELb0ELb0ELb0EEEvllPKT_S7_PKT0_SA_PS5_SB_ ; -- Begin function _ZN2at6native12_GLOBAL__N_135GammaBetaBackwardCUDAKernelTemplateIN3c104HalfEfLj64ELj8ELj64ELb0ELb0ELb0EEEvllPKT_S7_PKT0_SA_PS5_SB_
	.p2align	8
	.type	_ZN2at6native12_GLOBAL__N_135GammaBetaBackwardCUDAKernelTemplateIN3c104HalfEfLj64ELj8ELj64ELb0ELb0ELb0EEEvllPKT_S7_PKT0_SA_PS5_SB_,@function
_ZN2at6native12_GLOBAL__N_135GammaBetaBackwardCUDAKernelTemplateIN3c104HalfEfLj64ELj8ELj64ELb0ELb0ELb0EEEvllPKT_S7_PKT0_SA_PS5_SB_: ; @_ZN2at6native12_GLOBAL__N_135GammaBetaBackwardCUDAKernelTemplateIN3c104HalfEfLj64ELj8ELj64ELb0ELb0ELb0EEEvllPKT_S7_PKT0_SA_PS5_SB_
; %bb.0:
	s_load_dwordx8 s[8:15], s[0:1], 0x0
	s_load_dwordx4 s[24:27], s[0:1], 0x20
	s_lshl_b32 s33, s2, 6
	s_mov_b32 s16, 0
	s_or_b32 s4, s33, 63
	s_mov_b32 s5, s16
	s_waitcnt lgkmcnt(0)
	v_mov_b64_e32 v[2:3], s[10:11]
	v_cmp_ge_i64_e32 vcc, s[4:5], v[2:3]
	s_lshl_b32 s28, s3, 6
	s_mov_b32 s29, s16
	v_mov_b64_e32 v[2:3], s[8:9]
	v_cmp_lt_i64_e64 s[4:5], s[28:29], v[2:3]
	s_nop 1
	v_cndmask_b32_e64 v1, 0, 1, s[4:5]
	v_cmp_ne_u32_e64 s[4:5], 1, v1
	s_cbranch_vccz .LBB78_48
; %bb.1:
	v_mov_b32_e32 v43, 0
	s_and_b64 vcc, exec, s[4:5]
	v_mov_b32_e32 v42, v43
	s_cbranch_vccnz .LBB78_49
; %bb.2:
	v_mov_b32_e32 v3, 0
	v_bfe_u32 v66, v0, 10, 10
	s_load_dword s3, s[0:1], 0x44
	v_lshlrev_b32_e32 v26, 3, v66
	v_mov_b32_e32 v27, v3
	v_and_b32_e32 v1, 0x3ff, v0
	v_lshl_add_u64 v[4:5], v[26:27], 0, s[28:29]
	v_add_u32_e32 v2, s33, v1
	v_lshl_add_u64 v[6:7], v[4:5], 0, 7
	s_add_u32 s30, s0, 64
	v_cmp_gt_i64_e64 s[6:7], s[10:11], v[2:3]
	v_lshlrev_b64 v[28:29], 1, v[2:3]
	v_mul_lo_u32 v2, s11, v6
	v_mul_lo_u32 v8, s10, v7
	v_mad_u64_u32 v[6:7], s[18:19], s10, v6, 0
	s_addc_u32 s31, s1, 0
	s_waitcnt lgkmcnt(0)
	s_lshl_b32 s3, s3, 6
	v_add3_u32 v7, v7, v8, v2
	v_lshlrev_b64 v[6:7], 1, v[6:7]
	s_mul_i32 s17, s11, s3
	s_mul_hi_u32 s18, s10, s3
	v_lshl_add_u64 v[30:31], s[12:13], 0, v[6:7]
	s_add_i32 s19, s18, s17
	s_mul_i32 s18, s10, s3
	v_lshl_add_u64 v[32:33], s[14:15], 0, v[6:7]
	v_lshl_add_u64 v[6:7], v[4:5], 0, 6
	s_lshl_b64 s[34:35], s[18:19], 1
	v_mul_lo_u32 v2, s11, v6
	v_mul_lo_u32 v8, s10, v7
	v_mad_u64_u32 v[6:7], s[18:19], s10, v6, 0
	v_add3_u32 v7, v7, v8, v2
	v_lshlrev_b64 v[6:7], 1, v[6:7]
	v_lshl_add_u64 v[34:35], s[12:13], 0, v[6:7]
	v_lshl_add_u64 v[36:37], s[14:15], 0, v[6:7]
	v_lshl_add_u64 v[6:7], v[4:5], 0, 5
	v_mul_lo_u32 v2, s11, v6
	v_mul_lo_u32 v8, s10, v7
	v_mad_u64_u32 v[6:7], s[18:19], s10, v6, 0
	v_add3_u32 v7, v7, v8, v2
	v_lshlrev_b64 v[6:7], 1, v[6:7]
	v_lshl_add_u64 v[38:39], s[12:13], 0, v[6:7]
	v_lshl_add_u64 v[40:41], s[14:15], 0, v[6:7]
	v_lshl_add_u64 v[6:7], v[4:5], 0, 4
	;; [unrolled: 8-line block ×4, first 2 shown]
	v_mul_lo_u32 v2, s11, v6
	v_mul_lo_u32 v8, s10, v7
	v_mad_u64_u32 v[6:7], s[18:19], s10, v6, 0
	v_add3_u32 v7, v7, v8, v2
	v_lshlrev_b64 v[6:7], 1, v[6:7]
	v_lshl_add_u64 v[52:53], s[12:13], 0, v[6:7]
	v_lshl_add_u64 v[54:55], s[14:15], 0, v[6:7]
	v_mov_b64_e32 v[6:7], s[10:11]
	v_mad_u64_u32 v[6:7], s[18:19], s10, v4, v[6:7]
	v_mul_lo_u32 v2, s10, v5
	v_mul_lo_u32 v8, s11, v4
	v_mad_u64_u32 v[4:5], s[18:19], s10, v4, 0
	v_add3_u32 v7, v8, v7, v2
	v_add3_u32 v5, v5, v2, v8
	v_mbcnt_lo_u32_b32 v2, -1, 0
	v_mbcnt_hi_u32_b32 v2, -1, v2
	v_lshlrev_b64 v[6:7], 1, v[6:7]
	s_add_u32 s36, s28, 63
	v_lshlrev_b64 v[4:5], 1, v[4:5]
	s_movk_i32 s38, 0xffc1
	s_movk_i32 s40, 0xffc2
	;; [unrolled: 1-line block ×8, first 2 shown]
	v_lshlrev_b32_e32 v2, 2, v2
	v_lshl_add_u64 v[56:57], s[12:13], 0, v[6:7]
	v_lshl_add_u64 v[58:59], s[14:15], 0, v[6:7]
	s_addc_u32 s37, 0, 0
	v_lshl_add_u64 v[60:61], s[12:13], 0, v[4:5]
	v_lshl_add_u64 v[62:63], s[14:15], 0, v[4:5]
	s_mov_b32 s39, -1
	s_mov_b32 s41, -1
	;; [unrolled: 1-line block ×8, first 2 shown]
	v_and_b32_e32 v67, 0x100, v2
	s_mov_b64 s[54:55], s[28:29]
	v_mov_b32_e32 v42, v3
	v_mov_b32_e32 v43, v3
	s_branch .LBB78_5
.LBB78_3:                               ;   in Loop: Header=BB78_5 Depth=1
	s_or_b64 exec, exec, s[18:19]
	s_waitcnt vmcnt(1)
	ds_bpermute_b32 v2, v67, v69
	ds_bpermute_b32 v4, v67, v69 offset:4
	s_waitcnt vmcnt(0)
	ds_bpermute_b32 v5, v67, v68
	ds_bpermute_b32 v6, v67, v68 offset:4
	ds_bpermute_b32 v8, v67, v68 offset:12
	s_waitcnt lgkmcnt(4)
	v_sub_f32_e32 v2, v10, v2
	v_mul_f32_e32 v2, v18, v2
	s_waitcnt lgkmcnt(3)
	v_sub_f32_e32 v4, v11, v4
	s_waitcnt lgkmcnt(2)
	v_mul_f32_e32 v5, v2, v5
	ds_bpermute_b32 v2, v67, v69 offset:8
	v_mul_f32_e32 v4, v19, v4
	s_waitcnt lgkmcnt(2)
	v_mul_f32_e32 v7, v4, v6
	ds_bpermute_b32 v4, v67, v68 offset:8
	ds_bpermute_b32 v6, v67, v69 offset:12
	s_waitcnt lgkmcnt(2)
	v_sub_f32_e32 v2, v12, v2
	v_mul_f32_e32 v2, v20, v2
	v_mov_b32_e32 v10, v21
	s_waitcnt lgkmcnt(1)
	v_mul_f32_e32 v9, v2, v4
	s_waitcnt lgkmcnt(0)
	v_sub_f32_e32 v2, v13, v6
	ds_bpermute_b32 v4, v67, v69 offset:16
	v_mul_f32_e32 v2, v21, v2
	v_mul_f32_e32 v11, v2, v8
	ds_bpermute_b32 v2, v67, v68 offset:16
	ds_bpermute_b32 v6, v67, v69 offset:20
	ds_bpermute_b32 v8, v67, v68 offset:20
	s_waitcnt lgkmcnt(3)
	v_sub_f32_e32 v4, v14, v4
	v_mul_f32_e32 v4, v22, v4
	s_waitcnt lgkmcnt(2)
	v_mul_f32_e32 v13, v4, v2
	s_waitcnt lgkmcnt(1)
	v_sub_f32_e32 v2, v15, v6
	v_mul_f32_e32 v2, v23, v2
	s_waitcnt lgkmcnt(0)
	v_mul_f32_e32 v15, v2, v8
	v_mov_b32_e32 v4, v18
	ds_bpermute_b32 v2, v67, v69 offset:24
	v_pk_add_f32 v[4:5], v[42:43], v[4:5]
	v_mov_b32_e32 v6, v19
	v_pk_add_f32 v[4:5], v[6:7], v[4:5]
	ds_bpermute_b32 v7, v67, v68 offset:24
	v_mov_b32_e32 v8, v20
	v_pk_add_f32 v[4:5], v[8:9], v[4:5]
	v_mov_b32_e32 v12, v22
	v_pk_add_f32 v[4:5], v[10:11], v[4:5]
	s_waitcnt lgkmcnt(1)
	v_sub_f32_e32 v8, v16, v2
	v_pk_add_f32 v[4:5], v[12:13], v[4:5]
	v_mov_b32_e32 v14, v23
	v_mul_f32_e32 v8, v24, v8
	v_pk_add_f32 v[4:5], v[14:15], v[4:5]
	s_waitcnt lgkmcnt(0)
	v_mul_f32_e32 v9, v8, v7
	v_mov_b32_e32 v8, v24
	ds_bpermute_b32 v2, v67, v68 offset:28
	ds_bpermute_b32 v6, v67, v69 offset:28
	v_pk_add_f32 v[4:5], v[8:9], v[4:5]
.LBB78_4:                               ;   in Loop: Header=BB78_5 Depth=1
	s_waitcnt lgkmcnt(0)
	v_sub_f32_e32 v6, v17, v6
	v_mul_f32_e32 v6, v25, v6
	v_mul_f32_e32 v7, v6, v2
	v_mov_b32_e32 v6, v25
	s_add_u32 s54, s54, s3
	v_pk_add_f32 v[42:43], v[4:5], v[6:7]
	s_addc_u32 s55, s55, 0
	v_mov_b64_e32 v[4:5], s[8:9]
	s_add_u32 s36, s36, s3
	v_cmp_lt_i64_e32 vcc, s[54:55], v[4:5]
	v_lshl_add_u64 v[30:31], v[30:31], 0, s[34:35]
	v_lshl_add_u64 v[32:33], v[32:33], 0, s[34:35]
	;; [unrolled: 1-line block ×14, first 2 shown]
	s_addc_u32 s37, s37, 0
	v_lshl_add_u64 v[60:61], v[60:61], 0, s[34:35]
	v_lshl_add_u64 v[62:63], v[62:63], 0, s[34:35]
	s_cbranch_vccz .LBB78_49
.LBB78_5:                               ; =>This Inner Loop Header: Depth=1
	v_mov_b64_e32 v[4:5], s[8:9]
	v_cmp_ge_i64_e32 vcc, s[36:37], v[4:5]
	v_lshl_add_u64 v[64:65], v[26:27], 0, s[36:37]
	s_cbranch_vccz .LBB78_27
; %bb.6:                                ;   in Loop: Header=BB78_5 Depth=1
	s_load_dword s17, s[30:31], 0xc
	v_mov_b32_e32 v68, 0
	v_mov_b32_e32 v69, 0
	s_waitcnt lgkmcnt(0)
	s_and_b32 s17, s17, 0xffff
	v_mad_u32_u24 v2, v66, s17, v1
	v_and_b32_e32 v2, 63, v2
	v_cmp_gt_u32_e32 vcc, 8, v2
	s_and_saveexec_b64 s[18:19], vcc
	s_cbranch_execz .LBB78_10
; %bb.7:                                ;   in Loop: Header=BB78_5 Depth=1
	v_lshl_add_u64 v[4:5], v[64:65], 0, v[2:3]
	v_lshl_add_u64 v[4:5], v[4:5], 0, s[38:39]
	v_cmp_gt_i64_e32 vcc, s[8:9], v[4:5]
	v_mov_b32_e32 v69, 0
	v_mov_b32_e32 v68, 0
	s_and_saveexec_b64 s[20:21], vcc
	s_cbranch_execz .LBB78_9
; %bb.8:                                ;   in Loop: Header=BB78_5 Depth=1
	v_lshlrev_b64 v[4:5], 2, v[4:5]
	v_lshl_add_u64 v[6:7], s[26:27], 0, v[4:5]
	v_lshl_add_u64 v[4:5], s[24:25], 0, v[4:5]
	global_load_dword v69, v[4:5], off
	global_load_dword v68, v[6:7], off
.LBB78_9:                               ;   in Loop: Header=BB78_5 Depth=1
	s_or_b64 exec, exec, s[20:21]
.LBB78_10:                              ;   in Loop: Header=BB78_5 Depth=1
	s_or_b64 exec, exec, s[18:19]
	s_mov_b32 s17, s16
	s_mov_b32 s18, s16
	;; [unrolled: 1-line block ×7, first 2 shown]
	v_mov_b64_e32 v[10:11], s[16:17]
	v_lshl_add_u64 v[4:5], v[64:65], 0, s[38:39]
	v_mov_b64_e32 v[16:17], s[22:23]
	v_cmp_gt_i64_e32 vcc, s[8:9], v[4:5]
	v_mov_b64_e32 v[12:13], s[18:19]
	v_mov_b64_e32 v[14:15], s[20:21]
	;; [unrolled: 1-line block ×3, first 2 shown]
	s_and_b64 s[56:57], s[6:7], vcc
	v_mov_b64_e32 v[22:23], v[14:15]
	v_mov_b64_e32 v[20:21], v[12:13]
	;; [unrolled: 1-line block ×3, first 2 shown]
	s_and_saveexec_b64 s[18:19], s[56:57]
	s_cbranch_execz .LBB78_12
; %bb.11:                               ;   in Loop: Header=BB78_5 Depth=1
	v_lshl_add_u64 v[4:5], v[60:61], 0, v[28:29]
	global_load_ushort v2, v[4:5], off
	v_lshl_add_u64 v[4:5], v[62:63], 0, v[28:29]
	global_load_ushort v10, v[4:5], off
	v_mov_b32_e32 v8, v3
	v_mov_b32_e32 v9, v3
	;; [unrolled: 1-line block ×13, first 2 shown]
	s_waitcnt vmcnt(1)
	v_cvt_f32_f16_e32 v2, v2
	v_mov_b64_e32 v[24:25], v[8:9]
	s_waitcnt vmcnt(0)
	v_cvt_f32_f16_e32 v10, v10
	v_mov_b64_e32 v[22:23], v[6:7]
	v_mov_b64_e32 v[20:21], v[4:5]
	;; [unrolled: 1-line block ×3, first 2 shown]
.LBB78_12:                              ;   in Loop: Header=BB78_5 Depth=1
	s_or_b64 exec, exec, s[18:19]
	v_lshl_add_u64 v[4:5], v[64:65], 0, s[40:41]
	v_cmp_gt_i64_e32 vcc, s[8:9], v[4:5]
	s_and_b64 s[20:21], s[6:7], vcc
	s_and_saveexec_b64 s[18:19], s[20:21]
	s_cbranch_execz .LBB78_14
; %bb.13:                               ;   in Loop: Header=BB78_5 Depth=1
	v_lshl_add_u64 v[4:5], v[56:57], 0, v[28:29]
	global_load_ushort v2, v[4:5], off
	v_lshl_add_u64 v[4:5], v[58:59], 0, v[28:29]
	global_load_ushort v4, v[4:5], off
	s_waitcnt vmcnt(1)
	v_cvt_f32_f16_e32 v19, v2
	s_waitcnt vmcnt(0)
	v_cvt_f32_f16_e32 v11, v4
.LBB78_14:                              ;   in Loop: Header=BB78_5 Depth=1
	s_or_b64 exec, exec, s[18:19]
	v_lshl_add_u64 v[4:5], v[64:65], 0, s[42:43]
	v_cmp_gt_i64_e32 vcc, s[8:9], v[4:5]
	s_and_b64 s[20:21], s[6:7], vcc
	s_and_saveexec_b64 s[18:19], s[20:21]
	s_cbranch_execz .LBB78_16
; %bb.15:                               ;   in Loop: Header=BB78_5 Depth=1
	v_lshl_add_u64 v[4:5], v[52:53], 0, v[28:29]
	global_load_ushort v2, v[4:5], off
	v_lshl_add_u64 v[4:5], v[54:55], 0, v[28:29]
	global_load_ushort v4, v[4:5], off
	s_waitcnt vmcnt(1)
	v_cvt_f32_f16_e32 v20, v2
	s_waitcnt vmcnt(0)
	v_cvt_f32_f16_e32 v12, v4
.LBB78_16:                              ;   in Loop: Header=BB78_5 Depth=1
	;; [unrolled: 16-line block ×7, first 2 shown]
	s_or_b64 exec, exec, s[18:19]
	s_waitcnt vmcnt(1)
	ds_bpermute_b32 v2, v67, v69
	ds_bpermute_b32 v4, v67, v69 offset:4
	s_waitcnt vmcnt(0)
	ds_bpermute_b32 v5, v67, v68
	ds_bpermute_b32 v6, v67, v68 offset:4
	ds_bpermute_b32 v8, v67, v68 offset:12
	s_waitcnt lgkmcnt(4)
	v_sub_f32_e32 v2, v10, v2
	v_mul_f32_e32 v2, v18, v2
	s_waitcnt lgkmcnt(3)
	v_sub_f32_e32 v4, v11, v4
	s_waitcnt lgkmcnt(2)
	v_mul_f32_e32 v5, v2, v5
	ds_bpermute_b32 v2, v67, v69 offset:8
	v_mul_f32_e32 v4, v19, v4
	s_waitcnt lgkmcnt(2)
	v_mul_f32_e32 v7, v4, v6
	ds_bpermute_b32 v4, v67, v68 offset:8
	ds_bpermute_b32 v6, v67, v69 offset:12
	s_waitcnt lgkmcnt(2)
	v_sub_f32_e32 v2, v12, v2
	v_mul_f32_e32 v2, v20, v2
	v_mov_b32_e32 v10, v21
	s_waitcnt lgkmcnt(1)
	v_mul_f32_e32 v9, v2, v4
	s_waitcnt lgkmcnt(0)
	v_sub_f32_e32 v2, v13, v6
	ds_bpermute_b32 v4, v67, v69 offset:16
	v_mul_f32_e32 v2, v21, v2
	v_mul_f32_e32 v11, v2, v8
	ds_bpermute_b32 v2, v67, v68 offset:16
	ds_bpermute_b32 v6, v67, v69 offset:20
	;; [unrolled: 1-line block ×3, first 2 shown]
	s_waitcnt lgkmcnt(3)
	v_sub_f32_e32 v4, v14, v4
	v_mul_f32_e32 v4, v22, v4
	s_waitcnt lgkmcnt(2)
	v_mul_f32_e32 v13, v4, v2
	s_waitcnt lgkmcnt(1)
	v_sub_f32_e32 v2, v15, v6
	v_mul_f32_e32 v2, v23, v2
	s_waitcnt lgkmcnt(0)
	v_mul_f32_e32 v15, v2, v8
	ds_bpermute_b32 v2, v67, v69 offset:24
	v_mov_b32_e32 v4, v18
	v_pk_add_f32 v[4:5], v[42:43], v[4:5]
	v_mov_b32_e32 v6, v19
	v_pk_add_f32 v[4:5], v[6:7], v[4:5]
	ds_bpermute_b32 v7, v67, v68 offset:24
	v_mov_b32_e32 v8, v20
	s_waitcnt lgkmcnt(1)
	v_sub_f32_e32 v2, v16, v2
	v_pk_add_f32 v[4:5], v[8:9], v[4:5]
	v_mul_f32_e32 v8, v24, v2
	ds_bpermute_b32 v2, v67, v68 offset:28
	ds_bpermute_b32 v6, v67, v69 offset:28
	v_pk_add_f32 v[4:5], v[10:11], v[4:5]
	v_mov_b32_e32 v12, v22
	v_pk_add_f32 v[4:5], v[12:13], v[4:5]
	v_mov_b32_e32 v14, v23
	v_pk_add_f32 v[4:5], v[14:15], v[4:5]
	s_waitcnt lgkmcnt(2)
	v_mul_f32_e32 v9, v8, v7
	v_mov_b32_e32 v8, v24
	v_pk_add_f32 v[4:5], v[8:9], v[4:5]
	s_branch .LBB78_4
.LBB78_27:                              ;   in Loop: Header=BB78_5 Depth=1
                                        ; implicit-def: $vgpr4_vgpr5
                                        ; implicit-def: $vgpr2
                                        ; implicit-def: $vgpr10_vgpr11_vgpr12_vgpr13_vgpr14_vgpr15_vgpr16_vgpr17
                                        ; implicit-def: $vgpr18_vgpr19_vgpr20_vgpr21_vgpr22_vgpr23_vgpr24_vgpr25
                                        ; implicit-def: $vgpr6
	s_cbranch_execz .LBB78_4
; %bb.28:                               ;   in Loop: Header=BB78_5 Depth=1
	s_load_dword s17, s[30:31], 0x0
	v_mov_b32_e32 v68, 0
	v_mov_b32_e32 v69, 0
	s_waitcnt lgkmcnt(0)
	s_cmp_lt_u32 s2, s17
	s_cselect_b32 s17, 12, 18
	s_add_u32 s18, s30, s17
	s_addc_u32 s19, s31, 0
	global_load_ushort v2, v3, s[18:19]
	s_waitcnt vmcnt(0)
	v_mad_u32_u24 v2, v66, v2, v1
	v_and_b32_e32 v2, 63, v2
	v_cmp_gt_u32_e32 vcc, 8, v2
	s_and_saveexec_b64 s[18:19], vcc
	s_cbranch_execz .LBB78_32
; %bb.29:                               ;   in Loop: Header=BB78_5 Depth=1
	v_lshl_add_u64 v[4:5], v[64:65], 0, v[2:3]
	v_lshl_add_u64 v[4:5], v[4:5], 0, s[38:39]
	v_cmp_gt_i64_e32 vcc, s[8:9], v[4:5]
	v_mov_b32_e32 v69, 0
	v_mov_b32_e32 v68, 0
	s_and_saveexec_b64 s[20:21], vcc
	s_cbranch_execz .LBB78_31
; %bb.30:                               ;   in Loop: Header=BB78_5 Depth=1
	v_lshlrev_b64 v[4:5], 2, v[4:5]
	v_lshl_add_u64 v[6:7], s[26:27], 0, v[4:5]
	v_lshl_add_u64 v[4:5], s[24:25], 0, v[4:5]
	global_load_dword v69, v[4:5], off
	global_load_dword v68, v[6:7], off
.LBB78_31:                              ;   in Loop: Header=BB78_5 Depth=1
	s_or_b64 exec, exec, s[20:21]
.LBB78_32:                              ;   in Loop: Header=BB78_5 Depth=1
	s_or_b64 exec, exec, s[18:19]
	s_mov_b32 s17, s16
	s_mov_b32 s18, s16
	;; [unrolled: 1-line block ×7, first 2 shown]
	v_mov_b64_e32 v[10:11], s[16:17]
	v_mov_b64_e32 v[16:17], s[22:23]
	;; [unrolled: 1-line block ×8, first 2 shown]
	s_and_saveexec_b64 s[18:19], s[6:7]
	s_cbranch_execnz .LBB78_40
; %bb.33:                               ;   in Loop: Header=BB78_5 Depth=1
	s_or_b64 exec, exec, s[18:19]
	s_and_saveexec_b64 s[18:19], s[6:7]
	s_cbranch_execnz .LBB78_41
.LBB78_34:                              ;   in Loop: Header=BB78_5 Depth=1
	s_or_b64 exec, exec, s[18:19]
	s_and_saveexec_b64 s[18:19], s[6:7]
	s_cbranch_execnz .LBB78_42
.LBB78_35:                              ;   in Loop: Header=BB78_5 Depth=1
	s_or_b64 exec, exec, s[18:19]
	s_and_saveexec_b64 s[18:19], s[6:7]
	s_cbranch_execnz .LBB78_43
.LBB78_36:                              ;   in Loop: Header=BB78_5 Depth=1
	s_or_b64 exec, exec, s[18:19]
	s_and_saveexec_b64 s[18:19], s[6:7]
	s_cbranch_execnz .LBB78_44
.LBB78_37:                              ;   in Loop: Header=BB78_5 Depth=1
	s_or_b64 exec, exec, s[18:19]
	s_and_saveexec_b64 s[18:19], s[6:7]
	s_cbranch_execnz .LBB78_45
.LBB78_38:                              ;   in Loop: Header=BB78_5 Depth=1
	s_or_b64 exec, exec, s[18:19]
	s_and_saveexec_b64 s[18:19], s[6:7]
	s_cbranch_execnz .LBB78_46
.LBB78_39:                              ;   in Loop: Header=BB78_5 Depth=1
	s_or_b64 exec, exec, s[18:19]
	s_and_saveexec_b64 s[18:19], s[6:7]
	s_cbranch_execz .LBB78_3
	s_branch .LBB78_47
.LBB78_40:                              ;   in Loop: Header=BB78_5 Depth=1
	v_lshl_add_u64 v[4:5], v[60:61], 0, v[28:29]
	global_load_ushort v2, v[4:5], off
	v_lshl_add_u64 v[4:5], v[62:63], 0, v[28:29]
	global_load_ushort v10, v[4:5], off
	v_mov_b32_e32 v8, v3
	v_mov_b32_e32 v9, v3
	;; [unrolled: 1-line block ×13, first 2 shown]
	s_waitcnt vmcnt(1)
	v_cvt_f32_f16_e32 v2, v2
	v_mov_b64_e32 v[24:25], v[8:9]
	s_waitcnt vmcnt(0)
	v_cvt_f32_f16_e32 v10, v10
	v_mov_b64_e32 v[22:23], v[6:7]
	v_mov_b64_e32 v[20:21], v[4:5]
	;; [unrolled: 1-line block ×3, first 2 shown]
	s_or_b64 exec, exec, s[18:19]
	s_and_saveexec_b64 s[18:19], s[6:7]
	s_cbranch_execz .LBB78_34
.LBB78_41:                              ;   in Loop: Header=BB78_5 Depth=1
	v_lshl_add_u64 v[4:5], v[56:57], 0, v[28:29]
	global_load_ushort v2, v[4:5], off
	v_lshl_add_u64 v[4:5], v[58:59], 0, v[28:29]
	global_load_ushort v4, v[4:5], off
	s_waitcnt vmcnt(1)
	v_cvt_f32_f16_e32 v19, v2
	s_waitcnt vmcnt(0)
	v_cvt_f32_f16_e32 v11, v4
	s_or_b64 exec, exec, s[18:19]
	s_and_saveexec_b64 s[18:19], s[6:7]
	s_cbranch_execz .LBB78_35
.LBB78_42:                              ;   in Loop: Header=BB78_5 Depth=1
	v_lshl_add_u64 v[4:5], v[52:53], 0, v[28:29]
	global_load_ushort v2, v[4:5], off
	v_lshl_add_u64 v[4:5], v[54:55], 0, v[28:29]
	global_load_ushort v4, v[4:5], off
	s_waitcnt vmcnt(1)
	v_cvt_f32_f16_e32 v20, v2
	s_waitcnt vmcnt(0)
	v_cvt_f32_f16_e32 v12, v4
	s_or_b64 exec, exec, s[18:19]
	s_and_saveexec_b64 s[18:19], s[6:7]
	s_cbranch_execz .LBB78_36
.LBB78_43:                              ;   in Loop: Header=BB78_5 Depth=1
	v_lshl_add_u64 v[4:5], v[48:49], 0, v[28:29]
	global_load_ushort v2, v[4:5], off
	v_lshl_add_u64 v[4:5], v[50:51], 0, v[28:29]
	global_load_ushort v4, v[4:5], off
	s_waitcnt vmcnt(1)
	v_cvt_f32_f16_e32 v21, v2
	s_waitcnt vmcnt(0)
	v_cvt_f32_f16_e32 v13, v4
	s_or_b64 exec, exec, s[18:19]
	s_and_saveexec_b64 s[18:19], s[6:7]
	s_cbranch_execz .LBB78_37
.LBB78_44:                              ;   in Loop: Header=BB78_5 Depth=1
	v_lshl_add_u64 v[4:5], v[44:45], 0, v[28:29]
	global_load_ushort v2, v[4:5], off
	v_lshl_add_u64 v[4:5], v[46:47], 0, v[28:29]
	global_load_ushort v4, v[4:5], off
	s_waitcnt vmcnt(1)
	v_cvt_f32_f16_e32 v22, v2
	s_waitcnt vmcnt(0)
	v_cvt_f32_f16_e32 v14, v4
	s_or_b64 exec, exec, s[18:19]
	s_and_saveexec_b64 s[18:19], s[6:7]
	s_cbranch_execz .LBB78_38
.LBB78_45:                              ;   in Loop: Header=BB78_5 Depth=1
	v_lshl_add_u64 v[4:5], v[38:39], 0, v[28:29]
	global_load_ushort v2, v[4:5], off
	v_lshl_add_u64 v[4:5], v[40:41], 0, v[28:29]
	global_load_ushort v4, v[4:5], off
	s_waitcnt vmcnt(1)
	v_cvt_f32_f16_e32 v23, v2
	s_waitcnt vmcnt(0)
	v_cvt_f32_f16_e32 v15, v4
	s_or_b64 exec, exec, s[18:19]
	s_and_saveexec_b64 s[18:19], s[6:7]
	s_cbranch_execz .LBB78_39
.LBB78_46:                              ;   in Loop: Header=BB78_5 Depth=1
	v_lshl_add_u64 v[4:5], v[34:35], 0, v[28:29]
	global_load_ushort v2, v[4:5], off
	v_lshl_add_u64 v[4:5], v[36:37], 0, v[28:29]
	global_load_ushort v4, v[4:5], off
	s_waitcnt vmcnt(1)
	v_cvt_f32_f16_e32 v24, v2
	s_waitcnt vmcnt(0)
	v_cvt_f32_f16_e32 v16, v4
	s_or_b64 exec, exec, s[18:19]
	s_and_saveexec_b64 s[18:19], s[6:7]
	s_cbranch_execz .LBB78_3
.LBB78_47:                              ;   in Loop: Header=BB78_5 Depth=1
	v_lshl_add_u64 v[4:5], v[30:31], 0, v[28:29]
	global_load_ushort v2, v[4:5], off
	v_lshl_add_u64 v[4:5], v[32:33], 0, v[28:29]
	global_load_ushort v4, v[4:5], off
	s_waitcnt vmcnt(1)
	v_cvt_f32_f16_e32 v25, v2
	s_waitcnt vmcnt(0)
	v_cvt_f32_f16_e32 v17, v4
	s_branch .LBB78_3
.LBB78_48:
                                        ; implicit-def: $vgpr43
	s_branch .LBB78_50
.LBB78_49:
	s_cbranch_execnz .LBB78_81
.LBB78_50:
	v_mov_b32_e32 v43, 0
	s_mov_b32 s16, 0
	s_and_b64 vcc, exec, s[4:5]
	v_mov_b32_e32 v42, v43
	s_cbranch_vccnz .LBB78_81
; %bb.51:
	v_and_b32_e32 v1, 0x3ff, v0
	v_add_u32_e32 v2, s33, v1
	v_mov_b32_e32 v3, 0
	v_bfe_u32 v96, v0, 10, 10
	v_lshlrev_b64 v[28:29], 1, v[2:3]
	v_lshlrev_b32_e32 v2, 4, v96
	v_lshl_add_u64 v[4:5], s[28:29], 1, v[2:3]
	v_lshl_add_u64 v[6:7], v[4:5], 0, 2
	v_mov_b64_e32 v[8:9], s[12:13]
	v_lshl_add_u64 v[10:11], v[4:5], 0, 4
	v_lshl_add_u64 v[12:13], v[4:5], 0, 6
	;; [unrolled: 1-line block ×6, first 2 shown]
	v_mad_u64_u32 v[30:31], s[4:5], s10, v6, v[8:9]
	v_mad_u64_u32 v[32:33], s[4:5], s10, v10, v[8:9]
	;; [unrolled: 1-line block ×7, first 2 shown]
	v_mov_b64_e32 v[8:9], s[14:15]
	v_lshlrev_b32_e32 v26, 3, v96
	v_mov_b32_e32 v27, v3
	v_mul_lo_u32 v2, s10, v7
	v_mul_lo_u32 v7, s11, v6
	v_mad_u64_u32 v[46:47], s[4:5], s10, v6, v[8:9]
	v_add3_u32 v31, v7, v31, v2
	v_mul_lo_u32 v5, s10, v5
	v_mul_lo_u32 v25, s11, v4
	v_add3_u32 v47, v7, v47, v2
	v_lshl_add_u64 v[6:7], v[26:27], 0, s[28:29]
	v_mad_u64_u32 v[58:59], s[4:5], s10, v4, v[8:9]
	v_add3_u32 v45, v25, v45, v5
	v_add3_u32 v59, v25, v59, v5
	v_lshl_add_u64 v[4:5], v[6:7], 0, 7
	v_mad_u64_u32 v[48:49], s[4:5], s10, v10, v[8:9]
	v_mad_u64_u32 v[50:51], s[4:5], s10, v12, v[8:9]
	;; [unrolled: 1-line block ×5, first 2 shown]
	v_mul_lo_u32 v8, s11, v4
	v_mul_lo_u32 v9, s10, v5
	v_mad_u64_u32 v[4:5], s[4:5], s10, v4, 0
	v_mul_lo_u32 v11, s10, v11
	v_mul_lo_u32 v20, s11, v10
	v_add3_u32 v5, v5, v9, v8
	v_lshl_add_u64 v[8:9], v[6:7], 0, 6
	v_add3_u32 v33, v20, v33, v11
	v_add3_u32 v49, v20, v49, v11
	v_mul_lo_u32 v10, s11, v8
	v_mul_lo_u32 v11, s10, v9
	v_mad_u64_u32 v[8:9], s[4:5], s10, v8, 0
	v_mul_lo_u32 v13, s10, v13
	v_mul_lo_u32 v21, s11, v12
	v_add3_u32 v9, v9, v11, v10
	v_lshl_add_u64 v[10:11], v[6:7], 0, 5
	v_add3_u32 v35, v21, v35, v13
	v_add3_u32 v51, v21, v51, v13
	;; [unrolled: 9-line block ×4, first 2 shown]
	v_mul_lo_u32 v16, s11, v14
	v_mul_lo_u32 v17, s10, v15
	v_mad_u64_u32 v[14:15], s[4:5], s10, v14, 0
	v_mul_lo_u32 v19, s10, v19
	v_mul_lo_u32 v24, s11, v18
	v_add3_u32 v15, v15, v17, v16
	v_lshl_add_u64 v[16:17], v[6:7], 0, 2
	s_load_dword s3, s[0:1], 0x44
	v_lshlrev_b64 v[4:5], 1, v[4:5]
	v_add3_u32 v41, v24, v41, v19
	v_add3_u32 v57, v24, v57, v19
	v_mul_lo_u32 v18, s11, v16
	v_mul_lo_u32 v19, s10, v17
	v_mad_u64_u32 v[16:17], s[4:5], s10, v16, 0
	v_lshl_add_u64 v[64:65], s[12:13], 0, v[4:5]
	v_lshl_add_u64 v[66:67], s[14:15], 0, v[4:5]
	v_lshlrev_b64 v[4:5], 1, v[8:9]
	v_add3_u32 v17, v17, v19, v18
	v_mov_b64_e32 v[18:19], s[10:11]
	v_lshl_add_u64 v[68:69], s[12:13], 0, v[4:5]
	v_lshl_add_u64 v[70:71], s[14:15], 0, v[4:5]
	v_lshlrev_b64 v[4:5], 1, v[10:11]
	v_mul_lo_u32 v2, s11, v6
	v_mad_u64_u32 v[18:19], s[4:5], s10, v6, v[18:19]
	v_mul_lo_u32 v20, s10, v7
	v_mad_u64_u32 v[6:7], s[4:5], s10, v6, 0
	v_lshl_add_u64 v[72:73], s[12:13], 0, v[4:5]
	v_lshl_add_u64 v[74:75], s[14:15], 0, v[4:5]
	v_lshlrev_b64 v[4:5], 1, v[12:13]
	s_add_u32 s4, s0, 64
	v_lshl_add_u64 v[76:77], s[12:13], 0, v[4:5]
	v_lshl_add_u64 v[78:79], s[14:15], 0, v[4:5]
	v_lshlrev_b64 v[4:5], 1, v[14:15]
	v_add3_u32 v7, v7, v20, v2
	v_add3_u32 v19, v2, v19, v20
	s_addc_u32 s5, s1, 0
	s_waitcnt lgkmcnt(0)
	s_lshl_b32 s3, s3, 6
	v_lshl_add_u64 v[80:81], s[12:13], 0, v[4:5]
	v_lshl_add_u64 v[82:83], s[14:15], 0, v[4:5]
	v_lshlrev_b64 v[4:5], 1, v[16:17]
	v_mbcnt_lo_u32_b32 v2, -1, 0
	s_add_u32 s6, s28, 63
	s_mul_i32 s17, s11, s3
	s_mul_hi_u32 s18, s10, s3
	v_lshlrev_b64 v[6:7], 1, v[6:7]
	v_lshl_add_u64 v[84:85], s[12:13], 0, v[4:5]
	v_lshl_add_u64 v[86:87], s[14:15], 0, v[4:5]
	v_lshlrev_b64 v[4:5], 1, v[18:19]
	v_mbcnt_hi_u32_b32 v2, -1, v2
	s_addc_u32 s7, 0, 0
	s_add_i32 s19, s18, s17
	s_mul_i32 s18, s10, s3
	v_lshl_add_u64 v[60:61], s[12:13], 0, v[6:7]
	v_lshl_add_u64 v[62:63], s[14:15], 0, v[6:7]
	;; [unrolled: 1-line block ×4, first 2 shown]
	s_movk_i32 s12, 0xffc1
	s_movk_i32 s14, 0xffc2
	;; [unrolled: 1-line block ×8, first 2 shown]
	v_lshlrev_b32_e32 v2, 2, v2
	s_lshl_b64 s[30:31], s[18:19], 1
	s_mov_b32 s13, -1
	s_mov_b32 s15, -1
	;; [unrolled: 1-line block ×8, first 2 shown]
	v_and_b32_e32 v97, 0x100, v2
	v_mov_b32_e32 v42, v3
	v_mov_b32_e32 v43, v3
	s_branch .LBB78_55
.LBB78_52:                              ;   in Loop: Header=BB78_55 Depth=1
	s_or_b64 exec, exec, s[20:21]
.LBB78_53:                              ;   in Loop: Header=BB78_55 Depth=1
	s_or_b64 exec, exec, s[18:19]
	v_lshl_add_u64 v[4:5], v[60:61], 0, v[28:29]
	global_load_ushort v2, v[4:5], off
	v_lshl_add_u64 v[4:5], v[62:63], 0, v[28:29]
	global_load_ushort v8, v[4:5], off
	v_lshl_add_u64 v[4:5], v[30:31], 0, v[28:29]
	global_load_ushort v9, v[4:5], off
	v_lshl_add_u64 v[4:5], v[46:47], 0, v[28:29]
	global_load_ushort v10, v[4:5], off
	v_lshl_add_u64 v[4:5], v[32:33], 0, v[28:29]
	global_load_ushort v11, v[4:5], off
	v_lshl_add_u64 v[4:5], v[48:49], 0, v[28:29]
	global_load_ushort v12, v[4:5], off
	v_lshl_add_u64 v[4:5], v[34:35], 0, v[28:29]
	global_load_ushort v13, v[4:5], off
	v_lshl_add_u64 v[4:5], v[50:51], 0, v[28:29]
	global_load_ushort v14, v[4:5], off
	v_lshl_add_u64 v[4:5], v[36:37], 0, v[28:29]
	global_load_ushort v15, v[4:5], off
	v_lshl_add_u64 v[4:5], v[52:53], 0, v[28:29]
	global_load_ushort v16, v[4:5], off
	v_lshl_add_u64 v[4:5], v[38:39], 0, v[28:29]
	global_load_ushort v17, v[4:5], off
	v_lshl_add_u64 v[4:5], v[54:55], 0, v[28:29]
	global_load_ushort v18, v[4:5], off
	v_lshl_add_u64 v[4:5], v[40:41], 0, v[28:29]
	global_load_ushort v19, v[4:5], off
	v_lshl_add_u64 v[4:5], v[56:57], 0, v[28:29]
	global_load_ushort v20, v[4:5], off
	v_lshl_add_u64 v[4:5], v[44:45], 0, v[28:29]
	global_load_ushort v21, v[4:5], off
	v_lshl_add_u64 v[4:5], v[58:59], 0, v[28:29]
	global_load_ushort v5, v[4:5], off
	s_waitcnt vmcnt(17)
	ds_bpermute_b32 v23, v97, v7
	ds_bpermute_b32 v25, v97, v7 offset:4
	ds_bpermute_b32 v43, v97, v7 offset:8
	;; [unrolled: 1-line block ×7, first 2 shown]
	s_waitcnt vmcnt(16)
	ds_bpermute_b32 v22, v97, v6
	ds_bpermute_b32 v24, v97, v6 offset:4
	ds_bpermute_b32 v42, v97, v6 offset:8
	;; [unrolled: 1-line block ×7, first 2 shown]
	s_waitcnt vmcnt(15)
	v_cvt_f32_f16_e32 v4, v2
	s_waitcnt vmcnt(14)
	v_cvt_f32_f16_e32 v2, v8
	;; [unrolled: 2-line block ×4, first 2 shown]
	s_waitcnt lgkmcnt(14)
	v_sub_f32_e32 v2, v2, v23
	s_waitcnt vmcnt(11)
	v_cvt_f32_f16_e32 v8, v11
	v_mul_f32_e32 v2, v2, v4
	s_waitcnt vmcnt(10)
	v_cvt_f32_f16_e32 v11, v12
	v_sub_f32_e32 v9, v9, v25
	s_waitcnt vmcnt(9)
	v_cvt_f32_f16_e32 v10, v13
	s_waitcnt vmcnt(8)
	v_cvt_f32_f16_e32 v13, v14
	s_waitcnt lgkmcnt(13)
	v_sub_f32_e32 v11, v11, v43
	s_waitcnt vmcnt(7)
	v_cvt_f32_f16_e32 v12, v15
	s_waitcnt vmcnt(6)
	v_cvt_f32_f16_e32 v15, v16
	s_waitcnt lgkmcnt(12)
	;; [unrolled: 6-line block ×5, first 2 shown]
	v_sub_f32_e32 v19, v19, v103
	s_waitcnt lgkmcnt(8)
	v_sub_f32_e32 v5, v5, v7
	v_mul_f32_e32 v7, v9, v6
	v_mul_f32_e32 v9, v11, v8
	;; [unrolled: 1-line block ×7, first 2 shown]
	s_waitcnt lgkmcnt(7)
	v_mul_f32_e32 v5, v2, v22
	s_waitcnt lgkmcnt(6)
	v_mul_f32_e32 v7, v7, v24
	v_pk_add_f32 v[4:5], v[92:93], v[4:5]
	s_waitcnt lgkmcnt(5)
	v_mul_f32_e32 v9, v9, v42
	v_pk_add_f32 v[4:5], v[4:5], v[6:7]
	;; [unrolled: 3-line block ×7, first 2 shown]
	s_nop 0
	v_pk_add_f32 v[42:43], v[4:5], v[18:19]
.LBB78_54:                              ;   in Loop: Header=BB78_55 Depth=1
	s_add_u32 s28, s28, s3
	s_addc_u32 s29, s29, 0
	v_mov_b64_e32 v[4:5], s[8:9]
	s_add_u32 s6, s6, s3
	v_cmp_ge_i64_e32 vcc, s[28:29], v[4:5]
	s_addc_u32 s7, s7, 0
	v_lshl_add_u64 v[30:31], v[30:31], 0, s[30:31]
	v_lshl_add_u64 v[32:33], v[32:33], 0, s[30:31]
	;; [unrolled: 1-line block ×30, first 2 shown]
	s_cbranch_vccnz .LBB78_81
.LBB78_55:                              ; =>This Inner Loop Header: Depth=1
	v_mov_b64_e32 v[4:5], s[8:9]
	v_cmp_ge_i64_e32 vcc, s[6:7], v[4:5]
	v_mov_b32_e32 v92, v42
	v_mov_b32_e32 v93, v43
	v_lshl_add_u64 v[94:95], v[26:27], 0, s[6:7]
	s_cbranch_vccz .LBB78_77
; %bb.56:                               ;   in Loop: Header=BB78_55 Depth=1
	s_load_dword s17, s[4:5], 0xc
	v_mov_b32_e32 v42, 0
	v_mov_b32_e32 v43, 0
	s_waitcnt lgkmcnt(0)
	s_and_b32 s17, s17, 0xffff
	v_mad_u32_u24 v2, v96, s17, v1
	v_and_b32_e32 v2, 63, v2
	v_cmp_gt_u32_e32 vcc, 8, v2
	s_and_saveexec_b64 s[18:19], vcc
	s_cbranch_execz .LBB78_60
; %bb.57:                               ;   in Loop: Header=BB78_55 Depth=1
	v_lshl_add_u64 v[4:5], v[94:95], 0, v[2:3]
	v_lshl_add_u64 v[4:5], v[4:5], 0, s[12:13]
	v_cmp_gt_i64_e32 vcc, s[8:9], v[4:5]
	v_mov_b32_e32 v43, 0
	v_mov_b32_e32 v42, 0
	s_and_saveexec_b64 s[20:21], vcc
	s_cbranch_execz .LBB78_59
; %bb.58:                               ;   in Loop: Header=BB78_55 Depth=1
	v_lshlrev_b64 v[4:5], 2, v[4:5]
	v_lshl_add_u64 v[6:7], s[26:27], 0, v[4:5]
	v_lshl_add_u64 v[4:5], s[24:25], 0, v[4:5]
	global_load_dword v43, v[4:5], off
	global_load_dword v42, v[6:7], off
.LBB78_59:                              ;   in Loop: Header=BB78_55 Depth=1
	s_or_b64 exec, exec, s[20:21]
.LBB78_60:                              ;   in Loop: Header=BB78_55 Depth=1
	s_or_b64 exec, exec, s[18:19]
	s_mov_b32 s17, s16
	s_mov_b32 s18, s16
	;; [unrolled: 1-line block ×7, first 2 shown]
	v_mov_b64_e32 v[10:11], s[16:17]
	v_mov_b64_e32 v[16:17], s[22:23]
	v_lshl_add_u64 v[4:5], v[94:95], 0, s[12:13]
	v_mov_b64_e32 v[12:13], s[18:19]
	v_mov_b64_e32 v[14:15], s[20:21]
	;; [unrolled: 1-line block ×3, first 2 shown]
	v_cmp_gt_i64_e32 vcc, s[8:9], v[4:5]
	v_mov_b64_e32 v[22:23], v[14:15]
	v_mov_b64_e32 v[20:21], v[12:13]
	;; [unrolled: 1-line block ×3, first 2 shown]
	s_and_saveexec_b64 s[18:19], vcc
	s_cbranch_execz .LBB78_62
; %bb.61:                               ;   in Loop: Header=BB78_55 Depth=1
	v_lshl_add_u64 v[4:5], v[60:61], 0, v[28:29]
	global_load_ushort v2, v[4:5], off
	v_lshl_add_u64 v[4:5], v[62:63], 0, v[28:29]
	global_load_ushort v10, v[4:5], off
	v_mov_b32_e32 v8, v3
	v_mov_b32_e32 v9, v3
	;; [unrolled: 1-line block ×13, first 2 shown]
	s_waitcnt vmcnt(1)
	v_cvt_f32_f16_e32 v2, v2
	v_mov_b64_e32 v[24:25], v[8:9]
	s_waitcnt vmcnt(0)
	v_cvt_f32_f16_e32 v10, v10
	v_mov_b64_e32 v[22:23], v[6:7]
	v_mov_b64_e32 v[20:21], v[4:5]
	;; [unrolled: 1-line block ×3, first 2 shown]
.LBB78_62:                              ;   in Loop: Header=BB78_55 Depth=1
	s_or_b64 exec, exec, s[18:19]
	v_lshl_add_u64 v[4:5], v[94:95], 0, s[14:15]
	v_cmp_gt_i64_e32 vcc, s[8:9], v[4:5]
	s_and_saveexec_b64 s[18:19], vcc
	s_cbranch_execz .LBB78_64
; %bb.63:                               ;   in Loop: Header=BB78_55 Depth=1
	v_lshl_add_u64 v[4:5], v[88:89], 0, v[28:29]
	global_load_ushort v2, v[4:5], off
	v_lshl_add_u64 v[4:5], v[90:91], 0, v[28:29]
	global_load_ushort v4, v[4:5], off
	s_waitcnt vmcnt(1)
	v_cvt_f32_f16_e32 v19, v2
	s_waitcnt vmcnt(0)
	v_cvt_f32_f16_e32 v11, v4
.LBB78_64:                              ;   in Loop: Header=BB78_55 Depth=1
	s_or_b64 exec, exec, s[18:19]
	v_lshl_add_u64 v[4:5], v[94:95], 0, s[34:35]
	v_cmp_gt_i64_e32 vcc, s[8:9], v[4:5]
	s_and_saveexec_b64 s[18:19], vcc
	s_cbranch_execz .LBB78_66
; %bb.65:                               ;   in Loop: Header=BB78_55 Depth=1
	v_lshl_add_u64 v[4:5], v[84:85], 0, v[28:29]
	global_load_ushort v2, v[4:5], off
	v_lshl_add_u64 v[4:5], v[86:87], 0, v[28:29]
	global_load_ushort v4, v[4:5], off
	s_waitcnt vmcnt(1)
	v_cvt_f32_f16_e32 v20, v2
	s_waitcnt vmcnt(0)
	v_cvt_f32_f16_e32 v12, v4
.LBB78_66:                              ;   in Loop: Header=BB78_55 Depth=1
	;; [unrolled: 15-line block ×7, first 2 shown]
	s_or_b64 exec, exec, s[18:19]
	s_waitcnt vmcnt(1)
	ds_bpermute_b32 v2, v97, v43
	s_waitcnt vmcnt(0)
	ds_bpermute_b32 v4, v97, v42
	ds_bpermute_b32 v7, v97, v43 offset:4
	ds_bpermute_b32 v6, v97, v42 offset:4
	;; [unrolled: 1-line block ×3, first 2 shown]
	s_waitcnt lgkmcnt(4)
	v_sub_f32_e32 v2, v10, v2
	v_mul_f32_e32 v2, v18, v2
	s_waitcnt lgkmcnt(3)
	v_mul_f32_e32 v5, v2, v4
	ds_bpermute_b32 v4, v97, v42 offset:8
	s_waitcnt lgkmcnt(3)
	v_sub_f32_e32 v2, v11, v7
	v_mul_f32_e32 v2, v19, v2
	s_waitcnt lgkmcnt(2)
	v_mul_f32_e32 v7, v2, v6
	s_waitcnt lgkmcnt(1)
	v_sub_f32_e32 v2, v12, v8
	ds_bpermute_b32 v6, v97, v43 offset:12
	v_mul_f32_e32 v2, v20, v2
	s_waitcnt lgkmcnt(1)
	v_mul_f32_e32 v9, v2, v4
	ds_bpermute_b32 v2, v97, v42 offset:12
	ds_bpermute_b32 v4, v97, v43 offset:16
	;; [unrolled: 1-line block ×3, first 2 shown]
	s_waitcnt lgkmcnt(3)
	v_sub_f32_e32 v6, v13, v6
	v_mul_f32_e32 v6, v21, v6
	s_waitcnt lgkmcnt(2)
	v_mul_f32_e32 v11, v6, v2
	s_waitcnt lgkmcnt(1)
	v_sub_f32_e32 v2, v14, v4
	ds_bpermute_b32 v4, v97, v43 offset:20
	v_mul_f32_e32 v2, v22, v2
	s_waitcnt lgkmcnt(1)
	v_mul_f32_e32 v13, v2, v8
	ds_bpermute_b32 v2, v97, v42 offset:20
	ds_bpermute_b32 v6, v97, v43 offset:24
	;; [unrolled: 1-line block ×3, first 2 shown]
	s_waitcnt lgkmcnt(3)
	v_sub_f32_e32 v4, v15, v4
	v_mul_f32_e32 v4, v23, v4
	s_waitcnt lgkmcnt(2)
	v_mul_f32_e32 v15, v4, v2
	s_waitcnt lgkmcnt(1)
	v_sub_f32_e32 v2, v16, v6
	v_mul_f32_e32 v2, v24, v2
	s_waitcnt lgkmcnt(0)
	v_mul_f32_e32 v99, v2, v8
	v_mov_b32_e32 v4, v18
	ds_bpermute_b32 v2, v97, v43 offset:28
	v_pk_add_f32 v[4:5], v[92:93], v[4:5]
	v_mov_b32_e32 v6, v19
	v_pk_add_f32 v[4:5], v[6:7], v[4:5]
	v_mov_b32_e32 v8, v20
	ds_bpermute_b32 v6, v97, v42 offset:28
	v_pk_add_f32 v[4:5], v[8:9], v[4:5]
	v_mov_b32_e32 v10, v21
	v_pk_add_f32 v[4:5], v[10:11], v[4:5]
	v_mov_b32_e32 v12, v22
	;; [unrolled: 2-line block ×3, first 2 shown]
	s_waitcnt lgkmcnt(1)
	v_sub_f32_e32 v2, v17, v2
	v_pk_add_f32 v[4:5], v[14:15], v[4:5]
	v_mov_b32_e32 v98, v24
	v_mul_f32_e32 v2, v25, v2
	v_pk_add_f32 v[4:5], v[98:99], v[4:5]
	s_waitcnt lgkmcnt(0)
	v_mul_f32_e32 v7, v2, v6
	v_mov_b32_e32 v6, v25
	v_pk_add_f32 v[42:43], v[6:7], v[4:5]
	s_branch .LBB78_54
.LBB78_77:                              ;   in Loop: Header=BB78_55 Depth=1
                                        ; implicit-def: $vgpr43
	s_cbranch_execz .LBB78_54
; %bb.78:                               ;   in Loop: Header=BB78_55 Depth=1
	s_load_dword s17, s[4:5], 0x0
	v_mov_b32_e32 v6, 0
	v_mov_b32_e32 v7, 0
	s_waitcnt lgkmcnt(0)
	s_cmp_lt_u32 s2, s17
	s_cselect_b32 s17, 12, 18
	s_add_u32 s18, s4, s17
	s_addc_u32 s19, s5, 0
	global_load_ushort v2, v3, s[18:19]
	s_waitcnt vmcnt(0)
	v_mad_u32_u24 v2, v96, v2, v1
	v_and_b32_e32 v2, 63, v2
	v_cmp_gt_u32_e32 vcc, 8, v2
	s_and_saveexec_b64 s[18:19], vcc
	s_cbranch_execz .LBB78_53
; %bb.79:                               ;   in Loop: Header=BB78_55 Depth=1
	v_lshl_add_u64 v[4:5], v[94:95], 0, v[2:3]
	v_lshl_add_u64 v[4:5], v[4:5], 0, s[12:13]
	v_cmp_gt_i64_e32 vcc, s[8:9], v[4:5]
	v_mov_b32_e32 v7, 0
	v_mov_b32_e32 v6, 0
	s_and_saveexec_b64 s[20:21], vcc
	s_cbranch_execz .LBB78_52
; %bb.80:                               ;   in Loop: Header=BB78_55 Depth=1
	v_lshlrev_b64 v[4:5], 2, v[4:5]
	v_lshl_add_u64 v[8:9], s[26:27], 0, v[4:5]
	v_lshl_add_u64 v[4:5], s[24:25], 0, v[4:5]
	global_load_dword v7, v[4:5], off
	global_load_dword v6, v[8:9], off
	s_branch .LBB78_52
.LBB78_81:
	v_bfe_u32 v6, v0, 10, 10
	v_and_b32_e32 v0, 0x3ff, v0
	s_movk_i32 s3, 0x41
	v_mad_u32_u24 v1, v6, s3, v0
	v_lshl_add_u32 v1, v1, 2, 0
	v_lshrrev_b32_e32 v8, 6, v0
	ds_write_b32 v1, v43
	ds_write_b32 v1, v42 offset:2080
	v_add_u32_e32 v1, v8, v6
	s_mov_b32 s3, 0
	v_cmp_gt_u32_e32 vcc, 64, v1
	s_waitcnt lgkmcnt(0)
	s_barrier
	s_and_saveexec_b64 s[4:5], vcc
	s_cbranch_execz .LBB78_91
; %bb.82:
	v_and_b32_e32 v1, 63, v0
	s_load_dwordx4 s[4:7], s[0:1], 0x30
	v_cmp_gt_u32_e64 s[0:1], 8, v1
	v_mul_u32_u24_e32 v13, 0x41, v1
	v_mbcnt_lo_u32_b32 v1, -1, 0
	v_mbcnt_hi_u32_b32 v1, -1, v1
	v_and_b32_e32 v2, 64, v1
	v_add_u32_e32 v2, 64, v2
	s_lshl_b64 s[8:9], s[2:3], 6
	v_cmp_eq_u32_e64 s[2:3], 0, v0
	v_xor_b32_e32 v0, 4, v1
	v_cmp_lt_i32_e32 vcc, v0, v2
	v_mov_b32_e32 v9, 0
	v_mov_b32_e32 v7, v9
	v_cndmask_b32_e32 v0, v1, v0, vcc
	v_lshlrev_b32_e32 v10, 2, v0
	v_xor_b32_e32 v0, 2, v1
	v_cmp_lt_i32_e32 vcc, v0, v2
	s_waitcnt lgkmcnt(0)
	s_cmp_lg_u64 s[4:5], 0
	s_cselect_b64 s[14:15], -1, 0
	v_cndmask_b32_e32 v0, v1, v0, vcc
	v_lshlrev_b32_e32 v11, 2, v0
	v_xor_b32_e32 v0, 1, v1
	v_cmp_lt_i32_e32 vcc, v0, v2
	s_cmp_lg_u64 s[6:7], 0
	s_mov_b64 s[12:13], 0
	v_cndmask_b32_e32 v0, v1, v0, vcc
	v_lshlrev_b32_e32 v12, 2, v0
	v_lshl_add_u64 v[0:1], v[8:9], 0, v[6:7]
	v_lshl_add_u64 v[2:3], v[0:1], 0, s[8:9]
	v_lshlrev_b64 v[4:5], 1, v[2:3]
	v_add3_u32 v6, v13, v6, v8
	v_lshl_add_u64 v[2:3], s[6:7], 0, v[4:5]
	v_lshl_add_u32 v8, v6, 2, 0
	v_cndmask_b32_e64 v6, 0, 1, s[14:15]
	s_cselect_b64 s[6:7], -1, 0
	v_lshl_add_u64 v[4:5], s[4:5], 0, v[4:5]
	v_cmp_ne_u32_e64 s[4:5], 1, v6
	v_cndmask_b32_e64 v6, 0, 1, s[6:7]
	v_cmp_ne_u32_e64 s[6:7], 1, v6
                                        ; implicit-def: $vgpr6
	s_branch .LBB78_84
.LBB78_83:                              ;   in Loop: Header=BB78_84 Depth=1
	s_or_b64 exec, exec, s[14:15]
	v_lshl_add_u64 v[0:1], v[0:1], 0, 8
	v_add_u32_e32 v9, -8, v0
	v_cmp_lt_u32_e32 vcc, 55, v9
	v_lshl_add_u64 v[2:3], v[2:3], 0, 16
	v_lshl_add_u64 v[4:5], v[4:5], 0, 16
	s_or_b64 s[12:13], vcc, s[12:13]
	v_add_u32_e32 v8, 32, v8
	s_andn2_b64 exec, exec, s[12:13]
	s_cbranch_execz .LBB78_91
.LBB78_84:                              ; =>This Inner Loop Header: Depth=1
	s_and_saveexec_b64 s[14:15], s[0:1]
	s_cbranch_execz .LBB78_86
; %bb.85:                               ;   in Loop: Header=BB78_84 Depth=1
	ds_read_b32 v7, v8
	ds_read_b32 v6, v8 offset:2080
.LBB78_86:                              ;   in Loop: Header=BB78_84 Depth=1
	s_or_b64 exec, exec, s[14:15]
	s_waitcnt lgkmcnt(1)
	ds_bpermute_b32 v15, v10, v7
	s_waitcnt lgkmcnt(1)
	ds_bpermute_b32 v14, v10, v6
	v_lshl_add_u64 v[16:17], s[8:9], 0, v[0:1]
	v_cmp_gt_i64_e32 vcc, s[10:11], v[16:17]
	s_and_b64 s[16:17], s[2:3], vcc
	s_waitcnt lgkmcnt(0)
	v_pk_add_f32 v[6:7], v[6:7], v[14:15]
	ds_bpermute_b32 v15, v11, v7
	ds_bpermute_b32 v14, v11, v6
	s_waitcnt lgkmcnt(0)
	v_pk_add_f32 v[6:7], v[6:7], v[14:15]
	ds_bpermute_b32 v15, v12, v7
	ds_bpermute_b32 v14, v12, v6
	s_waitcnt lgkmcnt(0)
	v_pk_add_f32 v[6:7], v[6:7], v[14:15]
	s_and_saveexec_b64 s[14:15], s[16:17]
	s_cbranch_execz .LBB78_83
; %bb.87:                               ;   in Loop: Header=BB78_84 Depth=1
	s_and_b64 vcc, exec, s[4:5]
	s_cbranch_vccnz .LBB78_89
; %bb.88:                               ;   in Loop: Header=BB78_84 Depth=1
	v_cvt_f16_f32_e32 v9, v7
	global_store_short v[4:5], v9, off
.LBB78_89:                              ;   in Loop: Header=BB78_84 Depth=1
	s_and_b64 vcc, exec, s[6:7]
	s_cbranch_vccnz .LBB78_83
; %bb.90:                               ;   in Loop: Header=BB78_84 Depth=1
	v_cvt_f16_f32_e32 v9, v6
	global_store_short v[2:3], v9, off
	s_branch .LBB78_83
.LBB78_91:
	s_endpgm
	.section	.rodata,"a",@progbits
	.p2align	6, 0x0
	.amdhsa_kernel _ZN2at6native12_GLOBAL__N_135GammaBetaBackwardCUDAKernelTemplateIN3c104HalfEfLj64ELj8ELj64ELb0ELb0ELb0EEEvllPKT_S7_PKT0_SA_PS5_SB_
		.amdhsa_group_segment_fixed_size 0
		.amdhsa_private_segment_fixed_size 0
		.amdhsa_kernarg_size 320
		.amdhsa_user_sgpr_count 2
		.amdhsa_user_sgpr_dispatch_ptr 0
		.amdhsa_user_sgpr_queue_ptr 0
		.amdhsa_user_sgpr_kernarg_segment_ptr 1
		.amdhsa_user_sgpr_dispatch_id 0
		.amdhsa_user_sgpr_kernarg_preload_length 0
		.amdhsa_user_sgpr_kernarg_preload_offset 0
		.amdhsa_user_sgpr_private_segment_size 0
		.amdhsa_uses_dynamic_stack 0
		.amdhsa_enable_private_segment 0
		.amdhsa_system_sgpr_workgroup_id_x 1
		.amdhsa_system_sgpr_workgroup_id_y 1
		.amdhsa_system_sgpr_workgroup_id_z 0
		.amdhsa_system_sgpr_workgroup_info 0
		.amdhsa_system_vgpr_workitem_id 1
		.amdhsa_next_free_vgpr 105
		.amdhsa_next_free_sgpr 58
		.amdhsa_accum_offset 108
		.amdhsa_reserve_vcc 1
		.amdhsa_float_round_mode_32 0
		.amdhsa_float_round_mode_16_64 0
		.amdhsa_float_denorm_mode_32 3
		.amdhsa_float_denorm_mode_16_64 3
		.amdhsa_dx10_clamp 1
		.amdhsa_ieee_mode 1
		.amdhsa_fp16_overflow 0
		.amdhsa_tg_split 0
		.amdhsa_exception_fp_ieee_invalid_op 0
		.amdhsa_exception_fp_denorm_src 0
		.amdhsa_exception_fp_ieee_div_zero 0
		.amdhsa_exception_fp_ieee_overflow 0
		.amdhsa_exception_fp_ieee_underflow 0
		.amdhsa_exception_fp_ieee_inexact 0
		.amdhsa_exception_int_div_zero 0
	.end_amdhsa_kernel
	.section	.text._ZN2at6native12_GLOBAL__N_135GammaBetaBackwardCUDAKernelTemplateIN3c104HalfEfLj64ELj8ELj64ELb0ELb0ELb0EEEvllPKT_S7_PKT0_SA_PS5_SB_,"axG",@progbits,_ZN2at6native12_GLOBAL__N_135GammaBetaBackwardCUDAKernelTemplateIN3c104HalfEfLj64ELj8ELj64ELb0ELb0ELb0EEEvllPKT_S7_PKT0_SA_PS5_SB_,comdat
.Lfunc_end78:
	.size	_ZN2at6native12_GLOBAL__N_135GammaBetaBackwardCUDAKernelTemplateIN3c104HalfEfLj64ELj8ELj64ELb0ELb0ELb0EEEvllPKT_S7_PKT0_SA_PS5_SB_, .Lfunc_end78-_ZN2at6native12_GLOBAL__N_135GammaBetaBackwardCUDAKernelTemplateIN3c104HalfEfLj64ELj8ELj64ELb0ELb0ELb0EEEvllPKT_S7_PKT0_SA_PS5_SB_
                                        ; -- End function
	.section	.AMDGPU.csdata,"",@progbits
; Kernel info:
; codeLenInByte = 7588
; NumSgprs: 64
; NumVgprs: 105
; NumAgprs: 0
; TotalNumVgprs: 105
; ScratchSize: 0
; MemoryBound: 0
; FloatMode: 240
; IeeeMode: 1
; LDSByteSize: 0 bytes/workgroup (compile time only)
; SGPRBlocks: 7
; VGPRBlocks: 13
; NumSGPRsForWavesPerEU: 64
; NumVGPRsForWavesPerEU: 105
; AccumOffset: 108
; Occupancy: 4
; WaveLimiterHint : 0
; COMPUTE_PGM_RSRC2:SCRATCH_EN: 0
; COMPUTE_PGM_RSRC2:USER_SGPR: 2
; COMPUTE_PGM_RSRC2:TRAP_HANDLER: 0
; COMPUTE_PGM_RSRC2:TGID_X_EN: 1
; COMPUTE_PGM_RSRC2:TGID_Y_EN: 1
; COMPUTE_PGM_RSRC2:TGID_Z_EN: 0
; COMPUTE_PGM_RSRC2:TIDIG_COMP_CNT: 1
; COMPUTE_PGM_RSRC3_GFX90A:ACCUM_OFFSET: 26
; COMPUTE_PGM_RSRC3_GFX90A:TG_SPLIT: 0
	.section	.text._ZN2at6native12_GLOBAL__N_135GammaBetaBackwardCUDAKernelTemplateIN3c104HalfEfLj64ELj16ELj128ELb0ELb1ELb0EEEvllPKT_S7_PKT0_SA_PS5_SB_,"axG",@progbits,_ZN2at6native12_GLOBAL__N_135GammaBetaBackwardCUDAKernelTemplateIN3c104HalfEfLj64ELj16ELj128ELb0ELb1ELb0EEEvllPKT_S7_PKT0_SA_PS5_SB_,comdat
	.globl	_ZN2at6native12_GLOBAL__N_135GammaBetaBackwardCUDAKernelTemplateIN3c104HalfEfLj64ELj16ELj128ELb0ELb1ELb0EEEvllPKT_S7_PKT0_SA_PS5_SB_ ; -- Begin function _ZN2at6native12_GLOBAL__N_135GammaBetaBackwardCUDAKernelTemplateIN3c104HalfEfLj64ELj16ELj128ELb0ELb1ELb0EEEvllPKT_S7_PKT0_SA_PS5_SB_
	.p2align	8
	.type	_ZN2at6native12_GLOBAL__N_135GammaBetaBackwardCUDAKernelTemplateIN3c104HalfEfLj64ELj16ELj128ELb0ELb1ELb0EEEvllPKT_S7_PKT0_SA_PS5_SB_,@function
_ZN2at6native12_GLOBAL__N_135GammaBetaBackwardCUDAKernelTemplateIN3c104HalfEfLj64ELj16ELj128ELb0ELb1ELb0EEEvllPKT_S7_PKT0_SA_PS5_SB_: ; @_ZN2at6native12_GLOBAL__N_135GammaBetaBackwardCUDAKernelTemplateIN3c104HalfEfLj64ELj16ELj128ELb0ELb1ELb0EEEvllPKT_S7_PKT0_SA_PS5_SB_
; %bb.0:
	s_load_dwordx4 s[16:19], s[0:1], 0x0
	s_lshl_b32 s6, s3, 7
	s_mov_b32 s7, 0
	v_bfe_u32 v12, v0, 10, 10
	s_waitcnt lgkmcnt(0)
	v_mov_b64_e32 v[2:3], s[16:17]
	v_cmp_lt_i64_e32 vcc, s[6:7], v[2:3]
	s_cbranch_vccnz .LBB79_2
; %bb.1:
	s_mov_b64 s[4:5], 0
	v_bfe_u32 v4, v0, 10, 10
	s_branch .LBB79_3
.LBB79_2:
	s_mov_b64 s[4:5], -1
                                        ; implicit-def: $vgpr4
.LBB79_3:
	v_and_b32_e32 v10, 0x3ff, v0
	s_andn2_b64 vcc, exec, s[4:5]
	v_mov_b32_e32 v1, s7
	v_mbcnt_lo_u32_b32 v11, -1, 0
	v_mov_b32_e32 v0, s7
	s_cbranch_vccnz .LBB79_11
; %bb.4:
	s_load_dword s3, s[0:1], 0x4c
	s_load_dword s20, s[0:1], 0x44
	s_load_dwordx8 s[8:15], s[0:1], 0x10
	v_lshlrev_b32_e32 v0, 3, v12
	v_mbcnt_hi_u32_b32 v4, -1, v11
	s_waitcnt lgkmcnt(0)
	s_and_b32 s3, s3, 0xffff
	v_mad_u32_u24 v1, v12, s3, v10
	v_and_b32_e32 v2, 63, v1
	v_mov_b32_e32 v1, 0
	v_mov_b32_e32 v3, v1
	v_lshl_add_u64 v[8:9], v[0:1], 0, s[6:7]
	v_cmp_gt_u32_e64 s[4:5], 8, v2
	s_lshl_b32 s20, s20, 7
	v_lshl_add_u64 v[2:3], v[8:9], 0, v[2:3]
	v_mul_lo_u32 v0, s19, v8
	v_mul_lo_u32 v21, s18, v9
	v_mad_u64_u32 v[8:9], s[24:25], s18, v8, 0
	v_lshl_add_u32 v6, s2, 6, v10
	v_mov_b32_e32 v7, v1
	v_lshlrev_b32_e32 v4, 2, v4
	s_mul_i32 s3, s19, s20
	s_mul_hi_u32 s24, s18, s20
	s_mov_b32 s21, 0
	v_and_b32_e32 v13, 0x100, v4
	v_add3_u32 v9, v9, v21, v0
	v_lshlrev_b64 v[6:7], 1, v[6:7]
	s_add_i32 s25, s24, s3
	s_mul_i32 s24, s18, s20
	v_or_b32_e32 v14, 4, v13
	v_or_b32_e32 v15, 8, v13
	;; [unrolled: 1-line block ×7, first 2 shown]
	v_lshlrev_b64 v[4:5], 2, v[2:3]
	s_lshl_b64 s[22:23], s[20:21], 2
	v_lshl_add_u64 v[6:7], v[8:9], 1, v[6:7]
	s_lshl_b64 s[24:25], s[24:25], 1
	s_lshl_b64 s[18:19], s[18:19], 1
	v_mov_b64_e32 v[8:9], s[16:17]
	v_mov_b32_e32 v0, v1
	s_branch .LBB79_7
.LBB79_5:                               ;   in Loop: Header=BB79_7 Depth=1
	s_or_b64 exec, exec, s[28:29]
.LBB79_6:                               ;   in Loop: Header=BB79_7 Depth=1
	s_or_b64 exec, exec, s[26:27]
	v_lshl_add_u64 v[24:25], s[8:9], 0, v[6:7]
	global_load_ushort v23, v[24:25], off
	v_lshl_add_u64 v[26:27], s[10:11], 0, v[6:7]
	v_lshl_add_u64 v[24:25], v[24:25], 0, s[18:19]
	global_load_ushort v28, v[26:27], off
	global_load_ushort v29, v[24:25], off
	v_lshl_add_u64 v[26:27], v[26:27], 0, s[18:19]
	v_lshl_add_u64 v[24:25], v[24:25], 0, s[18:19]
	global_load_ushort v30, v[26:27], off
	;; [unrolled: 4-line block ×7, first 2 shown]
	global_load_ushort v41, v[24:25], off
	v_lshl_add_u64 v[24:25], v[26:27], 0, s[18:19]
	global_load_ushort v25, v[24:25], off
	s_waitcnt vmcnt(17)
	ds_bpermute_b32 v42, v13, v21
	s_waitcnt vmcnt(16)
	ds_bpermute_b32 v27, v13, v22
	ds_bpermute_b32 v43, v14, v22
	;; [unrolled: 1-line block ×15, first 2 shown]
	s_add_u32 s6, s6, s20
	s_addc_u32 s7, s7, 0
	v_cmp_lt_i64_e32 vcc, s[6:7], v[8:9]
	v_lshl_add_u64 v[4:5], v[4:5], 0, s[22:23]
	v_lshl_add_u64 v[2:3], v[2:3], 0, s[20:21]
	;; [unrolled: 1-line block ×3, first 2 shown]
	s_and_b64 vcc, exec, vcc
	s_waitcnt vmcnt(15)
	v_cvt_f32_f16_e32 v22, v23
	s_waitcnt vmcnt(14)
	v_cvt_f32_f16_e32 v23, v28
	;; [unrolled: 2-line block ×5, first 2 shown]
	s_waitcnt lgkmcnt(14)
	v_sub_f32_e32 v23, v23, v42
	v_mul_f32_e32 v23, v23, v22
	s_waitcnt vmcnt(10)
	v_cvt_f32_f16_e32 v31, v32
	s_waitcnt vmcnt(9)
	v_cvt_f32_f16_e32 v28, v33
	s_waitcnt lgkmcnt(12)
	v_sub_f32_e32 v29, v29, v44
	v_mul_f32_e32 v23, v23, v27
	s_waitcnt vmcnt(8)
	v_cvt_f32_f16_e32 v33, v34
	s_waitcnt vmcnt(7)
	v_cvt_f32_f16_e32 v30, v35
	v_mul_f32_e32 v27, v29, v24
	s_waitcnt lgkmcnt(5)
	v_sub_f32_e32 v29, v31, v46
	s_waitcnt vmcnt(6)
	v_cvt_f32_f16_e32 v35, v36
	s_waitcnt vmcnt(5)
	v_cvt_f32_f16_e32 v32, v37
	v_pk_add_f32 v[0:1], v[0:1], v[22:23]
	s_waitcnt vmcnt(4)
	v_cvt_f32_f16_e32 v37, v38
	s_waitcnt vmcnt(3)
	v_cvt_f32_f16_e32 v34, v39
	s_waitcnt lgkmcnt(3)
	v_sub_f32_e32 v23, v35, v50
	s_waitcnt vmcnt(2)
	v_cvt_f32_f16_e32 v38, v40
	s_waitcnt vmcnt(1)
	v_cvt_f32_f16_e32 v36, v41
	;; [unrolled: 2-line block ×3, first 2 shown]
	v_mul_f32_e32 v25, v27, v43
	v_mul_f32_e32 v27, v29, v26
	v_sub_f32_e32 v29, v33, v48
	v_mul_f32_e32 v27, v27, v45
	v_mul_f32_e32 v22, v29, v28
	v_pk_add_f32 v[0:1], v[0:1], v[24:25]
	v_mul_f32_e32 v29, v22, v47
	v_mul_f32_e32 v22, v23, v30
	s_waitcnt lgkmcnt(2)
	v_sub_f32_e32 v23, v37, v52
	v_pk_add_f32 v[0:1], v[0:1], v[26:27]
	v_mul_f32_e32 v31, v22, v49
	v_mul_f32_e32 v22, v23, v32
	s_waitcnt lgkmcnt(1)
	v_sub_f32_e32 v23, v38, v54
	v_pk_add_f32 v[0:1], v[0:1], v[28:29]
	v_mul_f32_e32 v33, v22, v51
	v_mul_f32_e32 v22, v23, v34
	v_pk_add_f32 v[0:1], v[0:1], v[30:31]
	s_waitcnt lgkmcnt(0)
	v_sub_f32_e32 v21, v39, v21
	v_mul_f32_e32 v35, v22, v53
	v_pk_add_f32 v[0:1], v[0:1], v[32:33]
	v_mul_f32_e32 v21, v21, v36
	v_pk_add_f32 v[0:1], v[0:1], v[34:35]
	v_mul_f32_e32 v37, v21, v55
	v_pk_add_f32 v[0:1], v[0:1], v[36:37]
	s_cbranch_vccz .LBB79_10
.LBB79_7:                               ; =>This Inner Loop Header: Depth=1
	v_mov_b32_e32 v22, 0
	v_mov_b32_e32 v21, 0
	s_and_saveexec_b64 s[26:27], s[4:5]
	s_cbranch_execz .LBB79_6
; %bb.8:                                ;   in Loop: Header=BB79_7 Depth=1
	v_cmp_gt_i64_e32 vcc, s[16:17], v[2:3]
	v_mov_b32_e32 v21, 0
	v_mov_b32_e32 v22, 0
	s_and_saveexec_b64 s[28:29], vcc
	s_cbranch_execz .LBB79_5
; %bb.9:                                ;   in Loop: Header=BB79_7 Depth=1
	v_lshl_add_u64 v[26:27], s[12:13], 0, v[4:5]
	v_lshl_add_u64 v[24:25], s[14:15], 0, v[4:5]
	global_load_dword v21, v[26:27], off
	global_load_dword v22, v[24:25], off
	s_branch .LBB79_5
.LBB79_10:
	v_mov_b32_e32 v4, v12
.LBB79_11:
	s_load_dwordx4 s[4:7], s[0:1], 0x30
	s_movk_i32 s0, 0x41
	v_mad_u32_u24 v2, v4, s0, v10
	v_lshl_add_u32 v2, v2, 2, 0
	v_lshrrev_b32_e32 v12, 6, v10
	ds_write_b32 v2, v1
	ds_write_b32 v2, v0 offset:4160
	v_add_u32_e32 v0, v12, v4
	s_mov_b32 s3, 0
	v_cmp_gt_u32_e32 vcc, 64, v0
	s_waitcnt lgkmcnt(0)
	s_barrier
	s_and_saveexec_b64 s[0:1], vcc
	s_cbranch_execz .LBB79_21
; %bb.12:
	v_and_b32_e32 v1, 63, v10
	v_cmp_gt_u32_e64 s[0:1], 16, v1
	v_mul_u32_u24_e32 v13, 0x41, v1
	v_mbcnt_hi_u32_b32 v1, -1, v11
	v_and_b32_e32 v2, 64, v1
	v_add_u32_e32 v2, 64, v2
	v_xor_b32_e32 v3, 8, v1
	v_cmp_lt_i32_e32 vcc, v3, v2
	s_lshl_b64 s[10:11], s[2:3], 6
	v_mov_b32_e32 v5, 0
	v_cndmask_b32_e32 v3, v1, v3, vcc
	v_lshlrev_b32_e32 v6, 2, v3
	v_xor_b32_e32 v3, 4, v1
	v_cmp_lt_i32_e32 vcc, v3, v2
	v_cmp_eq_u32_e64 s[2:3], 0, v10
	v_add_u32_e32 v10, -16, v0
	v_cndmask_b32_e32 v3, v1, v3, vcc
	v_lshlrev_b32_e32 v7, 2, v3
	v_xor_b32_e32 v3, 2, v1
	v_cmp_lt_i32_e32 vcc, v3, v2
	v_or_b32_e32 v0, s10, v12
	s_cmp_lg_u64 s[4:5], 0
	v_cndmask_b32_e32 v3, v1, v3, vcc
	v_lshlrev_b32_e32 v8, 2, v3
	v_xor_b32_e32 v3, 1, v1
	v_cmp_lt_i32_e32 vcc, v3, v2
	s_cselect_b64 s[12:13], -1, 0
	s_cmp_lg_u64 s[6:7], 0
	v_cndmask_b32_e32 v1, v1, v3, vcc
	v_lshlrev_b32_e32 v9, 2, v1
	v_mov_b32_e32 v1, s11
	v_lshl_add_u64 v[0:1], v[0:1], 0, v[4:5]
	v_lshlrev_b64 v[2:3], 1, v[0:1]
	v_add3_u32 v4, v13, v4, v12
	v_lshl_add_u64 v[0:1], s[6:7], 0, v[2:3]
	v_lshl_add_u32 v11, v4, 2, 0
	v_cndmask_b32_e64 v4, 0, 1, s[12:13]
	s_cselect_b64 s[6:7], -1, 0
	v_lshl_add_u64 v[2:3], s[4:5], 0, v[2:3]
	v_cmp_ne_u32_e64 s[4:5], 1, v4
	v_cndmask_b32_e64 v4, 0, 1, s[6:7]
	s_mov_b64 s[8:9], 0
	v_cmp_ne_u32_e64 s[6:7], 1, v4
                                        ; implicit-def: $vgpr4
	s_branch .LBB79_14
.LBB79_13:                              ;   in Loop: Header=BB79_14 Depth=1
	s_or_b64 exec, exec, s[10:11]
	v_add_u32_e32 v10, 16, v10
	v_cmp_lt_u32_e32 vcc, 47, v10
	v_lshl_add_u64 v[0:1], v[0:1], 0, 32
	v_lshl_add_u64 v[2:3], v[2:3], 0, 32
	s_or_b64 s[8:9], vcc, s[8:9]
	v_add_u32_e32 v11, 64, v11
	s_andn2_b64 exec, exec, s[8:9]
	s_cbranch_execz .LBB79_21
.LBB79_14:                              ; =>This Inner Loop Header: Depth=1
	s_and_saveexec_b64 s[10:11], s[0:1]
	s_cbranch_execz .LBB79_16
; %bb.15:                               ;   in Loop: Header=BB79_14 Depth=1
	ds_read_b32 v5, v11
	ds_read_b32 v4, v11 offset:4160
.LBB79_16:                              ;   in Loop: Header=BB79_14 Depth=1
	s_or_b64 exec, exec, s[10:11]
	s_waitcnt lgkmcnt(1)
	ds_bpermute_b32 v13, v6, v5
	s_waitcnt lgkmcnt(1)
	ds_bpermute_b32 v12, v6, v4
	s_waitcnt lgkmcnt(0)
	v_pk_add_f32 v[4:5], v[4:5], v[12:13]
	ds_bpermute_b32 v13, v7, v5
	ds_bpermute_b32 v12, v7, v4
	s_waitcnt lgkmcnt(0)
	v_pk_add_f32 v[4:5], v[4:5], v[12:13]
	ds_bpermute_b32 v13, v8, v5
	;; [unrolled: 4-line block ×3, first 2 shown]
	ds_bpermute_b32 v12, v9, v4
	s_waitcnt lgkmcnt(0)
	v_pk_add_f32 v[4:5], v[4:5], v[12:13]
	s_and_saveexec_b64 s[10:11], s[2:3]
	s_cbranch_execz .LBB79_13
; %bb.17:                               ;   in Loop: Header=BB79_14 Depth=1
	s_and_b64 vcc, exec, s[4:5]
	s_cbranch_vccnz .LBB79_19
; %bb.18:                               ;   in Loop: Header=BB79_14 Depth=1
	v_cvt_f16_f32_e32 v12, v5
	global_store_short v[2:3], v12, off
.LBB79_19:                              ;   in Loop: Header=BB79_14 Depth=1
	s_and_b64 vcc, exec, s[6:7]
	s_cbranch_vccnz .LBB79_13
; %bb.20:                               ;   in Loop: Header=BB79_14 Depth=1
	v_cvt_f16_f32_e32 v12, v4
	global_store_short v[0:1], v12, off
	s_branch .LBB79_13
.LBB79_21:
	s_endpgm
	.section	.rodata,"a",@progbits
	.p2align	6, 0x0
	.amdhsa_kernel _ZN2at6native12_GLOBAL__N_135GammaBetaBackwardCUDAKernelTemplateIN3c104HalfEfLj64ELj16ELj128ELb0ELb1ELb0EEEvllPKT_S7_PKT0_SA_PS5_SB_
		.amdhsa_group_segment_fixed_size 0
		.amdhsa_private_segment_fixed_size 0
		.amdhsa_kernarg_size 320
		.amdhsa_user_sgpr_count 2
		.amdhsa_user_sgpr_dispatch_ptr 0
		.amdhsa_user_sgpr_queue_ptr 0
		.amdhsa_user_sgpr_kernarg_segment_ptr 1
		.amdhsa_user_sgpr_dispatch_id 0
		.amdhsa_user_sgpr_kernarg_preload_length 0
		.amdhsa_user_sgpr_kernarg_preload_offset 0
		.amdhsa_user_sgpr_private_segment_size 0
		.amdhsa_uses_dynamic_stack 0
		.amdhsa_enable_private_segment 0
		.amdhsa_system_sgpr_workgroup_id_x 1
		.amdhsa_system_sgpr_workgroup_id_y 1
		.amdhsa_system_sgpr_workgroup_id_z 0
		.amdhsa_system_sgpr_workgroup_info 0
		.amdhsa_system_vgpr_workitem_id 1
		.amdhsa_next_free_vgpr 56
		.amdhsa_next_free_sgpr 30
		.amdhsa_accum_offset 56
		.amdhsa_reserve_vcc 1
		.amdhsa_float_round_mode_32 0
		.amdhsa_float_round_mode_16_64 0
		.amdhsa_float_denorm_mode_32 3
		.amdhsa_float_denorm_mode_16_64 3
		.amdhsa_dx10_clamp 1
		.amdhsa_ieee_mode 1
		.amdhsa_fp16_overflow 0
		.amdhsa_tg_split 0
		.amdhsa_exception_fp_ieee_invalid_op 0
		.amdhsa_exception_fp_denorm_src 0
		.amdhsa_exception_fp_ieee_div_zero 0
		.amdhsa_exception_fp_ieee_overflow 0
		.amdhsa_exception_fp_ieee_underflow 0
		.amdhsa_exception_fp_ieee_inexact 0
		.amdhsa_exception_int_div_zero 0
	.end_amdhsa_kernel
	.section	.text._ZN2at6native12_GLOBAL__N_135GammaBetaBackwardCUDAKernelTemplateIN3c104HalfEfLj64ELj16ELj128ELb0ELb1ELb0EEEvllPKT_S7_PKT0_SA_PS5_SB_,"axG",@progbits,_ZN2at6native12_GLOBAL__N_135GammaBetaBackwardCUDAKernelTemplateIN3c104HalfEfLj64ELj16ELj128ELb0ELb1ELb0EEEvllPKT_S7_PKT0_SA_PS5_SB_,comdat
.Lfunc_end79:
	.size	_ZN2at6native12_GLOBAL__N_135GammaBetaBackwardCUDAKernelTemplateIN3c104HalfEfLj64ELj16ELj128ELb0ELb1ELb0EEEvllPKT_S7_PKT0_SA_PS5_SB_, .Lfunc_end79-_ZN2at6native12_GLOBAL__N_135GammaBetaBackwardCUDAKernelTemplateIN3c104HalfEfLj64ELj16ELj128ELb0ELb1ELb0EEEvllPKT_S7_PKT0_SA_PS5_SB_
                                        ; -- End function
	.section	.AMDGPU.csdata,"",@progbits
; Kernel info:
; codeLenInByte = 1732
; NumSgprs: 36
; NumVgprs: 56
; NumAgprs: 0
; TotalNumVgprs: 56
; ScratchSize: 0
; MemoryBound: 0
; FloatMode: 240
; IeeeMode: 1
; LDSByteSize: 0 bytes/workgroup (compile time only)
; SGPRBlocks: 4
; VGPRBlocks: 6
; NumSGPRsForWavesPerEU: 36
; NumVGPRsForWavesPerEU: 56
; AccumOffset: 56
; Occupancy: 8
; WaveLimiterHint : 0
; COMPUTE_PGM_RSRC2:SCRATCH_EN: 0
; COMPUTE_PGM_RSRC2:USER_SGPR: 2
; COMPUTE_PGM_RSRC2:TRAP_HANDLER: 0
; COMPUTE_PGM_RSRC2:TGID_X_EN: 1
; COMPUTE_PGM_RSRC2:TGID_Y_EN: 1
; COMPUTE_PGM_RSRC2:TGID_Z_EN: 0
; COMPUTE_PGM_RSRC2:TIDIG_COMP_CNT: 1
; COMPUTE_PGM_RSRC3_GFX90A:ACCUM_OFFSET: 13
; COMPUTE_PGM_RSRC3_GFX90A:TG_SPLIT: 0
	.section	.text._ZN2at6native12_GLOBAL__N_135GammaBetaBackwardCUDAKernelTemplateIN3c104HalfEfLj64ELj16ELj128ELb0ELb0ELb0EEEvllPKT_S7_PKT0_SA_PS5_SB_,"axG",@progbits,_ZN2at6native12_GLOBAL__N_135GammaBetaBackwardCUDAKernelTemplateIN3c104HalfEfLj64ELj16ELj128ELb0ELb0ELb0EEEvllPKT_S7_PKT0_SA_PS5_SB_,comdat
	.globl	_ZN2at6native12_GLOBAL__N_135GammaBetaBackwardCUDAKernelTemplateIN3c104HalfEfLj64ELj16ELj128ELb0ELb0ELb0EEEvllPKT_S7_PKT0_SA_PS5_SB_ ; -- Begin function _ZN2at6native12_GLOBAL__N_135GammaBetaBackwardCUDAKernelTemplateIN3c104HalfEfLj64ELj16ELj128ELb0ELb0ELb0EEEvllPKT_S7_PKT0_SA_PS5_SB_
	.p2align	8
	.type	_ZN2at6native12_GLOBAL__N_135GammaBetaBackwardCUDAKernelTemplateIN3c104HalfEfLj64ELj16ELj128ELb0ELb0ELb0EEEvllPKT_S7_PKT0_SA_PS5_SB_,@function
_ZN2at6native12_GLOBAL__N_135GammaBetaBackwardCUDAKernelTemplateIN3c104HalfEfLj64ELj16ELj128ELb0ELb0ELb0EEEvllPKT_S7_PKT0_SA_PS5_SB_: ; @_ZN2at6native12_GLOBAL__N_135GammaBetaBackwardCUDAKernelTemplateIN3c104HalfEfLj64ELj16ELj128ELb0ELb0ELb0EEEvllPKT_S7_PKT0_SA_PS5_SB_
; %bb.0:
	s_load_dwordx8 s[8:15], s[0:1], 0x0
	s_load_dwordx4 s[24:27], s[0:1], 0x20
	s_lshl_b32 s33, s2, 6
	s_mov_b32 s16, 0
	s_or_b32 s4, s33, 63
	s_mov_b32 s5, s16
	s_waitcnt lgkmcnt(0)
	v_mov_b64_e32 v[2:3], s[10:11]
	v_cmp_ge_i64_e32 vcc, s[4:5], v[2:3]
	s_lshl_b32 s28, s3, 7
	s_mov_b32 s29, s16
	v_mov_b64_e32 v[2:3], s[8:9]
	v_cmp_lt_i64_e64 s[4:5], s[28:29], v[2:3]
	s_nop 1
	v_cndmask_b32_e64 v1, 0, 1, s[4:5]
	v_cmp_ne_u32_e64 s[4:5], 1, v1
	s_cbranch_vccz .LBB80_48
; %bb.1:
	v_mov_b32_e32 v43, 0
	s_and_b64 vcc, exec, s[4:5]
	v_mov_b32_e32 v42, v43
	s_cbranch_vccnz .LBB80_49
; %bb.2:
	v_mov_b32_e32 v3, 0
	v_bfe_u32 v66, v0, 10, 10
	s_load_dword s3, s[0:1], 0x44
	v_lshlrev_b32_e32 v26, 3, v66
	v_mov_b32_e32 v27, v3
	v_and_b32_e32 v1, 0x3ff, v0
	v_lshl_add_u64 v[4:5], v[26:27], 0, s[28:29]
	v_add_u32_e32 v2, s33, v1
	v_lshl_add_u64 v[6:7], v[4:5], 0, 7
	s_add_u32 s30, s0, 64
	v_cmp_gt_i64_e64 s[6:7], s[10:11], v[2:3]
	v_lshlrev_b64 v[28:29], 1, v[2:3]
	v_mul_lo_u32 v2, s11, v6
	v_mul_lo_u32 v8, s10, v7
	v_mad_u64_u32 v[6:7], s[18:19], s10, v6, 0
	s_addc_u32 s31, s1, 0
	s_waitcnt lgkmcnt(0)
	s_lshl_b32 s3, s3, 7
	v_add3_u32 v7, v7, v8, v2
	v_lshlrev_b64 v[6:7], 1, v[6:7]
	s_mul_i32 s17, s11, s3
	s_mul_hi_u32 s18, s10, s3
	v_lshl_add_u64 v[30:31], s[12:13], 0, v[6:7]
	s_add_i32 s19, s18, s17
	s_mul_i32 s18, s10, s3
	v_lshl_add_u64 v[32:33], s[14:15], 0, v[6:7]
	v_lshl_add_u64 v[6:7], v[4:5], 0, 6
	s_lshl_b64 s[34:35], s[18:19], 1
	v_mul_lo_u32 v2, s11, v6
	v_mul_lo_u32 v8, s10, v7
	v_mad_u64_u32 v[6:7], s[18:19], s10, v6, 0
	v_add3_u32 v7, v7, v8, v2
	v_lshlrev_b64 v[6:7], 1, v[6:7]
	v_lshl_add_u64 v[34:35], s[12:13], 0, v[6:7]
	v_lshl_add_u64 v[36:37], s[14:15], 0, v[6:7]
	v_lshl_add_u64 v[6:7], v[4:5], 0, 5
	v_mul_lo_u32 v2, s11, v6
	v_mul_lo_u32 v8, s10, v7
	v_mad_u64_u32 v[6:7], s[18:19], s10, v6, 0
	v_add3_u32 v7, v7, v8, v2
	v_lshlrev_b64 v[6:7], 1, v[6:7]
	v_lshl_add_u64 v[38:39], s[12:13], 0, v[6:7]
	v_lshl_add_u64 v[40:41], s[14:15], 0, v[6:7]
	v_lshl_add_u64 v[6:7], v[4:5], 0, 4
	v_mul_lo_u32 v2, s11, v6
	v_mul_lo_u32 v8, s10, v7
	v_mad_u64_u32 v[6:7], s[18:19], s10, v6, 0
	v_add3_u32 v7, v7, v8, v2
	v_lshlrev_b64 v[6:7], 1, v[6:7]
	v_lshl_add_u64 v[44:45], s[12:13], 0, v[6:7]
	v_lshl_add_u64 v[46:47], s[14:15], 0, v[6:7]
	v_lshl_add_u64 v[6:7], v[4:5], 0, 3
	v_mul_lo_u32 v2, s11, v6
	v_mul_lo_u32 v8, s10, v7
	v_mad_u64_u32 v[6:7], s[18:19], s10, v6, 0
	v_add3_u32 v7, v7, v8, v2
	v_lshlrev_b64 v[6:7], 1, v[6:7]
	v_lshl_add_u64 v[48:49], s[12:13], 0, v[6:7]
	v_lshl_add_u64 v[50:51], s[14:15], 0, v[6:7]
	v_lshl_add_u64 v[6:7], v[4:5], 0, 2
	v_mul_lo_u32 v2, s11, v6
	v_mul_lo_u32 v8, s10, v7
	v_mad_u64_u32 v[6:7], s[18:19], s10, v6, 0
	v_add3_u32 v7, v7, v8, v2
	v_lshlrev_b64 v[6:7], 1, v[6:7]
	v_lshl_add_u64 v[52:53], s[12:13], 0, v[6:7]
	v_lshl_add_u64 v[54:55], s[14:15], 0, v[6:7]
	v_mov_b64_e32 v[6:7], s[10:11]
	v_mad_u64_u32 v[6:7], s[18:19], s10, v4, v[6:7]
	v_mul_lo_u32 v2, s10, v5
	v_mul_lo_u32 v8, s11, v4
	v_mad_u64_u32 v[4:5], s[18:19], s10, v4, 0
	v_add3_u32 v7, v8, v7, v2
	v_add3_u32 v5, v5, v2, v8
	v_mbcnt_lo_u32_b32 v2, -1, 0
	v_mbcnt_hi_u32_b32 v2, -1, v2
	v_lshlrev_b64 v[6:7], 1, v[6:7]
	s_add_u32 s36, s28, 0x7f
	v_lshlrev_b64 v[4:5], 1, v[4:5]
	s_movk_i32 s38, 0xff81
	s_movk_i32 s40, 0xff82
	;; [unrolled: 1-line block ×8, first 2 shown]
	v_lshlrev_b32_e32 v2, 2, v2
	v_lshl_add_u64 v[56:57], s[12:13], 0, v[6:7]
	v_lshl_add_u64 v[58:59], s[14:15], 0, v[6:7]
	s_addc_u32 s37, 0, 0
	v_lshl_add_u64 v[60:61], s[12:13], 0, v[4:5]
	v_lshl_add_u64 v[62:63], s[14:15], 0, v[4:5]
	s_mov_b32 s39, -1
	s_mov_b32 s41, -1
	;; [unrolled: 1-line block ×8, first 2 shown]
	v_and_b32_e32 v67, 0x100, v2
	s_mov_b64 s[54:55], s[28:29]
	v_mov_b32_e32 v42, v3
	v_mov_b32_e32 v43, v3
	s_branch .LBB80_5
.LBB80_3:                               ;   in Loop: Header=BB80_5 Depth=1
	s_or_b64 exec, exec, s[18:19]
	s_waitcnt vmcnt(1)
	ds_bpermute_b32 v2, v67, v69
	ds_bpermute_b32 v4, v67, v69 offset:4
	s_waitcnt vmcnt(0)
	ds_bpermute_b32 v5, v67, v68
	ds_bpermute_b32 v6, v67, v68 offset:4
	ds_bpermute_b32 v8, v67, v68 offset:12
	s_waitcnt lgkmcnt(4)
	v_sub_f32_e32 v2, v10, v2
	v_mul_f32_e32 v2, v18, v2
	s_waitcnt lgkmcnt(3)
	v_sub_f32_e32 v4, v11, v4
	s_waitcnt lgkmcnt(2)
	v_mul_f32_e32 v5, v2, v5
	ds_bpermute_b32 v2, v67, v69 offset:8
	v_mul_f32_e32 v4, v19, v4
	s_waitcnt lgkmcnt(2)
	v_mul_f32_e32 v7, v4, v6
	ds_bpermute_b32 v4, v67, v68 offset:8
	ds_bpermute_b32 v6, v67, v69 offset:12
	s_waitcnt lgkmcnt(2)
	v_sub_f32_e32 v2, v12, v2
	v_mul_f32_e32 v2, v20, v2
	v_mov_b32_e32 v10, v21
	s_waitcnt lgkmcnt(1)
	v_mul_f32_e32 v9, v2, v4
	s_waitcnt lgkmcnt(0)
	v_sub_f32_e32 v2, v13, v6
	ds_bpermute_b32 v4, v67, v69 offset:16
	v_mul_f32_e32 v2, v21, v2
	v_mul_f32_e32 v11, v2, v8
	ds_bpermute_b32 v2, v67, v68 offset:16
	ds_bpermute_b32 v6, v67, v69 offset:20
	ds_bpermute_b32 v8, v67, v68 offset:20
	s_waitcnt lgkmcnt(3)
	v_sub_f32_e32 v4, v14, v4
	v_mul_f32_e32 v4, v22, v4
	s_waitcnt lgkmcnt(2)
	v_mul_f32_e32 v13, v4, v2
	s_waitcnt lgkmcnt(1)
	v_sub_f32_e32 v2, v15, v6
	v_mul_f32_e32 v2, v23, v2
	s_waitcnt lgkmcnt(0)
	v_mul_f32_e32 v15, v2, v8
	v_mov_b32_e32 v4, v18
	ds_bpermute_b32 v2, v67, v69 offset:24
	v_pk_add_f32 v[4:5], v[42:43], v[4:5]
	v_mov_b32_e32 v6, v19
	v_pk_add_f32 v[4:5], v[6:7], v[4:5]
	ds_bpermute_b32 v7, v67, v68 offset:24
	v_mov_b32_e32 v8, v20
	v_pk_add_f32 v[4:5], v[8:9], v[4:5]
	v_mov_b32_e32 v12, v22
	v_pk_add_f32 v[4:5], v[10:11], v[4:5]
	s_waitcnt lgkmcnt(1)
	v_sub_f32_e32 v8, v16, v2
	v_pk_add_f32 v[4:5], v[12:13], v[4:5]
	v_mov_b32_e32 v14, v23
	v_mul_f32_e32 v8, v24, v8
	v_pk_add_f32 v[4:5], v[14:15], v[4:5]
	s_waitcnt lgkmcnt(0)
	v_mul_f32_e32 v9, v8, v7
	v_mov_b32_e32 v8, v24
	ds_bpermute_b32 v2, v67, v68 offset:28
	ds_bpermute_b32 v6, v67, v69 offset:28
	v_pk_add_f32 v[4:5], v[8:9], v[4:5]
.LBB80_4:                               ;   in Loop: Header=BB80_5 Depth=1
	s_waitcnt lgkmcnt(0)
	v_sub_f32_e32 v6, v17, v6
	v_mul_f32_e32 v6, v25, v6
	v_mul_f32_e32 v7, v6, v2
	v_mov_b32_e32 v6, v25
	s_add_u32 s54, s54, s3
	v_pk_add_f32 v[42:43], v[4:5], v[6:7]
	s_addc_u32 s55, s55, 0
	v_mov_b64_e32 v[4:5], s[8:9]
	s_add_u32 s36, s36, s3
	v_cmp_lt_i64_e32 vcc, s[54:55], v[4:5]
	v_lshl_add_u64 v[30:31], v[30:31], 0, s[34:35]
	v_lshl_add_u64 v[32:33], v[32:33], 0, s[34:35]
	;; [unrolled: 1-line block ×14, first 2 shown]
	s_addc_u32 s37, s37, 0
	v_lshl_add_u64 v[60:61], v[60:61], 0, s[34:35]
	v_lshl_add_u64 v[62:63], v[62:63], 0, s[34:35]
	s_cbranch_vccz .LBB80_49
.LBB80_5:                               ; =>This Inner Loop Header: Depth=1
	v_mov_b64_e32 v[4:5], s[8:9]
	v_cmp_ge_i64_e32 vcc, s[36:37], v[4:5]
	v_lshl_add_u64 v[64:65], v[26:27], 0, s[36:37]
	s_cbranch_vccz .LBB80_27
; %bb.6:                                ;   in Loop: Header=BB80_5 Depth=1
	s_load_dword s17, s[30:31], 0xc
	v_mov_b32_e32 v68, 0
	v_mov_b32_e32 v69, 0
	s_waitcnt lgkmcnt(0)
	s_and_b32 s17, s17, 0xffff
	v_mad_u32_u24 v2, v66, s17, v1
	v_and_b32_e32 v2, 63, v2
	v_cmp_gt_u32_e32 vcc, 8, v2
	s_and_saveexec_b64 s[18:19], vcc
	s_cbranch_execz .LBB80_10
; %bb.7:                                ;   in Loop: Header=BB80_5 Depth=1
	v_lshl_add_u64 v[4:5], v[64:65], 0, v[2:3]
	v_lshl_add_u64 v[4:5], v[4:5], 0, s[38:39]
	v_cmp_gt_i64_e32 vcc, s[8:9], v[4:5]
	v_mov_b32_e32 v69, 0
	v_mov_b32_e32 v68, 0
	s_and_saveexec_b64 s[20:21], vcc
	s_cbranch_execz .LBB80_9
; %bb.8:                                ;   in Loop: Header=BB80_5 Depth=1
	v_lshlrev_b64 v[4:5], 2, v[4:5]
	v_lshl_add_u64 v[6:7], s[26:27], 0, v[4:5]
	v_lshl_add_u64 v[4:5], s[24:25], 0, v[4:5]
	global_load_dword v69, v[4:5], off
	global_load_dword v68, v[6:7], off
.LBB80_9:                               ;   in Loop: Header=BB80_5 Depth=1
	s_or_b64 exec, exec, s[20:21]
.LBB80_10:                              ;   in Loop: Header=BB80_5 Depth=1
	s_or_b64 exec, exec, s[18:19]
	s_mov_b32 s17, s16
	s_mov_b32 s18, s16
	;; [unrolled: 1-line block ×7, first 2 shown]
	v_mov_b64_e32 v[10:11], s[16:17]
	v_lshl_add_u64 v[4:5], v[64:65], 0, s[38:39]
	v_mov_b64_e32 v[16:17], s[22:23]
	v_cmp_gt_i64_e32 vcc, s[8:9], v[4:5]
	v_mov_b64_e32 v[12:13], s[18:19]
	v_mov_b64_e32 v[14:15], s[20:21]
	;; [unrolled: 1-line block ×3, first 2 shown]
	s_and_b64 s[56:57], s[6:7], vcc
	v_mov_b64_e32 v[22:23], v[14:15]
	v_mov_b64_e32 v[20:21], v[12:13]
	;; [unrolled: 1-line block ×3, first 2 shown]
	s_and_saveexec_b64 s[18:19], s[56:57]
	s_cbranch_execz .LBB80_12
; %bb.11:                               ;   in Loop: Header=BB80_5 Depth=1
	v_lshl_add_u64 v[4:5], v[60:61], 0, v[28:29]
	global_load_ushort v2, v[4:5], off
	v_lshl_add_u64 v[4:5], v[62:63], 0, v[28:29]
	global_load_ushort v10, v[4:5], off
	v_mov_b32_e32 v8, v3
	v_mov_b32_e32 v9, v3
	;; [unrolled: 1-line block ×13, first 2 shown]
	s_waitcnt vmcnt(1)
	v_cvt_f32_f16_e32 v2, v2
	v_mov_b64_e32 v[24:25], v[8:9]
	s_waitcnt vmcnt(0)
	v_cvt_f32_f16_e32 v10, v10
	v_mov_b64_e32 v[22:23], v[6:7]
	v_mov_b64_e32 v[20:21], v[4:5]
	;; [unrolled: 1-line block ×3, first 2 shown]
.LBB80_12:                              ;   in Loop: Header=BB80_5 Depth=1
	s_or_b64 exec, exec, s[18:19]
	v_lshl_add_u64 v[4:5], v[64:65], 0, s[40:41]
	v_cmp_gt_i64_e32 vcc, s[8:9], v[4:5]
	s_and_b64 s[20:21], s[6:7], vcc
	s_and_saveexec_b64 s[18:19], s[20:21]
	s_cbranch_execz .LBB80_14
; %bb.13:                               ;   in Loop: Header=BB80_5 Depth=1
	v_lshl_add_u64 v[4:5], v[56:57], 0, v[28:29]
	global_load_ushort v2, v[4:5], off
	v_lshl_add_u64 v[4:5], v[58:59], 0, v[28:29]
	global_load_ushort v4, v[4:5], off
	s_waitcnt vmcnt(1)
	v_cvt_f32_f16_e32 v19, v2
	s_waitcnt vmcnt(0)
	v_cvt_f32_f16_e32 v11, v4
.LBB80_14:                              ;   in Loop: Header=BB80_5 Depth=1
	s_or_b64 exec, exec, s[18:19]
	v_lshl_add_u64 v[4:5], v[64:65], 0, s[42:43]
	v_cmp_gt_i64_e32 vcc, s[8:9], v[4:5]
	s_and_b64 s[20:21], s[6:7], vcc
	s_and_saveexec_b64 s[18:19], s[20:21]
	s_cbranch_execz .LBB80_16
; %bb.15:                               ;   in Loop: Header=BB80_5 Depth=1
	v_lshl_add_u64 v[4:5], v[52:53], 0, v[28:29]
	global_load_ushort v2, v[4:5], off
	v_lshl_add_u64 v[4:5], v[54:55], 0, v[28:29]
	global_load_ushort v4, v[4:5], off
	s_waitcnt vmcnt(1)
	v_cvt_f32_f16_e32 v20, v2
	s_waitcnt vmcnt(0)
	v_cvt_f32_f16_e32 v12, v4
.LBB80_16:                              ;   in Loop: Header=BB80_5 Depth=1
	;; [unrolled: 16-line block ×7, first 2 shown]
	s_or_b64 exec, exec, s[18:19]
	s_waitcnt vmcnt(1)
	ds_bpermute_b32 v2, v67, v69
	ds_bpermute_b32 v4, v67, v69 offset:4
	s_waitcnt vmcnt(0)
	ds_bpermute_b32 v5, v67, v68
	ds_bpermute_b32 v6, v67, v68 offset:4
	ds_bpermute_b32 v8, v67, v68 offset:12
	s_waitcnt lgkmcnt(4)
	v_sub_f32_e32 v2, v10, v2
	v_mul_f32_e32 v2, v18, v2
	s_waitcnt lgkmcnt(3)
	v_sub_f32_e32 v4, v11, v4
	s_waitcnt lgkmcnt(2)
	v_mul_f32_e32 v5, v2, v5
	ds_bpermute_b32 v2, v67, v69 offset:8
	v_mul_f32_e32 v4, v19, v4
	s_waitcnt lgkmcnt(2)
	v_mul_f32_e32 v7, v4, v6
	ds_bpermute_b32 v4, v67, v68 offset:8
	ds_bpermute_b32 v6, v67, v69 offset:12
	s_waitcnt lgkmcnt(2)
	v_sub_f32_e32 v2, v12, v2
	v_mul_f32_e32 v2, v20, v2
	v_mov_b32_e32 v10, v21
	s_waitcnt lgkmcnt(1)
	v_mul_f32_e32 v9, v2, v4
	s_waitcnt lgkmcnt(0)
	v_sub_f32_e32 v2, v13, v6
	ds_bpermute_b32 v4, v67, v69 offset:16
	v_mul_f32_e32 v2, v21, v2
	v_mul_f32_e32 v11, v2, v8
	ds_bpermute_b32 v2, v67, v68 offset:16
	ds_bpermute_b32 v6, v67, v69 offset:20
	;; [unrolled: 1-line block ×3, first 2 shown]
	s_waitcnt lgkmcnt(3)
	v_sub_f32_e32 v4, v14, v4
	v_mul_f32_e32 v4, v22, v4
	s_waitcnt lgkmcnt(2)
	v_mul_f32_e32 v13, v4, v2
	s_waitcnt lgkmcnt(1)
	v_sub_f32_e32 v2, v15, v6
	v_mul_f32_e32 v2, v23, v2
	s_waitcnt lgkmcnt(0)
	v_mul_f32_e32 v15, v2, v8
	ds_bpermute_b32 v2, v67, v69 offset:24
	v_mov_b32_e32 v4, v18
	v_pk_add_f32 v[4:5], v[42:43], v[4:5]
	v_mov_b32_e32 v6, v19
	v_pk_add_f32 v[4:5], v[6:7], v[4:5]
	ds_bpermute_b32 v7, v67, v68 offset:24
	v_mov_b32_e32 v8, v20
	s_waitcnt lgkmcnt(1)
	v_sub_f32_e32 v2, v16, v2
	v_pk_add_f32 v[4:5], v[8:9], v[4:5]
	v_mul_f32_e32 v8, v24, v2
	ds_bpermute_b32 v2, v67, v68 offset:28
	ds_bpermute_b32 v6, v67, v69 offset:28
	v_pk_add_f32 v[4:5], v[10:11], v[4:5]
	v_mov_b32_e32 v12, v22
	v_pk_add_f32 v[4:5], v[12:13], v[4:5]
	v_mov_b32_e32 v14, v23
	v_pk_add_f32 v[4:5], v[14:15], v[4:5]
	s_waitcnt lgkmcnt(2)
	v_mul_f32_e32 v9, v8, v7
	v_mov_b32_e32 v8, v24
	v_pk_add_f32 v[4:5], v[8:9], v[4:5]
	s_branch .LBB80_4
.LBB80_27:                              ;   in Loop: Header=BB80_5 Depth=1
                                        ; implicit-def: $vgpr4_vgpr5
                                        ; implicit-def: $vgpr2
                                        ; implicit-def: $vgpr10_vgpr11_vgpr12_vgpr13_vgpr14_vgpr15_vgpr16_vgpr17
                                        ; implicit-def: $vgpr18_vgpr19_vgpr20_vgpr21_vgpr22_vgpr23_vgpr24_vgpr25
                                        ; implicit-def: $vgpr6
	s_cbranch_execz .LBB80_4
; %bb.28:                               ;   in Loop: Header=BB80_5 Depth=1
	s_load_dword s17, s[30:31], 0x0
	v_mov_b32_e32 v68, 0
	v_mov_b32_e32 v69, 0
	s_waitcnt lgkmcnt(0)
	s_cmp_lt_u32 s2, s17
	s_cselect_b32 s17, 12, 18
	s_add_u32 s18, s30, s17
	s_addc_u32 s19, s31, 0
	global_load_ushort v2, v3, s[18:19]
	s_waitcnt vmcnt(0)
	v_mad_u32_u24 v2, v66, v2, v1
	v_and_b32_e32 v2, 63, v2
	v_cmp_gt_u32_e32 vcc, 8, v2
	s_and_saveexec_b64 s[18:19], vcc
	s_cbranch_execz .LBB80_32
; %bb.29:                               ;   in Loop: Header=BB80_5 Depth=1
	v_lshl_add_u64 v[4:5], v[64:65], 0, v[2:3]
	v_lshl_add_u64 v[4:5], v[4:5], 0, s[38:39]
	v_cmp_gt_i64_e32 vcc, s[8:9], v[4:5]
	v_mov_b32_e32 v69, 0
	v_mov_b32_e32 v68, 0
	s_and_saveexec_b64 s[20:21], vcc
	s_cbranch_execz .LBB80_31
; %bb.30:                               ;   in Loop: Header=BB80_5 Depth=1
	v_lshlrev_b64 v[4:5], 2, v[4:5]
	v_lshl_add_u64 v[6:7], s[26:27], 0, v[4:5]
	v_lshl_add_u64 v[4:5], s[24:25], 0, v[4:5]
	global_load_dword v69, v[4:5], off
	global_load_dword v68, v[6:7], off
.LBB80_31:                              ;   in Loop: Header=BB80_5 Depth=1
	s_or_b64 exec, exec, s[20:21]
.LBB80_32:                              ;   in Loop: Header=BB80_5 Depth=1
	s_or_b64 exec, exec, s[18:19]
	s_mov_b32 s17, s16
	s_mov_b32 s18, s16
	;; [unrolled: 1-line block ×7, first 2 shown]
	v_mov_b64_e32 v[10:11], s[16:17]
	v_mov_b64_e32 v[16:17], s[22:23]
	;; [unrolled: 1-line block ×8, first 2 shown]
	s_and_saveexec_b64 s[18:19], s[6:7]
	s_cbranch_execnz .LBB80_40
; %bb.33:                               ;   in Loop: Header=BB80_5 Depth=1
	s_or_b64 exec, exec, s[18:19]
	s_and_saveexec_b64 s[18:19], s[6:7]
	s_cbranch_execnz .LBB80_41
.LBB80_34:                              ;   in Loop: Header=BB80_5 Depth=1
	s_or_b64 exec, exec, s[18:19]
	s_and_saveexec_b64 s[18:19], s[6:7]
	s_cbranch_execnz .LBB80_42
.LBB80_35:                              ;   in Loop: Header=BB80_5 Depth=1
	s_or_b64 exec, exec, s[18:19]
	s_and_saveexec_b64 s[18:19], s[6:7]
	s_cbranch_execnz .LBB80_43
.LBB80_36:                              ;   in Loop: Header=BB80_5 Depth=1
	s_or_b64 exec, exec, s[18:19]
	s_and_saveexec_b64 s[18:19], s[6:7]
	s_cbranch_execnz .LBB80_44
.LBB80_37:                              ;   in Loop: Header=BB80_5 Depth=1
	s_or_b64 exec, exec, s[18:19]
	s_and_saveexec_b64 s[18:19], s[6:7]
	s_cbranch_execnz .LBB80_45
.LBB80_38:                              ;   in Loop: Header=BB80_5 Depth=1
	s_or_b64 exec, exec, s[18:19]
	s_and_saveexec_b64 s[18:19], s[6:7]
	s_cbranch_execnz .LBB80_46
.LBB80_39:                              ;   in Loop: Header=BB80_5 Depth=1
	s_or_b64 exec, exec, s[18:19]
	s_and_saveexec_b64 s[18:19], s[6:7]
	s_cbranch_execz .LBB80_3
	s_branch .LBB80_47
.LBB80_40:                              ;   in Loop: Header=BB80_5 Depth=1
	v_lshl_add_u64 v[4:5], v[60:61], 0, v[28:29]
	global_load_ushort v2, v[4:5], off
	v_lshl_add_u64 v[4:5], v[62:63], 0, v[28:29]
	global_load_ushort v10, v[4:5], off
	v_mov_b32_e32 v8, v3
	v_mov_b32_e32 v9, v3
	;; [unrolled: 1-line block ×13, first 2 shown]
	s_waitcnt vmcnt(1)
	v_cvt_f32_f16_e32 v2, v2
	v_mov_b64_e32 v[24:25], v[8:9]
	s_waitcnt vmcnt(0)
	v_cvt_f32_f16_e32 v10, v10
	v_mov_b64_e32 v[22:23], v[6:7]
	v_mov_b64_e32 v[20:21], v[4:5]
	;; [unrolled: 1-line block ×3, first 2 shown]
	s_or_b64 exec, exec, s[18:19]
	s_and_saveexec_b64 s[18:19], s[6:7]
	s_cbranch_execz .LBB80_34
.LBB80_41:                              ;   in Loop: Header=BB80_5 Depth=1
	v_lshl_add_u64 v[4:5], v[56:57], 0, v[28:29]
	global_load_ushort v2, v[4:5], off
	v_lshl_add_u64 v[4:5], v[58:59], 0, v[28:29]
	global_load_ushort v4, v[4:5], off
	s_waitcnt vmcnt(1)
	v_cvt_f32_f16_e32 v19, v2
	s_waitcnt vmcnt(0)
	v_cvt_f32_f16_e32 v11, v4
	s_or_b64 exec, exec, s[18:19]
	s_and_saveexec_b64 s[18:19], s[6:7]
	s_cbranch_execz .LBB80_35
.LBB80_42:                              ;   in Loop: Header=BB80_5 Depth=1
	v_lshl_add_u64 v[4:5], v[52:53], 0, v[28:29]
	global_load_ushort v2, v[4:5], off
	v_lshl_add_u64 v[4:5], v[54:55], 0, v[28:29]
	global_load_ushort v4, v[4:5], off
	s_waitcnt vmcnt(1)
	v_cvt_f32_f16_e32 v20, v2
	s_waitcnt vmcnt(0)
	v_cvt_f32_f16_e32 v12, v4
	s_or_b64 exec, exec, s[18:19]
	s_and_saveexec_b64 s[18:19], s[6:7]
	s_cbranch_execz .LBB80_36
.LBB80_43:                              ;   in Loop: Header=BB80_5 Depth=1
	v_lshl_add_u64 v[4:5], v[48:49], 0, v[28:29]
	global_load_ushort v2, v[4:5], off
	v_lshl_add_u64 v[4:5], v[50:51], 0, v[28:29]
	global_load_ushort v4, v[4:5], off
	s_waitcnt vmcnt(1)
	v_cvt_f32_f16_e32 v21, v2
	s_waitcnt vmcnt(0)
	v_cvt_f32_f16_e32 v13, v4
	s_or_b64 exec, exec, s[18:19]
	s_and_saveexec_b64 s[18:19], s[6:7]
	s_cbranch_execz .LBB80_37
.LBB80_44:                              ;   in Loop: Header=BB80_5 Depth=1
	v_lshl_add_u64 v[4:5], v[44:45], 0, v[28:29]
	global_load_ushort v2, v[4:5], off
	v_lshl_add_u64 v[4:5], v[46:47], 0, v[28:29]
	global_load_ushort v4, v[4:5], off
	s_waitcnt vmcnt(1)
	v_cvt_f32_f16_e32 v22, v2
	s_waitcnt vmcnt(0)
	v_cvt_f32_f16_e32 v14, v4
	s_or_b64 exec, exec, s[18:19]
	s_and_saveexec_b64 s[18:19], s[6:7]
	s_cbranch_execz .LBB80_38
.LBB80_45:                              ;   in Loop: Header=BB80_5 Depth=1
	v_lshl_add_u64 v[4:5], v[38:39], 0, v[28:29]
	global_load_ushort v2, v[4:5], off
	v_lshl_add_u64 v[4:5], v[40:41], 0, v[28:29]
	global_load_ushort v4, v[4:5], off
	s_waitcnt vmcnt(1)
	v_cvt_f32_f16_e32 v23, v2
	s_waitcnt vmcnt(0)
	v_cvt_f32_f16_e32 v15, v4
	s_or_b64 exec, exec, s[18:19]
	s_and_saveexec_b64 s[18:19], s[6:7]
	s_cbranch_execz .LBB80_39
.LBB80_46:                              ;   in Loop: Header=BB80_5 Depth=1
	v_lshl_add_u64 v[4:5], v[34:35], 0, v[28:29]
	global_load_ushort v2, v[4:5], off
	v_lshl_add_u64 v[4:5], v[36:37], 0, v[28:29]
	global_load_ushort v4, v[4:5], off
	s_waitcnt vmcnt(1)
	v_cvt_f32_f16_e32 v24, v2
	s_waitcnt vmcnt(0)
	v_cvt_f32_f16_e32 v16, v4
	s_or_b64 exec, exec, s[18:19]
	s_and_saveexec_b64 s[18:19], s[6:7]
	s_cbranch_execz .LBB80_3
.LBB80_47:                              ;   in Loop: Header=BB80_5 Depth=1
	v_lshl_add_u64 v[4:5], v[30:31], 0, v[28:29]
	global_load_ushort v2, v[4:5], off
	v_lshl_add_u64 v[4:5], v[32:33], 0, v[28:29]
	global_load_ushort v4, v[4:5], off
	s_waitcnt vmcnt(1)
	v_cvt_f32_f16_e32 v25, v2
	s_waitcnt vmcnt(0)
	v_cvt_f32_f16_e32 v17, v4
	s_branch .LBB80_3
.LBB80_48:
                                        ; implicit-def: $vgpr43
	s_branch .LBB80_50
.LBB80_49:
	s_cbranch_execnz .LBB80_81
.LBB80_50:
	v_mov_b32_e32 v43, 0
	s_mov_b32 s16, 0
	s_and_b64 vcc, exec, s[4:5]
	v_mov_b32_e32 v42, v43
	s_cbranch_vccnz .LBB80_81
; %bb.51:
	v_and_b32_e32 v1, 0x3ff, v0
	v_add_u32_e32 v2, s33, v1
	v_mov_b32_e32 v3, 0
	v_bfe_u32 v96, v0, 10, 10
	v_lshlrev_b64 v[28:29], 1, v[2:3]
	v_lshlrev_b32_e32 v2, 4, v96
	v_lshl_add_u64 v[4:5], s[28:29], 1, v[2:3]
	v_lshl_add_u64 v[6:7], v[4:5], 0, 2
	v_mov_b64_e32 v[8:9], s[12:13]
	v_lshl_add_u64 v[10:11], v[4:5], 0, 4
	v_lshl_add_u64 v[12:13], v[4:5], 0, 6
	;; [unrolled: 1-line block ×6, first 2 shown]
	v_mad_u64_u32 v[30:31], s[4:5], s10, v6, v[8:9]
	v_mad_u64_u32 v[32:33], s[4:5], s10, v10, v[8:9]
	;; [unrolled: 1-line block ×7, first 2 shown]
	v_mov_b64_e32 v[8:9], s[14:15]
	v_lshlrev_b32_e32 v26, 3, v96
	v_mov_b32_e32 v27, v3
	v_mul_lo_u32 v2, s10, v7
	v_mul_lo_u32 v7, s11, v6
	v_mad_u64_u32 v[46:47], s[4:5], s10, v6, v[8:9]
	v_add3_u32 v31, v7, v31, v2
	v_mul_lo_u32 v5, s10, v5
	v_mul_lo_u32 v25, s11, v4
	v_add3_u32 v47, v7, v47, v2
	v_lshl_add_u64 v[6:7], v[26:27], 0, s[28:29]
	v_mad_u64_u32 v[58:59], s[4:5], s10, v4, v[8:9]
	v_add3_u32 v45, v25, v45, v5
	v_add3_u32 v59, v25, v59, v5
	v_lshl_add_u64 v[4:5], v[6:7], 0, 7
	v_mad_u64_u32 v[48:49], s[4:5], s10, v10, v[8:9]
	v_mad_u64_u32 v[50:51], s[4:5], s10, v12, v[8:9]
	;; [unrolled: 1-line block ×5, first 2 shown]
	v_mul_lo_u32 v8, s11, v4
	v_mul_lo_u32 v9, s10, v5
	v_mad_u64_u32 v[4:5], s[4:5], s10, v4, 0
	v_mul_lo_u32 v11, s10, v11
	v_mul_lo_u32 v20, s11, v10
	v_add3_u32 v5, v5, v9, v8
	v_lshl_add_u64 v[8:9], v[6:7], 0, 6
	v_add3_u32 v33, v20, v33, v11
	v_add3_u32 v49, v20, v49, v11
	v_mul_lo_u32 v10, s11, v8
	v_mul_lo_u32 v11, s10, v9
	v_mad_u64_u32 v[8:9], s[4:5], s10, v8, 0
	v_mul_lo_u32 v13, s10, v13
	v_mul_lo_u32 v21, s11, v12
	v_add3_u32 v9, v9, v11, v10
	v_lshl_add_u64 v[10:11], v[6:7], 0, 5
	v_add3_u32 v35, v21, v35, v13
	v_add3_u32 v51, v21, v51, v13
	;; [unrolled: 9-line block ×4, first 2 shown]
	v_mul_lo_u32 v16, s11, v14
	v_mul_lo_u32 v17, s10, v15
	v_mad_u64_u32 v[14:15], s[4:5], s10, v14, 0
	v_mul_lo_u32 v19, s10, v19
	v_mul_lo_u32 v24, s11, v18
	v_add3_u32 v15, v15, v17, v16
	v_lshl_add_u64 v[16:17], v[6:7], 0, 2
	s_load_dword s3, s[0:1], 0x44
	v_lshlrev_b64 v[4:5], 1, v[4:5]
	v_add3_u32 v41, v24, v41, v19
	v_add3_u32 v57, v24, v57, v19
	v_mul_lo_u32 v18, s11, v16
	v_mul_lo_u32 v19, s10, v17
	v_mad_u64_u32 v[16:17], s[4:5], s10, v16, 0
	v_lshl_add_u64 v[64:65], s[12:13], 0, v[4:5]
	v_lshl_add_u64 v[66:67], s[14:15], 0, v[4:5]
	v_lshlrev_b64 v[4:5], 1, v[8:9]
	v_add3_u32 v17, v17, v19, v18
	v_mov_b64_e32 v[18:19], s[10:11]
	v_lshl_add_u64 v[68:69], s[12:13], 0, v[4:5]
	v_lshl_add_u64 v[70:71], s[14:15], 0, v[4:5]
	v_lshlrev_b64 v[4:5], 1, v[10:11]
	v_mul_lo_u32 v2, s11, v6
	v_mad_u64_u32 v[18:19], s[4:5], s10, v6, v[18:19]
	v_mul_lo_u32 v20, s10, v7
	v_mad_u64_u32 v[6:7], s[4:5], s10, v6, 0
	v_lshl_add_u64 v[72:73], s[12:13], 0, v[4:5]
	v_lshl_add_u64 v[74:75], s[14:15], 0, v[4:5]
	v_lshlrev_b64 v[4:5], 1, v[12:13]
	s_add_u32 s4, s0, 64
	v_lshl_add_u64 v[76:77], s[12:13], 0, v[4:5]
	v_lshl_add_u64 v[78:79], s[14:15], 0, v[4:5]
	v_lshlrev_b64 v[4:5], 1, v[14:15]
	v_add3_u32 v7, v7, v20, v2
	v_add3_u32 v19, v2, v19, v20
	s_addc_u32 s5, s1, 0
	s_waitcnt lgkmcnt(0)
	s_lshl_b32 s3, s3, 7
	v_lshl_add_u64 v[80:81], s[12:13], 0, v[4:5]
	v_lshl_add_u64 v[82:83], s[14:15], 0, v[4:5]
	v_lshlrev_b64 v[4:5], 1, v[16:17]
	v_mbcnt_lo_u32_b32 v2, -1, 0
	s_add_u32 s6, s28, 0x7f
	s_mul_i32 s17, s11, s3
	s_mul_hi_u32 s18, s10, s3
	v_lshlrev_b64 v[6:7], 1, v[6:7]
	v_lshl_add_u64 v[84:85], s[12:13], 0, v[4:5]
	v_lshl_add_u64 v[86:87], s[14:15], 0, v[4:5]
	v_lshlrev_b64 v[4:5], 1, v[18:19]
	v_mbcnt_hi_u32_b32 v2, -1, v2
	s_addc_u32 s7, 0, 0
	s_add_i32 s19, s18, s17
	s_mul_i32 s18, s10, s3
	v_lshl_add_u64 v[60:61], s[12:13], 0, v[6:7]
	v_lshl_add_u64 v[62:63], s[14:15], 0, v[6:7]
	;; [unrolled: 1-line block ×4, first 2 shown]
	s_movk_i32 s12, 0xff81
	s_movk_i32 s14, 0xff82
	s_movk_i32 s34, 0xff83
	s_movk_i32 s36, 0xff84
	s_movk_i32 s38, 0xff85
	s_movk_i32 s40, 0xff86
	s_movk_i32 s42, 0xff87
	s_movk_i32 s44, 0xff88
	v_lshlrev_b32_e32 v2, 2, v2
	s_lshl_b64 s[30:31], s[18:19], 1
	s_mov_b32 s13, -1
	s_mov_b32 s15, -1
	;; [unrolled: 1-line block ×8, first 2 shown]
	v_and_b32_e32 v97, 0x100, v2
	v_mov_b32_e32 v42, v3
	v_mov_b32_e32 v43, v3
	s_branch .LBB80_55
.LBB80_52:                              ;   in Loop: Header=BB80_55 Depth=1
	s_or_b64 exec, exec, s[20:21]
.LBB80_53:                              ;   in Loop: Header=BB80_55 Depth=1
	s_or_b64 exec, exec, s[18:19]
	v_lshl_add_u64 v[4:5], v[60:61], 0, v[28:29]
	global_load_ushort v2, v[4:5], off
	v_lshl_add_u64 v[4:5], v[62:63], 0, v[28:29]
	global_load_ushort v8, v[4:5], off
	;; [unrolled: 2-line block ×16, first 2 shown]
	s_waitcnt vmcnt(17)
	ds_bpermute_b32 v23, v97, v7
	ds_bpermute_b32 v25, v97, v7 offset:4
	ds_bpermute_b32 v43, v97, v7 offset:8
	;; [unrolled: 1-line block ×7, first 2 shown]
	s_waitcnt vmcnt(16)
	ds_bpermute_b32 v22, v97, v6
	ds_bpermute_b32 v24, v97, v6 offset:4
	ds_bpermute_b32 v42, v97, v6 offset:8
	;; [unrolled: 1-line block ×7, first 2 shown]
	s_waitcnt vmcnt(15)
	v_cvt_f32_f16_e32 v4, v2
	s_waitcnt vmcnt(14)
	v_cvt_f32_f16_e32 v2, v8
	;; [unrolled: 2-line block ×4, first 2 shown]
	s_waitcnt lgkmcnt(14)
	v_sub_f32_e32 v2, v2, v23
	s_waitcnt vmcnt(11)
	v_cvt_f32_f16_e32 v8, v11
	v_mul_f32_e32 v2, v2, v4
	s_waitcnt vmcnt(10)
	v_cvt_f32_f16_e32 v11, v12
	v_sub_f32_e32 v9, v9, v25
	s_waitcnt vmcnt(9)
	v_cvt_f32_f16_e32 v10, v13
	s_waitcnt vmcnt(8)
	v_cvt_f32_f16_e32 v13, v14
	s_waitcnt lgkmcnt(13)
	v_sub_f32_e32 v11, v11, v43
	s_waitcnt vmcnt(7)
	v_cvt_f32_f16_e32 v12, v15
	s_waitcnt vmcnt(6)
	v_cvt_f32_f16_e32 v15, v16
	s_waitcnt lgkmcnt(12)
	;; [unrolled: 6-line block ×5, first 2 shown]
	v_sub_f32_e32 v19, v19, v103
	s_waitcnt lgkmcnt(8)
	v_sub_f32_e32 v5, v5, v7
	v_mul_f32_e32 v7, v9, v6
	v_mul_f32_e32 v9, v11, v8
	;; [unrolled: 1-line block ×7, first 2 shown]
	s_waitcnt lgkmcnt(7)
	v_mul_f32_e32 v5, v2, v22
	s_waitcnt lgkmcnt(6)
	v_mul_f32_e32 v7, v7, v24
	v_pk_add_f32 v[4:5], v[92:93], v[4:5]
	s_waitcnt lgkmcnt(5)
	v_mul_f32_e32 v9, v9, v42
	v_pk_add_f32 v[4:5], v[4:5], v[6:7]
	s_waitcnt lgkmcnt(4)
	v_mul_f32_e32 v11, v11, v94
	v_pk_add_f32 v[4:5], v[4:5], v[8:9]
	s_waitcnt lgkmcnt(3)
	v_mul_f32_e32 v13, v13, v98
	v_pk_add_f32 v[4:5], v[4:5], v[10:11]
	s_waitcnt lgkmcnt(2)
	v_mul_f32_e32 v15, v15, v100
	v_pk_add_f32 v[4:5], v[4:5], v[12:13]
	s_waitcnt lgkmcnt(1)
	v_mul_f32_e32 v17, v17, v102
	v_pk_add_f32 v[4:5], v[4:5], v[14:15]
	s_waitcnt lgkmcnt(0)
	v_mul_f32_e32 v19, v19, v104
	v_pk_add_f32 v[4:5], v[4:5], v[16:17]
	s_nop 0
	v_pk_add_f32 v[42:43], v[4:5], v[18:19]
.LBB80_54:                              ;   in Loop: Header=BB80_55 Depth=1
	s_add_u32 s28, s28, s3
	s_addc_u32 s29, s29, 0
	v_mov_b64_e32 v[4:5], s[8:9]
	s_add_u32 s6, s6, s3
	v_cmp_ge_i64_e32 vcc, s[28:29], v[4:5]
	s_addc_u32 s7, s7, 0
	v_lshl_add_u64 v[30:31], v[30:31], 0, s[30:31]
	v_lshl_add_u64 v[32:33], v[32:33], 0, s[30:31]
	;; [unrolled: 1-line block ×30, first 2 shown]
	s_cbranch_vccnz .LBB80_81
.LBB80_55:                              ; =>This Inner Loop Header: Depth=1
	v_mov_b64_e32 v[4:5], s[8:9]
	v_cmp_ge_i64_e32 vcc, s[6:7], v[4:5]
	v_mov_b32_e32 v92, v42
	v_mov_b32_e32 v93, v43
	v_lshl_add_u64 v[94:95], v[26:27], 0, s[6:7]
	s_cbranch_vccz .LBB80_77
; %bb.56:                               ;   in Loop: Header=BB80_55 Depth=1
	s_load_dword s17, s[4:5], 0xc
	v_mov_b32_e32 v42, 0
	v_mov_b32_e32 v43, 0
	s_waitcnt lgkmcnt(0)
	s_and_b32 s17, s17, 0xffff
	v_mad_u32_u24 v2, v96, s17, v1
	v_and_b32_e32 v2, 63, v2
	v_cmp_gt_u32_e32 vcc, 8, v2
	s_and_saveexec_b64 s[18:19], vcc
	s_cbranch_execz .LBB80_60
; %bb.57:                               ;   in Loop: Header=BB80_55 Depth=1
	v_lshl_add_u64 v[4:5], v[94:95], 0, v[2:3]
	v_lshl_add_u64 v[4:5], v[4:5], 0, s[12:13]
	v_cmp_gt_i64_e32 vcc, s[8:9], v[4:5]
	v_mov_b32_e32 v43, 0
	v_mov_b32_e32 v42, 0
	s_and_saveexec_b64 s[20:21], vcc
	s_cbranch_execz .LBB80_59
; %bb.58:                               ;   in Loop: Header=BB80_55 Depth=1
	v_lshlrev_b64 v[4:5], 2, v[4:5]
	v_lshl_add_u64 v[6:7], s[26:27], 0, v[4:5]
	v_lshl_add_u64 v[4:5], s[24:25], 0, v[4:5]
	global_load_dword v43, v[4:5], off
	global_load_dword v42, v[6:7], off
.LBB80_59:                              ;   in Loop: Header=BB80_55 Depth=1
	s_or_b64 exec, exec, s[20:21]
.LBB80_60:                              ;   in Loop: Header=BB80_55 Depth=1
	s_or_b64 exec, exec, s[18:19]
	s_mov_b32 s17, s16
	s_mov_b32 s18, s16
	;; [unrolled: 1-line block ×7, first 2 shown]
	v_mov_b64_e32 v[10:11], s[16:17]
	v_mov_b64_e32 v[16:17], s[22:23]
	v_lshl_add_u64 v[4:5], v[94:95], 0, s[12:13]
	v_mov_b64_e32 v[12:13], s[18:19]
	v_mov_b64_e32 v[14:15], s[20:21]
	;; [unrolled: 1-line block ×3, first 2 shown]
	v_cmp_gt_i64_e32 vcc, s[8:9], v[4:5]
	v_mov_b64_e32 v[22:23], v[14:15]
	v_mov_b64_e32 v[20:21], v[12:13]
	;; [unrolled: 1-line block ×3, first 2 shown]
	s_and_saveexec_b64 s[18:19], vcc
	s_cbranch_execz .LBB80_62
; %bb.61:                               ;   in Loop: Header=BB80_55 Depth=1
	v_lshl_add_u64 v[4:5], v[60:61], 0, v[28:29]
	global_load_ushort v2, v[4:5], off
	v_lshl_add_u64 v[4:5], v[62:63], 0, v[28:29]
	global_load_ushort v10, v[4:5], off
	v_mov_b32_e32 v8, v3
	v_mov_b32_e32 v9, v3
	;; [unrolled: 1-line block ×13, first 2 shown]
	s_waitcnt vmcnt(1)
	v_cvt_f32_f16_e32 v2, v2
	v_mov_b64_e32 v[24:25], v[8:9]
	s_waitcnt vmcnt(0)
	v_cvt_f32_f16_e32 v10, v10
	v_mov_b64_e32 v[22:23], v[6:7]
	v_mov_b64_e32 v[20:21], v[4:5]
	;; [unrolled: 1-line block ×3, first 2 shown]
.LBB80_62:                              ;   in Loop: Header=BB80_55 Depth=1
	s_or_b64 exec, exec, s[18:19]
	v_lshl_add_u64 v[4:5], v[94:95], 0, s[14:15]
	v_cmp_gt_i64_e32 vcc, s[8:9], v[4:5]
	s_and_saveexec_b64 s[18:19], vcc
	s_cbranch_execz .LBB80_64
; %bb.63:                               ;   in Loop: Header=BB80_55 Depth=1
	v_lshl_add_u64 v[4:5], v[88:89], 0, v[28:29]
	global_load_ushort v2, v[4:5], off
	v_lshl_add_u64 v[4:5], v[90:91], 0, v[28:29]
	global_load_ushort v4, v[4:5], off
	s_waitcnt vmcnt(1)
	v_cvt_f32_f16_e32 v19, v2
	s_waitcnt vmcnt(0)
	v_cvt_f32_f16_e32 v11, v4
.LBB80_64:                              ;   in Loop: Header=BB80_55 Depth=1
	s_or_b64 exec, exec, s[18:19]
	v_lshl_add_u64 v[4:5], v[94:95], 0, s[34:35]
	v_cmp_gt_i64_e32 vcc, s[8:9], v[4:5]
	s_and_saveexec_b64 s[18:19], vcc
	s_cbranch_execz .LBB80_66
; %bb.65:                               ;   in Loop: Header=BB80_55 Depth=1
	v_lshl_add_u64 v[4:5], v[84:85], 0, v[28:29]
	global_load_ushort v2, v[4:5], off
	v_lshl_add_u64 v[4:5], v[86:87], 0, v[28:29]
	global_load_ushort v4, v[4:5], off
	s_waitcnt vmcnt(1)
	v_cvt_f32_f16_e32 v20, v2
	s_waitcnt vmcnt(0)
	v_cvt_f32_f16_e32 v12, v4
.LBB80_66:                              ;   in Loop: Header=BB80_55 Depth=1
	;; [unrolled: 15-line block ×7, first 2 shown]
	s_or_b64 exec, exec, s[18:19]
	s_waitcnt vmcnt(1)
	ds_bpermute_b32 v2, v97, v43
	s_waitcnt vmcnt(0)
	ds_bpermute_b32 v4, v97, v42
	ds_bpermute_b32 v7, v97, v43 offset:4
	ds_bpermute_b32 v6, v97, v42 offset:4
	;; [unrolled: 1-line block ×3, first 2 shown]
	s_waitcnt lgkmcnt(4)
	v_sub_f32_e32 v2, v10, v2
	v_mul_f32_e32 v2, v18, v2
	s_waitcnt lgkmcnt(3)
	v_mul_f32_e32 v5, v2, v4
	ds_bpermute_b32 v4, v97, v42 offset:8
	s_waitcnt lgkmcnt(3)
	v_sub_f32_e32 v2, v11, v7
	v_mul_f32_e32 v2, v19, v2
	s_waitcnt lgkmcnt(2)
	v_mul_f32_e32 v7, v2, v6
	s_waitcnt lgkmcnt(1)
	v_sub_f32_e32 v2, v12, v8
	ds_bpermute_b32 v6, v97, v43 offset:12
	v_mul_f32_e32 v2, v20, v2
	s_waitcnt lgkmcnt(1)
	v_mul_f32_e32 v9, v2, v4
	ds_bpermute_b32 v2, v97, v42 offset:12
	ds_bpermute_b32 v4, v97, v43 offset:16
	;; [unrolled: 1-line block ×3, first 2 shown]
	s_waitcnt lgkmcnt(3)
	v_sub_f32_e32 v6, v13, v6
	v_mul_f32_e32 v6, v21, v6
	s_waitcnt lgkmcnt(2)
	v_mul_f32_e32 v11, v6, v2
	s_waitcnt lgkmcnt(1)
	v_sub_f32_e32 v2, v14, v4
	ds_bpermute_b32 v4, v97, v43 offset:20
	v_mul_f32_e32 v2, v22, v2
	s_waitcnt lgkmcnt(1)
	v_mul_f32_e32 v13, v2, v8
	ds_bpermute_b32 v2, v97, v42 offset:20
	ds_bpermute_b32 v6, v97, v43 offset:24
	;; [unrolled: 1-line block ×3, first 2 shown]
	s_waitcnt lgkmcnt(3)
	v_sub_f32_e32 v4, v15, v4
	v_mul_f32_e32 v4, v23, v4
	s_waitcnt lgkmcnt(2)
	v_mul_f32_e32 v15, v4, v2
	s_waitcnt lgkmcnt(1)
	v_sub_f32_e32 v2, v16, v6
	v_mul_f32_e32 v2, v24, v2
	s_waitcnt lgkmcnt(0)
	v_mul_f32_e32 v99, v2, v8
	v_mov_b32_e32 v4, v18
	ds_bpermute_b32 v2, v97, v43 offset:28
	v_pk_add_f32 v[4:5], v[92:93], v[4:5]
	v_mov_b32_e32 v6, v19
	v_pk_add_f32 v[4:5], v[6:7], v[4:5]
	v_mov_b32_e32 v8, v20
	ds_bpermute_b32 v6, v97, v42 offset:28
	v_pk_add_f32 v[4:5], v[8:9], v[4:5]
	v_mov_b32_e32 v10, v21
	v_pk_add_f32 v[4:5], v[10:11], v[4:5]
	v_mov_b32_e32 v12, v22
	;; [unrolled: 2-line block ×3, first 2 shown]
	s_waitcnt lgkmcnt(1)
	v_sub_f32_e32 v2, v17, v2
	v_pk_add_f32 v[4:5], v[14:15], v[4:5]
	v_mov_b32_e32 v98, v24
	v_mul_f32_e32 v2, v25, v2
	v_pk_add_f32 v[4:5], v[98:99], v[4:5]
	s_waitcnt lgkmcnt(0)
	v_mul_f32_e32 v7, v2, v6
	v_mov_b32_e32 v6, v25
	v_pk_add_f32 v[42:43], v[6:7], v[4:5]
	s_branch .LBB80_54
.LBB80_77:                              ;   in Loop: Header=BB80_55 Depth=1
                                        ; implicit-def: $vgpr43
	s_cbranch_execz .LBB80_54
; %bb.78:                               ;   in Loop: Header=BB80_55 Depth=1
	s_load_dword s17, s[4:5], 0x0
	v_mov_b32_e32 v6, 0
	v_mov_b32_e32 v7, 0
	s_waitcnt lgkmcnt(0)
	s_cmp_lt_u32 s2, s17
	s_cselect_b32 s17, 12, 18
	s_add_u32 s18, s4, s17
	s_addc_u32 s19, s5, 0
	global_load_ushort v2, v3, s[18:19]
	s_waitcnt vmcnt(0)
	v_mad_u32_u24 v2, v96, v2, v1
	v_and_b32_e32 v2, 63, v2
	v_cmp_gt_u32_e32 vcc, 8, v2
	s_and_saveexec_b64 s[18:19], vcc
	s_cbranch_execz .LBB80_53
; %bb.79:                               ;   in Loop: Header=BB80_55 Depth=1
	v_lshl_add_u64 v[4:5], v[94:95], 0, v[2:3]
	v_lshl_add_u64 v[4:5], v[4:5], 0, s[12:13]
	v_cmp_gt_i64_e32 vcc, s[8:9], v[4:5]
	v_mov_b32_e32 v7, 0
	v_mov_b32_e32 v6, 0
	s_and_saveexec_b64 s[20:21], vcc
	s_cbranch_execz .LBB80_52
; %bb.80:                               ;   in Loop: Header=BB80_55 Depth=1
	v_lshlrev_b64 v[4:5], 2, v[4:5]
	v_lshl_add_u64 v[8:9], s[26:27], 0, v[4:5]
	v_lshl_add_u64 v[4:5], s[24:25], 0, v[4:5]
	global_load_dword v7, v[4:5], off
	global_load_dword v6, v[8:9], off
	s_branch .LBB80_52
.LBB80_81:
	v_bfe_u32 v6, v0, 10, 10
	v_and_b32_e32 v0, 0x3ff, v0
	s_movk_i32 s3, 0x41
	v_mad_u32_u24 v1, v6, s3, v0
	v_lshl_add_u32 v1, v1, 2, 0
	v_lshrrev_b32_e32 v8, 6, v0
	ds_write_b32 v1, v43
	ds_write_b32 v1, v42 offset:4160
	v_add_u32_e32 v1, v8, v6
	s_mov_b32 s3, 0
	v_cmp_gt_u32_e32 vcc, 64, v1
	s_waitcnt lgkmcnt(0)
	s_barrier
	s_and_saveexec_b64 s[4:5], vcc
	s_cbranch_execz .LBB80_91
; %bb.82:
	v_and_b32_e32 v1, 63, v0
	s_load_dwordx4 s[4:7], s[0:1], 0x30
	v_cmp_gt_u32_e64 s[0:1], 16, v1
	v_mul_u32_u24_e32 v14, 0x41, v1
	v_mbcnt_lo_u32_b32 v1, -1, 0
	v_mbcnt_hi_u32_b32 v1, -1, v1
	v_and_b32_e32 v2, 64, v1
	v_add_u32_e32 v2, 64, v2
	s_lshl_b64 s[8:9], s[2:3], 6
	v_cmp_eq_u32_e64 s[2:3], 0, v0
	v_xor_b32_e32 v0, 8, v1
	v_cmp_lt_i32_e32 vcc, v0, v2
	v_mov_b32_e32 v9, 0
	v_mov_b32_e32 v7, v9
	v_cndmask_b32_e32 v0, v1, v0, vcc
	v_lshlrev_b32_e32 v10, 2, v0
	v_xor_b32_e32 v0, 4, v1
	v_cmp_lt_i32_e32 vcc, v0, v2
	s_waitcnt lgkmcnt(0)
	s_cmp_lg_u64 s[4:5], 0
	s_cselect_b64 s[14:15], -1, 0
	v_cndmask_b32_e32 v0, v1, v0, vcc
	v_lshlrev_b32_e32 v11, 2, v0
	v_xor_b32_e32 v0, 2, v1
	v_cmp_lt_i32_e32 vcc, v0, v2
	s_cmp_lg_u64 s[6:7], 0
	s_mov_b64 s[12:13], 0
	v_cndmask_b32_e32 v0, v1, v0, vcc
	v_lshlrev_b32_e32 v12, 2, v0
	v_xor_b32_e32 v0, 1, v1
	v_cmp_lt_i32_e32 vcc, v0, v2
	s_nop 1
	v_cndmask_b32_e32 v0, v1, v0, vcc
	v_lshlrev_b32_e32 v13, 2, v0
	v_lshl_add_u64 v[0:1], v[8:9], 0, v[6:7]
	v_lshl_add_u64 v[2:3], v[0:1], 0, s[8:9]
	v_lshlrev_b64 v[4:5], 1, v[2:3]
	v_add3_u32 v6, v14, v6, v8
	v_lshl_add_u64 v[2:3], s[6:7], 0, v[4:5]
	v_lshl_add_u32 v8, v6, 2, 0
	v_cndmask_b32_e64 v6, 0, 1, s[14:15]
	s_cselect_b64 s[6:7], -1, 0
	v_lshl_add_u64 v[4:5], s[4:5], 0, v[4:5]
	v_cmp_ne_u32_e64 s[4:5], 1, v6
	v_cndmask_b32_e64 v6, 0, 1, s[6:7]
	v_cmp_ne_u32_e64 s[6:7], 1, v6
                                        ; implicit-def: $vgpr6
	s_branch .LBB80_84
.LBB80_83:                              ;   in Loop: Header=BB80_84 Depth=1
	s_or_b64 exec, exec, s[14:15]
	v_lshl_add_u64 v[0:1], v[0:1], 0, 16
	v_add_u32_e32 v9, -16, v0
	v_cmp_lt_u32_e32 vcc, 47, v9
	v_lshl_add_u64 v[2:3], v[2:3], 0, 32
	v_lshl_add_u64 v[4:5], v[4:5], 0, 32
	s_or_b64 s[12:13], vcc, s[12:13]
	v_add_u32_e32 v8, 64, v8
	s_andn2_b64 exec, exec, s[12:13]
	s_cbranch_execz .LBB80_91
.LBB80_84:                              ; =>This Inner Loop Header: Depth=1
	s_and_saveexec_b64 s[14:15], s[0:1]
	s_cbranch_execz .LBB80_86
; %bb.85:                               ;   in Loop: Header=BB80_84 Depth=1
	ds_read_b32 v7, v8
	ds_read_b32 v6, v8 offset:4160
.LBB80_86:                              ;   in Loop: Header=BB80_84 Depth=1
	s_or_b64 exec, exec, s[14:15]
	s_waitcnt lgkmcnt(1)
	ds_bpermute_b32 v15, v10, v7
	s_waitcnt lgkmcnt(1)
	ds_bpermute_b32 v14, v10, v6
	v_lshl_add_u64 v[16:17], s[8:9], 0, v[0:1]
	v_cmp_gt_i64_e32 vcc, s[10:11], v[16:17]
	s_and_b64 s[16:17], s[2:3], vcc
	s_waitcnt lgkmcnt(0)
	v_pk_add_f32 v[6:7], v[6:7], v[14:15]
	ds_bpermute_b32 v15, v11, v7
	ds_bpermute_b32 v14, v11, v6
	s_waitcnt lgkmcnt(0)
	v_pk_add_f32 v[6:7], v[6:7], v[14:15]
	ds_bpermute_b32 v15, v12, v7
	ds_bpermute_b32 v14, v12, v6
	;; [unrolled: 4-line block ×3, first 2 shown]
	s_waitcnt lgkmcnt(0)
	v_pk_add_f32 v[6:7], v[6:7], v[14:15]
	s_and_saveexec_b64 s[14:15], s[16:17]
	s_cbranch_execz .LBB80_83
; %bb.87:                               ;   in Loop: Header=BB80_84 Depth=1
	s_and_b64 vcc, exec, s[4:5]
	s_cbranch_vccnz .LBB80_89
; %bb.88:                               ;   in Loop: Header=BB80_84 Depth=1
	v_cvt_f16_f32_e32 v9, v7
	global_store_short v[4:5], v9, off
.LBB80_89:                              ;   in Loop: Header=BB80_84 Depth=1
	s_and_b64 vcc, exec, s[6:7]
	s_cbranch_vccnz .LBB80_83
; %bb.90:                               ;   in Loop: Header=BB80_84 Depth=1
	v_cvt_f16_f32_e32 v9, v6
	global_store_short v[2:3], v9, off
	s_branch .LBB80_83
.LBB80_91:
	s_endpgm
	.section	.rodata,"a",@progbits
	.p2align	6, 0x0
	.amdhsa_kernel _ZN2at6native12_GLOBAL__N_135GammaBetaBackwardCUDAKernelTemplateIN3c104HalfEfLj64ELj16ELj128ELb0ELb0ELb0EEEvllPKT_S7_PKT0_SA_PS5_SB_
		.amdhsa_group_segment_fixed_size 0
		.amdhsa_private_segment_fixed_size 0
		.amdhsa_kernarg_size 320
		.amdhsa_user_sgpr_count 2
		.amdhsa_user_sgpr_dispatch_ptr 0
		.amdhsa_user_sgpr_queue_ptr 0
		.amdhsa_user_sgpr_kernarg_segment_ptr 1
		.amdhsa_user_sgpr_dispatch_id 0
		.amdhsa_user_sgpr_kernarg_preload_length 0
		.amdhsa_user_sgpr_kernarg_preload_offset 0
		.amdhsa_user_sgpr_private_segment_size 0
		.amdhsa_uses_dynamic_stack 0
		.amdhsa_enable_private_segment 0
		.amdhsa_system_sgpr_workgroup_id_x 1
		.amdhsa_system_sgpr_workgroup_id_y 1
		.amdhsa_system_sgpr_workgroup_id_z 0
		.amdhsa_system_sgpr_workgroup_info 0
		.amdhsa_system_vgpr_workitem_id 1
		.amdhsa_next_free_vgpr 105
		.amdhsa_next_free_sgpr 58
		.amdhsa_accum_offset 108
		.amdhsa_reserve_vcc 1
		.amdhsa_float_round_mode_32 0
		.amdhsa_float_round_mode_16_64 0
		.amdhsa_float_denorm_mode_32 3
		.amdhsa_float_denorm_mode_16_64 3
		.amdhsa_dx10_clamp 1
		.amdhsa_ieee_mode 1
		.amdhsa_fp16_overflow 0
		.amdhsa_tg_split 0
		.amdhsa_exception_fp_ieee_invalid_op 0
		.amdhsa_exception_fp_denorm_src 0
		.amdhsa_exception_fp_ieee_div_zero 0
		.amdhsa_exception_fp_ieee_overflow 0
		.amdhsa_exception_fp_ieee_underflow 0
		.amdhsa_exception_fp_ieee_inexact 0
		.amdhsa_exception_int_div_zero 0
	.end_amdhsa_kernel
	.section	.text._ZN2at6native12_GLOBAL__N_135GammaBetaBackwardCUDAKernelTemplateIN3c104HalfEfLj64ELj16ELj128ELb0ELb0ELb0EEEvllPKT_S7_PKT0_SA_PS5_SB_,"axG",@progbits,_ZN2at6native12_GLOBAL__N_135GammaBetaBackwardCUDAKernelTemplateIN3c104HalfEfLj64ELj16ELj128ELb0ELb0ELb0EEEvllPKT_S7_PKT0_SA_PS5_SB_,comdat
.Lfunc_end80:
	.size	_ZN2at6native12_GLOBAL__N_135GammaBetaBackwardCUDAKernelTemplateIN3c104HalfEfLj64ELj16ELj128ELb0ELb0ELb0EEEvllPKT_S7_PKT0_SA_PS5_SB_, .Lfunc_end80-_ZN2at6native12_GLOBAL__N_135GammaBetaBackwardCUDAKernelTemplateIN3c104HalfEfLj64ELj16ELj128ELb0ELb0ELb0EEEvllPKT_S7_PKT0_SA_PS5_SB_
                                        ; -- End function
	.section	.AMDGPU.csdata,"",@progbits
; Kernel info:
; codeLenInByte = 7644
; NumSgprs: 64
; NumVgprs: 105
; NumAgprs: 0
; TotalNumVgprs: 105
; ScratchSize: 0
; MemoryBound: 0
; FloatMode: 240
; IeeeMode: 1
; LDSByteSize: 0 bytes/workgroup (compile time only)
; SGPRBlocks: 7
; VGPRBlocks: 13
; NumSGPRsForWavesPerEU: 64
; NumVGPRsForWavesPerEU: 105
; AccumOffset: 108
; Occupancy: 4
; WaveLimiterHint : 0
; COMPUTE_PGM_RSRC2:SCRATCH_EN: 0
; COMPUTE_PGM_RSRC2:USER_SGPR: 2
; COMPUTE_PGM_RSRC2:TRAP_HANDLER: 0
; COMPUTE_PGM_RSRC2:TGID_X_EN: 1
; COMPUTE_PGM_RSRC2:TGID_Y_EN: 1
; COMPUTE_PGM_RSRC2:TGID_Z_EN: 0
; COMPUTE_PGM_RSRC2:TIDIG_COMP_CNT: 1
; COMPUTE_PGM_RSRC3_GFX90A:ACCUM_OFFSET: 26
; COMPUTE_PGM_RSRC3_GFX90A:TG_SPLIT: 0
	.section	.text._ZN2at6native12_GLOBAL__N_135GammaBetaBackwardCUDAKernelTemplateIN3c104HalfEfLj64ELj16ELj256ELb0ELb1ELb0EEEvllPKT_S7_PKT0_SA_PS5_SB_,"axG",@progbits,_ZN2at6native12_GLOBAL__N_135GammaBetaBackwardCUDAKernelTemplateIN3c104HalfEfLj64ELj16ELj256ELb0ELb1ELb0EEEvllPKT_S7_PKT0_SA_PS5_SB_,comdat
	.globl	_ZN2at6native12_GLOBAL__N_135GammaBetaBackwardCUDAKernelTemplateIN3c104HalfEfLj64ELj16ELj256ELb0ELb1ELb0EEEvllPKT_S7_PKT0_SA_PS5_SB_ ; -- Begin function _ZN2at6native12_GLOBAL__N_135GammaBetaBackwardCUDAKernelTemplateIN3c104HalfEfLj64ELj16ELj256ELb0ELb1ELb0EEEvllPKT_S7_PKT0_SA_PS5_SB_
	.p2align	8
	.type	_ZN2at6native12_GLOBAL__N_135GammaBetaBackwardCUDAKernelTemplateIN3c104HalfEfLj64ELj16ELj256ELb0ELb1ELb0EEEvllPKT_S7_PKT0_SA_PS5_SB_,@function
_ZN2at6native12_GLOBAL__N_135GammaBetaBackwardCUDAKernelTemplateIN3c104HalfEfLj64ELj16ELj256ELb0ELb1ELb0EEEvllPKT_S7_PKT0_SA_PS5_SB_: ; @_ZN2at6native12_GLOBAL__N_135GammaBetaBackwardCUDAKernelTemplateIN3c104HalfEfLj64ELj16ELj256ELb0ELb1ELb0EEEvllPKT_S7_PKT0_SA_PS5_SB_
; %bb.0:
	s_load_dwordx4 s[16:19], s[0:1], 0x0
	s_lshl_b32 s6, s3, 8
	s_mov_b32 s7, 0
	v_bfe_u32 v12, v0, 10, 10
	s_waitcnt lgkmcnt(0)
	v_mov_b64_e32 v[2:3], s[16:17]
	v_cmp_lt_i64_e32 vcc, s[6:7], v[2:3]
	s_cbranch_vccnz .LBB81_2
; %bb.1:
	s_mov_b64 s[4:5], 0
	v_bfe_u32 v4, v0, 10, 10
	s_branch .LBB81_3
.LBB81_2:
	s_mov_b64 s[4:5], -1
                                        ; implicit-def: $vgpr4
.LBB81_3:
	v_and_b32_e32 v10, 0x3ff, v0
	s_andn2_b64 vcc, exec, s[4:5]
	v_mov_b32_e32 v9, s7
	v_mbcnt_lo_u32_b32 v11, -1, 0
	v_mov_b32_e32 v8, s7
	s_cbranch_vccnz .LBB81_11
; %bb.4:
	s_load_dword s3, s[0:1], 0x4c
	s_load_dword s20, s[0:1], 0x44
	s_load_dwordx8 s[8:15], s[0:1], 0x10
	v_lshlrev_b32_e32 v8, 4, v12
	v_mov_b32_e32 v9, 0
	s_waitcnt lgkmcnt(0)
	s_and_b32 s3, s3, 0xffff
	v_mad_u32_u24 v0, v12, s3, v10
	v_and_b32_e32 v0, 63, v0
	v_mov_b32_e32 v1, v9
	v_lshl_add_u64 v[6:7], v[8:9], 0, s[6:7]
	v_cmp_gt_u32_e64 s[4:5], 16, v0
	v_mbcnt_hi_u32_b32 v2, -1, v11
	s_lshl_b32 s20, s20, 8
	v_lshl_add_u64 v[0:1], v[6:7], 0, v[0:1]
	v_mul_lo_u32 v8, s19, v6
	v_mul_lo_u32 v29, s18, v7
	v_mad_u64_u32 v[6:7], s[24:25], s18, v6, 0
	v_lshl_add_u32 v4, s2, 6, v10
	v_mov_b32_e32 v5, v9
	v_lshlrev_b32_e32 v2, 2, v2
	s_mul_i32 s3, s19, s20
	s_mul_hi_u32 s24, s18, s20
	s_mov_b32 s21, 0
	v_and_b32_e32 v13, 0x100, v2
	v_add3_u32 v7, v7, v29, v8
	v_lshlrev_b64 v[4:5], 1, v[4:5]
	s_add_i32 s25, s24, s3
	s_mul_i32 s24, s18, s20
	v_or_b32_e32 v14, 4, v13
	v_or_b32_e32 v15, 8, v13
	;; [unrolled: 1-line block ×15, first 2 shown]
	v_lshlrev_b64 v[2:3], 2, v[0:1]
	s_lshl_b64 s[22:23], s[20:21], 2
	v_lshl_add_u64 v[4:5], v[6:7], 1, v[4:5]
	s_lshl_b64 s[24:25], s[24:25], 1
	s_lshl_b64 s[18:19], s[18:19], 1
	v_mov_b64_e32 v[6:7], s[16:17]
	v_mov_b32_e32 v8, v9
	s_branch .LBB81_7
.LBB81_5:                               ;   in Loop: Header=BB81_7 Depth=1
	s_or_b64 exec, exec, s[28:29]
.LBB81_6:                               ;   in Loop: Header=BB81_7 Depth=1
	s_or_b64 exec, exec, s[26:27]
	v_lshl_add_u64 v[32:33], s[10:11], 0, v[4:5]
	global_load_ushort v31, v[32:33], off
	v_lshl_add_u64 v[34:35], s[8:9], 0, v[4:5]
	global_load_ushort v36, v[34:35], off
	;; [unrolled: 2-line block ×10, first 2 shown]
	s_waitcnt vmcnt(11)
	ds_bpermute_b32 v46, v13, v30
	s_waitcnt vmcnt(10)
	ds_bpermute_b32 v37, v13, v29
	ds_bpermute_b32 v48, v14, v30
	v_lshl_add_u64 v[32:33], v[32:33], 0, s[18:19]
	v_lshl_add_u64 v[34:35], v[34:35], 0, s[18:19]
	ds_bpermute_b32 v47, v14, v29
	ds_bpermute_b32 v50, v15, v30
	;; [unrolled: 1-line block ×7, first 2 shown]
	s_add_u32 s6, s6, s20
	s_addc_u32 s7, s7, 0
	v_cmp_lt_i64_e32 vcc, s[6:7], v[6:7]
	v_lshl_add_u64 v[2:3], v[2:3], 0, s[22:23]
	v_lshl_add_u64 v[0:1], v[0:1], 0, s[20:21]
	;; [unrolled: 1-line block ×3, first 2 shown]
	s_and_b64 vcc, exec, vcc
	s_waitcnt vmcnt(9)
	v_cvt_f32_f16_e32 v31, v31
	s_waitcnt vmcnt(8)
	v_cvt_f32_f16_e32 v36, v36
	;; [unrolled: 2-line block ×3, first 2 shown]
	s_waitcnt lgkmcnt(9)
	v_sub_f32_e32 v31, v31, v46
	v_mul_f32_e32 v31, v31, v36
	s_waitcnt lgkmcnt(8)
	v_mul_f32_e32 v37, v31, v37
	global_load_ushort v31, v[32:33], off
	global_load_ushort v46, v[34:35], off
	s_waitcnt vmcnt(8)
	v_cvt_f32_f16_e32 v38, v39
	v_lshl_add_u64 v[32:33], v[32:33], 0, s[18:19]
	s_waitcnt lgkmcnt(7)
	v_sub_f32_e32 v39, v55, v48
	v_lshl_add_u64 v[34:35], v[34:35], 0, s[18:19]
	global_load_ushort v48, v[32:33], off
	v_mul_f32_e32 v39, v39, v38
	s_waitcnt lgkmcnt(6)
	v_mul_f32_e32 v39, v39, v47
	global_load_ushort v47, v[34:35], off
	v_lshl_add_u64 v[32:33], v[32:33], 0, s[18:19]
	v_lshl_add_u64 v[34:35], v[34:35], 0, s[18:19]
	global_load_ushort v55, v[32:33], off
	global_load_ushort v56, v[34:35], off
	v_lshl_add_u64 v[32:33], v[32:33], 0, s[18:19]
	v_pk_add_f32 v[8:9], v[8:9], v[36:37]
	s_waitcnt vmcnt(11)
	v_cvt_f32_f16_e32 v37, v40
	global_load_ushort v40, v[32:33], off
	v_lshl_add_u64 v[34:35], v[34:35], 0, s[18:19]
	s_waitcnt vmcnt(11)
	v_cvt_f32_f16_e32 v36, v41
	global_load_ushort v41, v[34:35], off
	s_waitcnt lgkmcnt(5)
	v_sub_f32_e32 v37, v37, v50
	v_lshl_add_u64 v[32:33], v[32:33], 0, s[18:19]
	v_mul_f32_e32 v37, v37, v36
	s_waitcnt lgkmcnt(4)
	v_mul_f32_e32 v37, v37, v49
	v_lshl_add_u64 v[34:35], v[34:35], 0, s[18:19]
	global_load_ushort v49, v[32:33], off
	global_load_ushort v50, v[34:35], off
	v_pk_add_f32 v[8:9], v[8:9], v[38:39]
	s_waitcnt vmcnt(13)
	v_cvt_f32_f16_e32 v39, v42
	v_lshl_add_u64 v[32:33], v[32:33], 0, s[18:19]
	v_lshl_add_u64 v[34:35], v[34:35], 0, s[18:19]
	s_waitcnt vmcnt(12)
	v_cvt_f32_f16_e32 v38, v43
	global_load_ushort v42, v[32:33], off
	global_load_ushort v43, v[34:35], off
	s_waitcnt lgkmcnt(3)
	v_sub_f32_e32 v39, v39, v52
	v_mul_f32_e32 v39, v39, v38
	v_lshl_add_u64 v[32:33], v[32:33], 0, s[18:19]
	s_waitcnt lgkmcnt(2)
	v_mul_f32_e32 v39, v39, v51
	v_lshl_add_u64 v[34:35], v[34:35], 0, s[18:19]
	global_load_ushort v51, v[32:33], off
	v_pk_add_f32 v[8:9], v[8:9], v[36:37]
	s_waitcnt vmcnt(14)
	v_cvt_f32_f16_e32 v37, v44
	global_load_ushort v52, v[34:35], off
	s_waitcnt vmcnt(14)
	v_cvt_f32_f16_e32 v36, v45
	v_lshl_add_u64 v[32:33], v[32:33], 0, s[18:19]
	s_waitcnt lgkmcnt(1)
	v_sub_f32_e32 v37, v37, v54
	global_load_ushort v45, v[32:33], off
	v_lshl_add_u64 v[34:35], v[34:35], 0, s[18:19]
	v_mul_f32_e32 v37, v37, v36
	s_waitcnt lgkmcnt(0)
	v_mul_f32_e32 v37, v37, v53
	global_load_ushort v53, v[34:35], off
	v_lshl_add_u64 v[32:33], v[32:33], 0, s[18:19]
	v_lshl_add_u64 v[34:35], v[34:35], 0, s[18:19]
	global_load_ushort v54, v[32:33], off
	global_load_ushort v57, v[34:35], off
	v_lshl_add_u64 v[32:33], v[32:33], 0, s[18:19]
	global_load_ushort v60, v[32:33], off
	v_lshl_add_u64 v[34:35], v[34:35], 0, s[18:19]
	v_lshl_add_u64 v[32:33], v[32:33], 0, s[18:19]
	global_load_ushort v58, v[34:35], off
	v_lshl_add_u64 v[34:35], v[34:35], 0, s[18:19]
	global_load_ushort v61, v[32:33], off
	global_load_ushort v59, v[34:35], off
	ds_bpermute_b32 v33, v18, v30
	ds_bpermute_b32 v34, v18, v29
	v_pk_add_f32 v[8:9], v[8:9], v[38:39]
	ds_bpermute_b32 v38, v20, v30
	v_pk_add_f32 v[8:9], v[8:9], v[36:37]
	ds_bpermute_b32 v36, v19, v30
	ds_bpermute_b32 v44, v22, v30
	s_waitcnt vmcnt(21)
	v_cvt_f32_f16_e32 v31, v31
	s_waitcnt vmcnt(20)
	v_cvt_f32_f16_e32 v32, v46
	s_waitcnt lgkmcnt(4)
	v_sub_f32_e32 v31, v31, v33
	v_mul_f32_e32 v31, v31, v32
	s_waitcnt vmcnt(19)
	v_cvt_f32_f16_e32 v35, v48
	s_waitcnt lgkmcnt(3)
	v_mul_f32_e32 v33, v31, v34
	ds_bpermute_b32 v31, v19, v29
	s_waitcnt vmcnt(18)
	v_cvt_f32_f16_e32 v34, v47
	s_waitcnt lgkmcnt(2)
	v_sub_f32_e32 v35, v35, v36
	v_pk_add_f32 v[8:9], v[8:9], v[32:33]
	s_waitcnt vmcnt(17)
	v_cvt_f32_f16_e32 v37, v55
	v_mul_f32_e32 v35, v35, v34
	s_waitcnt lgkmcnt(0)
	v_mul_f32_e32 v35, v35, v31
	s_waitcnt vmcnt(16)
	v_cvt_f32_f16_e32 v36, v56
	ds_bpermute_b32 v31, v20, v29
	s_waitcnt vmcnt(15)
	v_cvt_f32_f16_e32 v39, v40
	v_sub_f32_e32 v37, v37, v38
	ds_bpermute_b32 v40, v21, v30
	v_mul_f32_e32 v37, v37, v36
	s_waitcnt lgkmcnt(1)
	v_mul_f32_e32 v37, v37, v31
	s_waitcnt vmcnt(14)
	v_cvt_f32_f16_e32 v38, v41
	ds_bpermute_b32 v31, v21, v29
	s_waitcnt lgkmcnt(1)
	v_sub_f32_e32 v39, v39, v40
	v_pk_add_f32 v[8:9], v[8:9], v[34:35]
	s_waitcnt vmcnt(13)
	v_cvt_f32_f16_e32 v41, v49
	v_mul_f32_e32 v39, v39, v38
	s_waitcnt lgkmcnt(0)
	v_mul_f32_e32 v39, v39, v31
	s_waitcnt vmcnt(12)
	v_cvt_f32_f16_e32 v40, v50
	ds_bpermute_b32 v31, v22, v29
	v_sub_f32_e32 v41, v41, v44
	ds_bpermute_b32 v44, v23, v30
	s_waitcnt vmcnt(11)
	v_cvt_f32_f16_e32 v46, v42
	v_mul_f32_e32 v41, v41, v40
	s_waitcnt lgkmcnt(1)
	v_mul_f32_e32 v41, v41, v31
	s_waitcnt vmcnt(10)
	v_cvt_f32_f16_e32 v42, v43
	ds_bpermute_b32 v31, v23, v29
	s_waitcnt lgkmcnt(1)
	v_sub_f32_e32 v43, v46, v44
	ds_bpermute_b32 v46, v24, v30
	s_waitcnt vmcnt(9)
	v_cvt_f32_f16_e32 v47, v51
	v_mul_f32_e32 v43, v43, v42
	s_waitcnt lgkmcnt(1)
	v_mul_f32_e32 v43, v43, v31
	s_waitcnt vmcnt(8)
	v_cvt_f32_f16_e32 v44, v52
	ds_bpermute_b32 v31, v24, v29
	ds_bpermute_b32 v50, v26, v30
	;; [unrolled: 1-line block ×3, first 2 shown]
	s_waitcnt vmcnt(7)
	v_cvt_f32_f16_e32 v48, v45
	s_waitcnt lgkmcnt(3)
	v_sub_f32_e32 v45, v47, v46
	ds_bpermute_b32 v47, v25, v30
	v_mul_f32_e32 v45, v45, v44
	s_waitcnt lgkmcnt(3)
	v_mul_f32_e32 v45, v45, v31
	s_waitcnt vmcnt(6)
	v_cvt_f32_f16_e32 v46, v53
	ds_bpermute_b32 v31, v25, v29
	s_waitcnt lgkmcnt(1)
	v_sub_f32_e32 v47, v48, v47
	s_waitcnt vmcnt(5)
	v_cvt_f32_f16_e32 v49, v54
	v_mul_f32_e32 v47, v47, v46
	s_waitcnt vmcnt(4)
	v_cvt_f32_f16_e32 v48, v57
	s_waitcnt lgkmcnt(0)
	v_mul_f32_e32 v47, v47, v31
	ds_bpermute_b32 v31, v26, v29
	s_waitcnt vmcnt(3)
	v_cvt_f32_f16_e32 v51, v60
	v_sub_f32_e32 v49, v49, v50
	v_mul_f32_e32 v49, v49, v48
	v_pk_add_f32 v[8:9], v[8:9], v[36:37]
	ds_bpermute_b32 v30, v28, v30
	s_waitcnt lgkmcnt(1)
	v_mul_f32_e32 v49, v49, v31
	s_waitcnt vmcnt(2)
	v_cvt_f32_f16_e32 v50, v58
	ds_bpermute_b32 v31, v27, v29
	s_waitcnt vmcnt(1)
	v_cvt_f32_f16_e32 v53, v61
	v_pk_add_f32 v[8:9], v[8:9], v[38:39]
	v_sub_f32_e32 v51, v51, v52
	s_waitcnt vmcnt(0)
	v_cvt_f32_f16_e32 v52, v59
	v_pk_add_f32 v[8:9], v[8:9], v[40:41]
	ds_bpermute_b32 v29, v28, v29
	v_pk_add_f32 v[8:9], v[8:9], v[42:43]
	v_mul_f32_e32 v51, v51, v50
	v_pk_add_f32 v[8:9], v[8:9], v[44:45]
	s_waitcnt lgkmcnt(2)
	v_sub_f32_e32 v30, v53, v30
	v_pk_add_f32 v[8:9], v[8:9], v[46:47]
	s_waitcnt lgkmcnt(1)
	v_mul_f32_e32 v51, v51, v31
	v_pk_add_f32 v[8:9], v[8:9], v[48:49]
	v_mul_f32_e32 v30, v30, v52
	v_pk_add_f32 v[8:9], v[8:9], v[50:51]
	s_waitcnt lgkmcnt(0)
	v_mul_f32_e32 v53, v30, v29
	v_pk_add_f32 v[8:9], v[8:9], v[52:53]
	s_cbranch_vccz .LBB81_10
.LBB81_7:                               ; =>This Inner Loop Header: Depth=1
	v_mov_b32_e32 v29, 0
	v_mov_b32_e32 v30, 0
	s_and_saveexec_b64 s[26:27], s[4:5]
	s_cbranch_execz .LBB81_6
; %bb.8:                                ;   in Loop: Header=BB81_7 Depth=1
	v_cmp_gt_i64_e32 vcc, s[16:17], v[0:1]
	v_mov_b32_e32 v30, 0
	v_mov_b32_e32 v29, 0
	s_and_saveexec_b64 s[28:29], vcc
	s_cbranch_execz .LBB81_5
; %bb.9:                                ;   in Loop: Header=BB81_7 Depth=1
	v_lshl_add_u64 v[34:35], s[12:13], 0, v[2:3]
	v_lshl_add_u64 v[32:33], s[14:15], 0, v[2:3]
	global_load_dword v30, v[34:35], off
	global_load_dword v29, v[32:33], off
	s_branch .LBB81_5
.LBB81_10:
	v_mov_b32_e32 v4, v12
.LBB81_11:
	s_load_dwordx4 s[4:7], s[0:1], 0x30
	s_movk_i32 s0, 0x41
	v_mad_u32_u24 v0, v4, s0, v10
	v_lshl_add_u32 v0, v0, 2, 0
	v_lshrrev_b32_e32 v12, 6, v10
	ds_write_b32 v0, v9
	ds_write_b32 v0, v8 offset:4160
	v_add_u32_e32 v0, v12, v4
	s_mov_b32 s3, 0
	v_cmp_gt_u32_e32 vcc, 64, v0
	s_waitcnt lgkmcnt(0)
	s_barrier
	s_and_saveexec_b64 s[0:1], vcc
	s_cbranch_execz .LBB81_21
; %bb.12:
	v_and_b32_e32 v1, 63, v10
	v_cmp_gt_u32_e64 s[0:1], 16, v1
	v_mul_u32_u24_e32 v13, 0x41, v1
	v_mbcnt_hi_u32_b32 v1, -1, v11
	v_and_b32_e32 v2, 64, v1
	v_add_u32_e32 v2, 64, v2
	v_xor_b32_e32 v3, 8, v1
	v_cmp_lt_i32_e32 vcc, v3, v2
	s_lshl_b64 s[10:11], s[2:3], 6
	v_mov_b32_e32 v5, 0
	v_cndmask_b32_e32 v3, v1, v3, vcc
	v_lshlrev_b32_e32 v6, 2, v3
	v_xor_b32_e32 v3, 4, v1
	v_cmp_lt_i32_e32 vcc, v3, v2
	v_cmp_eq_u32_e64 s[2:3], 0, v10
	v_add_u32_e32 v10, -16, v0
	v_cndmask_b32_e32 v3, v1, v3, vcc
	v_lshlrev_b32_e32 v7, 2, v3
	v_xor_b32_e32 v3, 2, v1
	v_cmp_lt_i32_e32 vcc, v3, v2
	v_or_b32_e32 v0, s10, v12
	s_cmp_lg_u64 s[4:5], 0
	v_cndmask_b32_e32 v3, v1, v3, vcc
	v_lshlrev_b32_e32 v8, 2, v3
	v_xor_b32_e32 v3, 1, v1
	v_cmp_lt_i32_e32 vcc, v3, v2
	s_cselect_b64 s[12:13], -1, 0
	s_cmp_lg_u64 s[6:7], 0
	v_cndmask_b32_e32 v1, v1, v3, vcc
	v_lshlrev_b32_e32 v9, 2, v1
	v_mov_b32_e32 v1, s11
	v_lshl_add_u64 v[0:1], v[0:1], 0, v[4:5]
	v_lshlrev_b64 v[2:3], 1, v[0:1]
	v_add3_u32 v4, v13, v4, v12
	v_lshl_add_u64 v[0:1], s[6:7], 0, v[2:3]
	v_lshl_add_u32 v11, v4, 2, 0
	v_cndmask_b32_e64 v4, 0, 1, s[12:13]
	s_cselect_b64 s[6:7], -1, 0
	v_lshl_add_u64 v[2:3], s[4:5], 0, v[2:3]
	v_cmp_ne_u32_e64 s[4:5], 1, v4
	v_cndmask_b32_e64 v4, 0, 1, s[6:7]
	s_mov_b64 s[8:9], 0
	v_cmp_ne_u32_e64 s[6:7], 1, v4
                                        ; implicit-def: $vgpr4
	s_branch .LBB81_14
.LBB81_13:                              ;   in Loop: Header=BB81_14 Depth=1
	s_or_b64 exec, exec, s[10:11]
	v_add_u32_e32 v10, 16, v10
	v_cmp_lt_u32_e32 vcc, 47, v10
	v_lshl_add_u64 v[0:1], v[0:1], 0, 32
	v_lshl_add_u64 v[2:3], v[2:3], 0, 32
	s_or_b64 s[8:9], vcc, s[8:9]
	v_add_u32_e32 v11, 64, v11
	s_andn2_b64 exec, exec, s[8:9]
	s_cbranch_execz .LBB81_21
.LBB81_14:                              ; =>This Inner Loop Header: Depth=1
	s_and_saveexec_b64 s[10:11], s[0:1]
	s_cbranch_execz .LBB81_16
; %bb.15:                               ;   in Loop: Header=BB81_14 Depth=1
	ds_read_b32 v5, v11
	ds_read_b32 v4, v11 offset:4160
.LBB81_16:                              ;   in Loop: Header=BB81_14 Depth=1
	s_or_b64 exec, exec, s[10:11]
	s_waitcnt lgkmcnt(1)
	ds_bpermute_b32 v13, v6, v5
	s_waitcnt lgkmcnt(1)
	ds_bpermute_b32 v12, v6, v4
	s_waitcnt lgkmcnt(0)
	v_pk_add_f32 v[4:5], v[4:5], v[12:13]
	ds_bpermute_b32 v13, v7, v5
	ds_bpermute_b32 v12, v7, v4
	s_waitcnt lgkmcnt(0)
	v_pk_add_f32 v[4:5], v[4:5], v[12:13]
	ds_bpermute_b32 v13, v8, v5
	ds_bpermute_b32 v12, v8, v4
	s_waitcnt lgkmcnt(0)
	v_pk_add_f32 v[4:5], v[4:5], v[12:13]
	ds_bpermute_b32 v13, v9, v5
	ds_bpermute_b32 v12, v9, v4
	s_waitcnt lgkmcnt(0)
	v_pk_add_f32 v[4:5], v[4:5], v[12:13]
	s_and_saveexec_b64 s[10:11], s[2:3]
	s_cbranch_execz .LBB81_13
; %bb.17:                               ;   in Loop: Header=BB81_14 Depth=1
	s_and_b64 vcc, exec, s[4:5]
	s_cbranch_vccnz .LBB81_19
; %bb.18:                               ;   in Loop: Header=BB81_14 Depth=1
	v_cvt_f16_f32_e32 v12, v5
	global_store_short v[2:3], v12, off
.LBB81_19:                              ;   in Loop: Header=BB81_14 Depth=1
	s_and_b64 vcc, exec, s[6:7]
	s_cbranch_vccnz .LBB81_13
; %bb.20:                               ;   in Loop: Header=BB81_14 Depth=1
	v_cvt_f16_f32_e32 v12, v4
	global_store_short v[0:1], v12, off
	s_branch .LBB81_13
.LBB81_21:
	s_endpgm
	.section	.rodata,"a",@progbits
	.p2align	6, 0x0
	.amdhsa_kernel _ZN2at6native12_GLOBAL__N_135GammaBetaBackwardCUDAKernelTemplateIN3c104HalfEfLj64ELj16ELj256ELb0ELb1ELb0EEEvllPKT_S7_PKT0_SA_PS5_SB_
		.amdhsa_group_segment_fixed_size 0
		.amdhsa_private_segment_fixed_size 0
		.amdhsa_kernarg_size 320
		.amdhsa_user_sgpr_count 2
		.amdhsa_user_sgpr_dispatch_ptr 0
		.amdhsa_user_sgpr_queue_ptr 0
		.amdhsa_user_sgpr_kernarg_segment_ptr 1
		.amdhsa_user_sgpr_dispatch_id 0
		.amdhsa_user_sgpr_kernarg_preload_length 0
		.amdhsa_user_sgpr_kernarg_preload_offset 0
		.amdhsa_user_sgpr_private_segment_size 0
		.amdhsa_uses_dynamic_stack 0
		.amdhsa_enable_private_segment 0
		.amdhsa_system_sgpr_workgroup_id_x 1
		.amdhsa_system_sgpr_workgroup_id_y 1
		.amdhsa_system_sgpr_workgroup_id_z 0
		.amdhsa_system_sgpr_workgroup_info 0
		.amdhsa_system_vgpr_workitem_id 1
		.amdhsa_next_free_vgpr 62
		.amdhsa_next_free_sgpr 30
		.amdhsa_accum_offset 64
		.amdhsa_reserve_vcc 1
		.amdhsa_float_round_mode_32 0
		.amdhsa_float_round_mode_16_64 0
		.amdhsa_float_denorm_mode_32 3
		.amdhsa_float_denorm_mode_16_64 3
		.amdhsa_dx10_clamp 1
		.amdhsa_ieee_mode 1
		.amdhsa_fp16_overflow 0
		.amdhsa_tg_split 0
		.amdhsa_exception_fp_ieee_invalid_op 0
		.amdhsa_exception_fp_denorm_src 0
		.amdhsa_exception_fp_ieee_div_zero 0
		.amdhsa_exception_fp_ieee_overflow 0
		.amdhsa_exception_fp_ieee_underflow 0
		.amdhsa_exception_fp_ieee_inexact 0
		.amdhsa_exception_int_div_zero 0
	.end_amdhsa_kernel
	.section	.text._ZN2at6native12_GLOBAL__N_135GammaBetaBackwardCUDAKernelTemplateIN3c104HalfEfLj64ELj16ELj256ELb0ELb1ELb0EEEvllPKT_S7_PKT0_SA_PS5_SB_,"axG",@progbits,_ZN2at6native12_GLOBAL__N_135GammaBetaBackwardCUDAKernelTemplateIN3c104HalfEfLj64ELj16ELj256ELb0ELb1ELb0EEEvllPKT_S7_PKT0_SA_PS5_SB_,comdat
.Lfunc_end81:
	.size	_ZN2at6native12_GLOBAL__N_135GammaBetaBackwardCUDAKernelTemplateIN3c104HalfEfLj64ELj16ELj256ELb0ELb1ELb0EEEvllPKT_S7_PKT0_SA_PS5_SB_, .Lfunc_end81-_ZN2at6native12_GLOBAL__N_135GammaBetaBackwardCUDAKernelTemplateIN3c104HalfEfLj64ELj16ELj256ELb0ELb1ELb0EEEvllPKT_S7_PKT0_SA_PS5_SB_
                                        ; -- End function
	.section	.AMDGPU.csdata,"",@progbits
; Kernel info:
; codeLenInByte = 2520
; NumSgprs: 36
; NumVgprs: 62
; NumAgprs: 0
; TotalNumVgprs: 62
; ScratchSize: 0
; MemoryBound: 0
; FloatMode: 240
; IeeeMode: 1
; LDSByteSize: 0 bytes/workgroup (compile time only)
; SGPRBlocks: 4
; VGPRBlocks: 7
; NumSGPRsForWavesPerEU: 36
; NumVGPRsForWavesPerEU: 62
; AccumOffset: 64
; Occupancy: 8
; WaveLimiterHint : 0
; COMPUTE_PGM_RSRC2:SCRATCH_EN: 0
; COMPUTE_PGM_RSRC2:USER_SGPR: 2
; COMPUTE_PGM_RSRC2:TRAP_HANDLER: 0
; COMPUTE_PGM_RSRC2:TGID_X_EN: 1
; COMPUTE_PGM_RSRC2:TGID_Y_EN: 1
; COMPUTE_PGM_RSRC2:TGID_Z_EN: 0
; COMPUTE_PGM_RSRC2:TIDIG_COMP_CNT: 1
; COMPUTE_PGM_RSRC3_GFX90A:ACCUM_OFFSET: 15
; COMPUTE_PGM_RSRC3_GFX90A:TG_SPLIT: 0
	.section	.text._ZN2at6native12_GLOBAL__N_135GammaBetaBackwardCUDAKernelTemplateIN3c104HalfEfLj64ELj16ELj256ELb0ELb0ELb0EEEvllPKT_S7_PKT0_SA_PS5_SB_,"axG",@progbits,_ZN2at6native12_GLOBAL__N_135GammaBetaBackwardCUDAKernelTemplateIN3c104HalfEfLj64ELj16ELj256ELb0ELb0ELb0EEEvllPKT_S7_PKT0_SA_PS5_SB_,comdat
	.globl	_ZN2at6native12_GLOBAL__N_135GammaBetaBackwardCUDAKernelTemplateIN3c104HalfEfLj64ELj16ELj256ELb0ELb0ELb0EEEvllPKT_S7_PKT0_SA_PS5_SB_ ; -- Begin function _ZN2at6native12_GLOBAL__N_135GammaBetaBackwardCUDAKernelTemplateIN3c104HalfEfLj64ELj16ELj256ELb0ELb0ELb0EEEvllPKT_S7_PKT0_SA_PS5_SB_
	.p2align	8
	.type	_ZN2at6native12_GLOBAL__N_135GammaBetaBackwardCUDAKernelTemplateIN3c104HalfEfLj64ELj16ELj256ELb0ELb0ELb0EEEvllPKT_S7_PKT0_SA_PS5_SB_,@function
_ZN2at6native12_GLOBAL__N_135GammaBetaBackwardCUDAKernelTemplateIN3c104HalfEfLj64ELj16ELj256ELb0ELb0ELb0EEEvllPKT_S7_PKT0_SA_PS5_SB_: ; @_ZN2at6native12_GLOBAL__N_135GammaBetaBackwardCUDAKernelTemplateIN3c104HalfEfLj64ELj16ELj256ELb0ELb0ELb0EEEvllPKT_S7_PKT0_SA_PS5_SB_
; %bb.0:
	s_load_dwordx8 s[24:31], s[0:1], 0x0
	s_load_dwordx4 s[36:39], s[0:1], 0x20
	s_lshl_b32 s33, s2, 6
	s_mov_b32 s8, 0
	v_mov_b32_e32 v103, v0
	s_or_b32 s4, s33, 63
	s_mov_b32 s5, s8
	s_waitcnt lgkmcnt(0)
	v_mov_b64_e32 v[0:1], s[26:27]
	v_cmp_ge_i64_e32 vcc, s[4:5], v[0:1]
	s_lshl_b32 s34, s3, 8
	s_mov_b32 s35, s8
	v_mov_b64_e32 v[0:1], s[24:25]
	v_cmp_lt_i64_e64 s[4:5], s[34:35], v[0:1]
	s_nop 1
	v_cndmask_b32_e64 v0, 0, 1, s[4:5]
	v_cmp_ne_u32_e64 s[4:5], 1, v0
	s_cbranch_vccz .LBB82_80
; %bb.1:
	v_mov_b32_e32 v99, 0
	s_and_b64 vcc, exec, s[4:5]
	v_mov_b32_e32 v98, v99
	s_cbranch_vccnz .LBB82_82
; %bb.2:
	v_mov_b32_e32 v3, 0
	v_bfe_u32 v121, v103, 10, 10
	s_load_dword s3, s[0:1], 0x44
	v_lshlrev_b32_e32 v0, 4, v121
	v_mov_b32_e32 v1, v3
	v_and_b32_e32 v120, 0x3ff, v103
	v_lshl_add_u64 v[4:5], v[0:1], 0, s[34:35]
	v_add_u32_e32 v2, s33, v120
	v_lshl_add_u64 v[6:7], v[4:5], 0, 15
	s_add_u32 s40, s0, 64
	v_cmp_gt_i64_e64 s[6:7], s[26:27], v[2:3]
	v_lshlrev_b64 v[50:51], 1, v[2:3]
	v_mul_lo_u32 v2, s27, v6
	v_mul_lo_u32 v8, s26, v7
	v_mad_u64_u32 v[6:7], s[10:11], s26, v6, 0
	s_addc_u32 s41, s1, 0
	s_waitcnt lgkmcnt(0)
	s_lshl_b32 s3, s3, 8
	v_add3_u32 v7, v7, v8, v2
	v_lshlrev_b64 v[6:7], 1, v[6:7]
	s_mul_i32 s9, s27, s3
	s_mul_hi_u32 s10, s26, s3
	v_lshl_add_u64 v[52:53], s[28:29], 0, v[6:7]
	s_add_i32 s11, s10, s9
	s_mul_i32 s10, s26, s3
	v_lshl_add_u64 v[54:55], s[30:31], 0, v[6:7]
	v_lshl_add_u64 v[6:7], v[4:5], 0, 14
	s_lshl_b64 s[42:43], s[10:11], 1
	v_mul_lo_u32 v2, s27, v6
	v_mul_lo_u32 v8, s26, v7
	v_mad_u64_u32 v[6:7], s[10:11], s26, v6, 0
	v_add3_u32 v7, v7, v8, v2
	v_lshlrev_b64 v[6:7], 1, v[6:7]
	v_lshl_add_u64 v[56:57], s[28:29], 0, v[6:7]
	v_lshl_add_u64 v[58:59], s[30:31], 0, v[6:7]
	v_lshl_add_u64 v[6:7], v[4:5], 0, 13
	v_mul_lo_u32 v2, s27, v6
	v_mul_lo_u32 v8, s26, v7
	v_mad_u64_u32 v[6:7], s[10:11], s26, v6, 0
	v_add3_u32 v7, v7, v8, v2
	v_lshlrev_b64 v[6:7], 1, v[6:7]
	v_lshl_add_u64 v[60:61], s[28:29], 0, v[6:7]
	v_lshl_add_u64 v[62:63], s[30:31], 0, v[6:7]
	v_lshl_add_u64 v[6:7], v[4:5], 0, 12
	;; [unrolled: 8-line block ×11, first 2 shown]
	v_mul_lo_u32 v2, s27, v6
	v_mul_lo_u32 v8, s26, v7
	v_mad_u64_u32 v[6:7], s[10:11], s26, v6, 0
	v_add3_u32 v7, v7, v8, v2
	v_lshlrev_b64 v[6:7], 1, v[6:7]
	v_mov_b32_e32 v125, v103
	v_lshl_add_u64 v[102:103], s[28:29], 0, v[6:7]
	v_lshl_add_u64 v[104:105], s[30:31], 0, v[6:7]
	;; [unrolled: 1-line block ×3, first 2 shown]
	v_mul_lo_u32 v2, s27, v6
	v_mul_lo_u32 v8, s26, v7
	v_mad_u64_u32 v[6:7], s[10:11], s26, v6, 0
	v_add3_u32 v7, v7, v8, v2
	v_lshlrev_b64 v[6:7], 1, v[6:7]
	v_lshl_add_u64 v[106:107], s[28:29], 0, v[6:7]
	v_lshl_add_u64 v[108:109], s[30:31], 0, v[6:7]
	v_mov_b64_e32 v[6:7], s[26:27]
	v_mad_u64_u32 v[6:7], s[10:11], s26, v4, v[6:7]
	v_mul_lo_u32 v2, s26, v5
	v_mul_lo_u32 v8, s27, v4
	v_mad_u64_u32 v[4:5], s[10:11], s26, v4, 0
	v_add3_u32 v7, v8, v7, v2
	v_add3_u32 v5, v5, v2, v8
	v_mbcnt_lo_u32_b32 v2, -1, 0
	v_mbcnt_hi_u32_b32 v2, -1, v2
	v_lshlrev_b64 v[6:7], 1, v[6:7]
	s_add_u32 s44, s34, 0xff
	v_lshlrev_b64 v[4:5], 1, v[4:5]
	s_movk_i32 s46, 0xff01
	s_movk_i32 s48, 0xff02
	;; [unrolled: 1-line block ×16, first 2 shown]
	v_lshlrev_b32_e32 v2, 2, v2
	v_lshl_add_u64 v[110:111], s[28:29], 0, v[6:7]
	v_lshl_add_u64 v[112:113], s[30:31], 0, v[6:7]
	s_addc_u32 s45, 0, 0
	v_lshl_add_u64 v[114:115], s[28:29], 0, v[4:5]
	v_lshl_add_u64 v[116:117], s[30:31], 0, v[4:5]
	s_mov_b32 s47, -1
	s_mov_b32 s49, -1
	;; [unrolled: 1-line block ×16, first 2 shown]
	v_and_b32_e32 v122, 0x100, v2
	s_mov_b64 s[78:79], s[34:35]
	v_mov_b32_e32 v98, v3
	v_mov_b32_e32 v99, v3
	s_branch .LBB82_5
.LBB82_3:                               ;   in Loop: Header=BB82_5 Depth=1
	s_or_b64 exec, exec, s[10:11]
	s_waitcnt vmcnt(1)
	ds_bpermute_b32 v2, v122, v124
	ds_bpermute_b32 v4, v122, v124 offset:4
	s_waitcnt vmcnt(0)
	ds_bpermute_b32 v5, v122, v123
	ds_bpermute_b32 v6, v122, v123 offset:4
	ds_bpermute_b32 v8, v122, v123 offset:12
	s_waitcnt lgkmcnt(4)
	v_sub_f32_e32 v2, v18, v2
	v_mul_f32_e32 v2, v34, v2
	s_waitcnt lgkmcnt(3)
	v_sub_f32_e32 v4, v19, v4
	s_waitcnt lgkmcnt(2)
	v_mul_f32_e32 v5, v2, v5
	ds_bpermute_b32 v2, v122, v124 offset:8
	v_mul_f32_e32 v4, v35, v4
	s_waitcnt lgkmcnt(2)
	v_mul_f32_e32 v7, v4, v6
	ds_bpermute_b32 v4, v122, v123 offset:8
	ds_bpermute_b32 v6, v122, v124 offset:12
	s_waitcnt lgkmcnt(2)
	v_sub_f32_e32 v2, v20, v2
	v_mul_f32_e32 v2, v36, v2
	v_mov_b32_e32 v10, v37
	s_waitcnt lgkmcnt(1)
	v_mul_f32_e32 v9, v2, v4
	s_waitcnt lgkmcnt(0)
	v_sub_f32_e32 v2, v21, v6
	ds_bpermute_b32 v4, v122, v124 offset:16
	v_mul_f32_e32 v2, v37, v2
	v_mul_f32_e32 v11, v2, v8
	ds_bpermute_b32 v2, v122, v123 offset:16
	ds_bpermute_b32 v6, v122, v124 offset:20
	;; [unrolled: 1-line block ×3, first 2 shown]
	s_waitcnt lgkmcnt(3)
	v_sub_f32_e32 v4, v22, v4
	v_mul_f32_e32 v4, v38, v4
	s_waitcnt lgkmcnt(2)
	v_mul_f32_e32 v13, v4, v2
	s_waitcnt lgkmcnt(1)
	v_sub_f32_e32 v2, v23, v6
	v_mul_f32_e32 v2, v39, v2
	v_mov_b32_e32 v4, v34
	s_waitcnt lgkmcnt(0)
	v_mul_f32_e32 v15, v2, v8
	v_pk_add_f32 v[4:5], v[98:99], v[4:5]
	v_mov_b32_e32 v6, v35
	ds_bpermute_b32 v2, v122, v124 offset:24
	v_pk_add_f32 v[4:5], v[6:7], v[4:5]
	v_mov_b32_e32 v8, v36
	v_pk_add_f32 v[4:5], v[8:9], v[4:5]
	ds_bpermute_b32 v6, v122, v123 offset:24
	ds_bpermute_b32 v8, v122, v124 offset:28
	;; [unrolled: 1-line block ×3, first 2 shown]
	s_waitcnt lgkmcnt(3)
	v_sub_f32_e32 v2, v24, v2
	v_mul_f32_e32 v2, v40, v2
	s_waitcnt lgkmcnt(2)
	v_mul_f32_e32 v7, v2, v6
	s_waitcnt lgkmcnt(1)
	v_sub_f32_e32 v2, v25, v8
	ds_bpermute_b32 v6, v122, v124 offset:32
	v_mul_f32_e32 v2, v41, v2
	s_waitcnt lgkmcnt(1)
	v_mul_f32_e32 v9, v2, v9
	ds_bpermute_b32 v2, v122, v123 offset:32
	ds_bpermute_b32 v8, v122, v124 offset:36
	v_pk_add_f32 v[4:5], v[10:11], v[4:5]
	ds_bpermute_b32 v10, v122, v123 offset:36
	s_waitcnt lgkmcnt(3)
	v_sub_f32_e32 v6, v26, v6
	v_mul_f32_e32 v6, v42, v6
	s_waitcnt lgkmcnt(2)
	v_mul_f32_e32 v11, v6, v2
	s_waitcnt lgkmcnt(1)
	v_sub_f32_e32 v2, v27, v8
	ds_bpermute_b32 v6, v122, v124 offset:40
	v_mov_b32_e32 v12, v38
	v_mul_f32_e32 v2, v43, v2
	v_pk_add_f32 v[4:5], v[12:13], v[4:5]
	s_waitcnt lgkmcnt(1)
	v_mul_f32_e32 v13, v2, v10
	ds_bpermute_b32 v2, v122, v123 offset:40
	ds_bpermute_b32 v8, v122, v124 offset:44
	;; [unrolled: 1-line block ×3, first 2 shown]
	s_waitcnt lgkmcnt(3)
	v_sub_f32_e32 v6, v28, v6
	v_mov_b32_e32 v14, v39
	v_mul_f32_e32 v6, v44, v6
	v_pk_add_f32 v[4:5], v[14:15], v[4:5]
	s_waitcnt lgkmcnt(2)
	v_mul_f32_e32 v15, v6, v2
	s_waitcnt lgkmcnt(1)
	v_sub_f32_e32 v2, v29, v8
	ds_bpermute_b32 v6, v122, v124 offset:48
	v_mul_f32_e32 v2, v45, v2
	s_waitcnt lgkmcnt(1)
	v_mul_f32_e32 v17, v2, v10
	ds_bpermute_b32 v2, v122, v123 offset:48
	ds_bpermute_b32 v8, v122, v124 offset:52
	;; [unrolled: 1-line block ×3, first 2 shown]
	s_waitcnt lgkmcnt(3)
	v_sub_f32_e32 v6, v30, v6
	v_mul_f32_e32 v6, v46, v6
	s_waitcnt lgkmcnt(2)
	v_mul_f32_e32 v19, v6, v2
	s_waitcnt lgkmcnt(1)
	v_sub_f32_e32 v2, v31, v8
	v_mul_f32_e32 v2, v47, v2
	v_mov_b32_e32 v6, v40
	s_waitcnt lgkmcnt(0)
	v_mul_f32_e32 v21, v2, v10
	v_pk_add_f32 v[4:5], v[6:7], v[4:5]
	v_mov_b32_e32 v8, v41
	ds_bpermute_b32 v2, v122, v124 offset:56
	v_pk_add_f32 v[4:5], v[8:9], v[4:5]
	v_mov_b32_e32 v10, v42
	v_pk_add_f32 v[4:5], v[10:11], v[4:5]
	v_mov_b32_e32 v12, v43
	ds_bpermute_b32 v7, v122, v123 offset:56
	v_pk_add_f32 v[4:5], v[12:13], v[4:5]
	v_mov_b32_e32 v14, v44
	v_pk_add_f32 v[4:5], v[14:15], v[4:5]
	v_mov_b32_e32 v16, v45
	;; [unrolled: 2-line block ×3, first 2 shown]
	s_waitcnt lgkmcnt(1)
	v_sub_f32_e32 v8, v32, v2
	v_pk_add_f32 v[4:5], v[18:19], v[4:5]
	v_mov_b32_e32 v20, v47
	v_mul_f32_e32 v8, v48, v8
	v_pk_add_f32 v[4:5], v[20:21], v[4:5]
	s_waitcnt lgkmcnt(0)
	v_mul_f32_e32 v9, v8, v7
	v_mov_b32_e32 v8, v48
	ds_bpermute_b32 v2, v122, v123 offset:60
	ds_bpermute_b32 v6, v122, v124 offset:60
	v_pk_add_f32 v[4:5], v[8:9], v[4:5]
.LBB82_4:                               ;   in Loop: Header=BB82_5 Depth=1
	s_waitcnt lgkmcnt(0)
	v_sub_f32_e32 v6, v33, v6
	v_mul_f32_e32 v6, v49, v6
	v_mul_f32_e32 v7, v6, v2
	v_mov_b32_e32 v6, v49
	s_add_u32 s78, s78, s3
	v_pk_add_f32 v[98:99], v[4:5], v[6:7]
	s_addc_u32 s79, s79, 0
	v_mov_b64_e32 v[4:5], s[24:25]
	s_add_u32 s44, s44, s3
	v_cmp_lt_i64_e32 vcc, s[78:79], v[4:5]
	v_lshl_add_u64 v[52:53], v[52:53], 0, s[42:43]
	v_lshl_add_u64 v[54:55], v[54:55], 0, s[42:43]
	;; [unrolled: 1-line block ×30, first 2 shown]
	s_addc_u32 s45, s45, 0
	v_lshl_add_u64 v[114:115], v[114:115], 0, s[42:43]
	v_lshl_add_u64 v[116:117], v[116:117], 0, s[42:43]
	s_cbranch_vccz .LBB82_81
.LBB82_5:                               ; =>This Inner Loop Header: Depth=1
	v_mov_b64_e32 v[4:5], s[24:25]
	v_cmp_ge_i64_e32 vcc, s[44:45], v[4:5]
	v_lshl_add_u64 v[118:119], v[0:1], 0, s[44:45]
	s_cbranch_vccz .LBB82_43
; %bb.6:                                ;   in Loop: Header=BB82_5 Depth=1
	s_load_dword s9, s[40:41], 0xc
	v_mov_b32_e32 v123, 0
	v_mov_b32_e32 v124, 0
	s_waitcnt lgkmcnt(0)
	s_and_b32 s9, s9, 0xffff
	v_mad_u32_u24 v2, v121, s9, v120
	v_and_b32_e32 v2, 63, v2
	v_cmp_gt_u32_e32 vcc, 16, v2
	s_and_saveexec_b64 s[10:11], vcc
	s_cbranch_execz .LBB82_10
; %bb.7:                                ;   in Loop: Header=BB82_5 Depth=1
	v_lshl_add_u64 v[4:5], v[118:119], 0, v[2:3]
	v_lshl_add_u64 v[4:5], v[4:5], 0, s[46:47]
	v_cmp_gt_i64_e32 vcc, s[24:25], v[4:5]
	v_mov_b32_e32 v124, 0
	v_mov_b32_e32 v123, 0
	s_and_saveexec_b64 s[12:13], vcc
	s_cbranch_execz .LBB82_9
; %bb.8:                                ;   in Loop: Header=BB82_5 Depth=1
	v_lshlrev_b64 v[4:5], 2, v[4:5]
	v_lshl_add_u64 v[6:7], s[38:39], 0, v[4:5]
	v_lshl_add_u64 v[4:5], s[36:37], 0, v[4:5]
	global_load_dword v124, v[4:5], off
	global_load_dword v123, v[6:7], off
.LBB82_9:                               ;   in Loop: Header=BB82_5 Depth=1
	s_or_b64 exec, exec, s[12:13]
.LBB82_10:                              ;   in Loop: Header=BB82_5 Depth=1
	s_or_b64 exec, exec, s[10:11]
	s_mov_b32 s22, s8
	s_mov_b32 s23, s8
	v_lshl_add_u64 v[4:5], v[118:119], 0, s[46:47]
	s_mov_b32 s9, s8
	s_mov_b32 s10, s8
	;; [unrolled: 1-line block ×13, first 2 shown]
	v_mov_b64_e32 v[32:33], s[22:23]
	v_cmp_gt_i64_e32 vcc, s[24:25], v[4:5]
	v_mov_b64_e32 v[30:31], s[20:21]
	v_mov_b64_e32 v[28:29], s[18:19]
	;; [unrolled: 1-line block ×8, first 2 shown]
	s_and_b64 s[80:81], s[6:7], vcc
	v_mov_b64_e32 v[46:47], v[30:31]
	v_mov_b64_e32 v[44:45], v[28:29]
	;; [unrolled: 1-line block ×7, first 2 shown]
	s_and_saveexec_b64 s[10:11], s[80:81]
	s_cbranch_execz .LBB82_12
; %bb.11:                               ;   in Loop: Header=BB82_5 Depth=1
	v_lshl_add_u64 v[4:5], v[114:115], 0, v[50:51]
	global_load_ushort v2, v[4:5], off
	v_lshl_add_u64 v[4:5], v[116:117], 0, v[50:51]
	global_load_ushort v18, v[4:5], off
	v_mov_b32_e32 v16, v3
	v_mov_b32_e32 v17, v3
	;; [unrolled: 1-line block ×29, first 2 shown]
	s_waitcnt vmcnt(1)
	v_cvt_f32_f16_e32 v2, v2
	v_mov_b64_e32 v[48:49], v[16:17]
	s_waitcnt vmcnt(0)
	v_cvt_f32_f16_e32 v18, v18
	v_mov_b64_e32 v[46:47], v[14:15]
	v_mov_b64_e32 v[44:45], v[12:13]
	;; [unrolled: 1-line block ×7, first 2 shown]
.LBB82_12:                              ;   in Loop: Header=BB82_5 Depth=1
	s_or_b64 exec, exec, s[10:11]
	v_lshl_add_u64 v[4:5], v[118:119], 0, s[48:49]
	v_cmp_gt_i64_e32 vcc, s[24:25], v[4:5]
	s_and_b64 s[12:13], s[6:7], vcc
	s_and_saveexec_b64 s[10:11], s[12:13]
	s_cbranch_execz .LBB82_14
; %bb.13:                               ;   in Loop: Header=BB82_5 Depth=1
	v_lshl_add_u64 v[4:5], v[110:111], 0, v[50:51]
	global_load_ushort v2, v[4:5], off
	v_lshl_add_u64 v[4:5], v[112:113], 0, v[50:51]
	global_load_ushort v4, v[4:5], off
	s_waitcnt vmcnt(1)
	v_cvt_f32_f16_e32 v35, v2
	s_waitcnt vmcnt(0)
	v_cvt_f32_f16_e32 v19, v4
.LBB82_14:                              ;   in Loop: Header=BB82_5 Depth=1
	s_or_b64 exec, exec, s[10:11]
	v_lshl_add_u64 v[4:5], v[118:119], 0, s[50:51]
	v_cmp_gt_i64_e32 vcc, s[24:25], v[4:5]
	s_and_b64 s[12:13], s[6:7], vcc
	s_and_saveexec_b64 s[10:11], s[12:13]
	s_cbranch_execz .LBB82_16
; %bb.15:                               ;   in Loop: Header=BB82_5 Depth=1
	v_lshl_add_u64 v[4:5], v[106:107], 0, v[50:51]
	global_load_ushort v2, v[4:5], off
	v_lshl_add_u64 v[4:5], v[108:109], 0, v[50:51]
	global_load_ushort v4, v[4:5], off
	s_waitcnt vmcnt(1)
	v_cvt_f32_f16_e32 v36, v2
	s_waitcnt vmcnt(0)
	v_cvt_f32_f16_e32 v20, v4
.LBB82_16:                              ;   in Loop: Header=BB82_5 Depth=1
	;; [unrolled: 16-line block ×15, first 2 shown]
	s_or_b64 exec, exec, s[10:11]
	s_waitcnt vmcnt(1)
	ds_bpermute_b32 v2, v122, v124
	ds_bpermute_b32 v4, v122, v124 offset:4
	s_waitcnt vmcnt(0)
	ds_bpermute_b32 v5, v122, v123
	ds_bpermute_b32 v6, v122, v123 offset:4
	ds_bpermute_b32 v8, v122, v123 offset:12
	s_waitcnt lgkmcnt(4)
	v_sub_f32_e32 v2, v18, v2
	v_mul_f32_e32 v2, v34, v2
	s_waitcnt lgkmcnt(3)
	v_sub_f32_e32 v4, v19, v4
	s_waitcnt lgkmcnt(2)
	v_mul_f32_e32 v5, v2, v5
	ds_bpermute_b32 v2, v122, v124 offset:8
	v_mul_f32_e32 v4, v35, v4
	s_waitcnt lgkmcnt(2)
	v_mul_f32_e32 v7, v4, v6
	ds_bpermute_b32 v4, v122, v123 offset:8
	ds_bpermute_b32 v6, v122, v124 offset:12
	s_waitcnt lgkmcnt(2)
	v_sub_f32_e32 v2, v20, v2
	v_mul_f32_e32 v2, v36, v2
	v_mov_b32_e32 v10, v37
	s_waitcnt lgkmcnt(1)
	v_mul_f32_e32 v9, v2, v4
	s_waitcnt lgkmcnt(0)
	v_sub_f32_e32 v2, v21, v6
	ds_bpermute_b32 v4, v122, v124 offset:16
	v_mul_f32_e32 v2, v37, v2
	v_mul_f32_e32 v11, v2, v8
	ds_bpermute_b32 v2, v122, v123 offset:16
	ds_bpermute_b32 v6, v122, v124 offset:20
	;; [unrolled: 1-line block ×3, first 2 shown]
	s_waitcnt lgkmcnt(3)
	v_sub_f32_e32 v4, v22, v4
	v_mul_f32_e32 v4, v38, v4
	s_waitcnt lgkmcnt(2)
	v_mul_f32_e32 v13, v4, v2
	s_waitcnt lgkmcnt(1)
	v_sub_f32_e32 v2, v23, v6
	v_mul_f32_e32 v2, v39, v2
	v_mov_b32_e32 v4, v34
	s_waitcnt lgkmcnt(0)
	v_mul_f32_e32 v15, v2, v8
	v_pk_add_f32 v[4:5], v[98:99], v[4:5]
	v_mov_b32_e32 v6, v35
	ds_bpermute_b32 v2, v122, v124 offset:24
	v_pk_add_f32 v[4:5], v[6:7], v[4:5]
	v_mov_b32_e32 v8, v36
	v_pk_add_f32 v[4:5], v[8:9], v[4:5]
	ds_bpermute_b32 v6, v122, v123 offset:24
	ds_bpermute_b32 v8, v122, v124 offset:28
	ds_bpermute_b32 v9, v122, v123 offset:28
	s_waitcnt lgkmcnt(3)
	v_sub_f32_e32 v2, v24, v2
	v_mul_f32_e32 v2, v40, v2
	s_waitcnt lgkmcnt(2)
	v_mul_f32_e32 v7, v2, v6
	s_waitcnt lgkmcnt(1)
	v_sub_f32_e32 v2, v25, v8
	ds_bpermute_b32 v6, v122, v124 offset:32
	v_mul_f32_e32 v2, v41, v2
	s_waitcnt lgkmcnt(1)
	v_mul_f32_e32 v9, v2, v9
	ds_bpermute_b32 v2, v122, v123 offset:32
	ds_bpermute_b32 v8, v122, v124 offset:36
	v_pk_add_f32 v[4:5], v[10:11], v[4:5]
	ds_bpermute_b32 v10, v122, v123 offset:36
	s_waitcnt lgkmcnt(3)
	v_sub_f32_e32 v6, v26, v6
	v_mul_f32_e32 v6, v42, v6
	s_waitcnt lgkmcnt(2)
	v_mul_f32_e32 v11, v6, v2
	s_waitcnt lgkmcnt(1)
	v_sub_f32_e32 v2, v27, v8
	ds_bpermute_b32 v6, v122, v124 offset:40
	v_mov_b32_e32 v12, v38
	v_mul_f32_e32 v2, v43, v2
	v_pk_add_f32 v[4:5], v[12:13], v[4:5]
	s_waitcnt lgkmcnt(1)
	v_mul_f32_e32 v13, v2, v10
	ds_bpermute_b32 v2, v122, v123 offset:40
	ds_bpermute_b32 v8, v122, v124 offset:44
	;; [unrolled: 1-line block ×3, first 2 shown]
	s_waitcnt lgkmcnt(3)
	v_sub_f32_e32 v6, v28, v6
	v_mov_b32_e32 v14, v39
	v_mul_f32_e32 v6, v44, v6
	v_pk_add_f32 v[4:5], v[14:15], v[4:5]
	s_waitcnt lgkmcnt(2)
	v_mul_f32_e32 v15, v6, v2
	s_waitcnt lgkmcnt(1)
	v_sub_f32_e32 v2, v29, v8
	ds_bpermute_b32 v6, v122, v124 offset:48
	v_mul_f32_e32 v2, v45, v2
	s_waitcnt lgkmcnt(1)
	v_mul_f32_e32 v17, v2, v10
	ds_bpermute_b32 v2, v122, v123 offset:48
	ds_bpermute_b32 v8, v122, v124 offset:52
	;; [unrolled: 1-line block ×3, first 2 shown]
	s_waitcnt lgkmcnt(3)
	v_sub_f32_e32 v6, v30, v6
	v_mul_f32_e32 v6, v46, v6
	s_waitcnt lgkmcnt(2)
	v_mul_f32_e32 v19, v6, v2
	s_waitcnt lgkmcnt(1)
	v_sub_f32_e32 v2, v31, v8
	v_mul_f32_e32 v2, v47, v2
	s_waitcnt lgkmcnt(0)
	v_mul_f32_e32 v21, v2, v10
	ds_bpermute_b32 v2, v122, v124 offset:56
	v_mov_b32_e32 v6, v40
	v_pk_add_f32 v[4:5], v[6:7], v[4:5]
	v_mov_b32_e32 v8, v41
	v_pk_add_f32 v[4:5], v[8:9], v[4:5]
	;; [unrolled: 2-line block ×3, first 2 shown]
	v_mov_b32_e32 v12, v43
	ds_bpermute_b32 v7, v122, v123 offset:56
	v_pk_add_f32 v[4:5], v[12:13], v[4:5]
	v_mov_b32_e32 v14, v44
	s_waitcnt lgkmcnt(1)
	v_sub_f32_e32 v2, v32, v2
	v_pk_add_f32 v[4:5], v[14:15], v[4:5]
	v_mov_b32_e32 v16, v45
	v_mul_f32_e32 v8, v48, v2
	ds_bpermute_b32 v2, v122, v123 offset:60
	ds_bpermute_b32 v6, v122, v124 offset:60
	v_pk_add_f32 v[4:5], v[16:17], v[4:5]
	v_mov_b32_e32 v18, v46
	v_pk_add_f32 v[4:5], v[18:19], v[4:5]
	v_mov_b32_e32 v20, v47
	v_pk_add_f32 v[4:5], v[20:21], v[4:5]
	s_waitcnt lgkmcnt(2)
	v_mul_f32_e32 v9, v8, v7
	v_mov_b32_e32 v8, v48
	v_pk_add_f32 v[4:5], v[8:9], v[4:5]
	s_branch .LBB82_4
.LBB82_43:                              ;   in Loop: Header=BB82_5 Depth=1
                                        ; implicit-def: $vgpr4_vgpr5
                                        ; implicit-def: $vgpr2
                                        ; implicit-def: $vgpr18_vgpr19_vgpr20_vgpr21_vgpr22_vgpr23_vgpr24_vgpr25_vgpr26_vgpr27_vgpr28_vgpr29_vgpr30_vgpr31_vgpr32_vgpr33
                                        ; implicit-def: $vgpr34_vgpr35_vgpr36_vgpr37_vgpr38_vgpr39_vgpr40_vgpr41_vgpr42_vgpr43_vgpr44_vgpr45_vgpr46_vgpr47_vgpr48_vgpr49
                                        ; implicit-def: $vgpr6
	s_cbranch_execz .LBB82_4
; %bb.44:                               ;   in Loop: Header=BB82_5 Depth=1
	s_load_dword s9, s[40:41], 0x0
	v_mov_b32_e32 v123, 0
	v_mov_b32_e32 v124, 0
	s_waitcnt lgkmcnt(0)
	s_cmp_lt_u32 s2, s9
	s_cselect_b32 s9, 12, 18
	s_add_u32 s10, s40, s9
	s_addc_u32 s11, s41, 0
	global_load_ushort v2, v3, s[10:11]
	s_waitcnt vmcnt(0)
	v_mad_u32_u24 v2, v121, v2, v120
	v_and_b32_e32 v2, 63, v2
	v_cmp_gt_u32_e32 vcc, 16, v2
	s_and_saveexec_b64 s[10:11], vcc
	s_cbranch_execz .LBB82_48
; %bb.45:                               ;   in Loop: Header=BB82_5 Depth=1
	v_lshl_add_u64 v[4:5], v[118:119], 0, v[2:3]
	v_lshl_add_u64 v[4:5], v[4:5], 0, s[46:47]
	v_cmp_gt_i64_e32 vcc, s[24:25], v[4:5]
	v_mov_b32_e32 v124, 0
	v_mov_b32_e32 v123, 0
	s_and_saveexec_b64 s[12:13], vcc
	s_cbranch_execz .LBB82_47
; %bb.46:                               ;   in Loop: Header=BB82_5 Depth=1
	v_lshlrev_b64 v[4:5], 2, v[4:5]
	v_lshl_add_u64 v[6:7], s[38:39], 0, v[4:5]
	v_lshl_add_u64 v[4:5], s[36:37], 0, v[4:5]
	global_load_dword v124, v[4:5], off
	global_load_dword v123, v[6:7], off
.LBB82_47:                              ;   in Loop: Header=BB82_5 Depth=1
	s_or_b64 exec, exec, s[12:13]
.LBB82_48:                              ;   in Loop: Header=BB82_5 Depth=1
	s_or_b64 exec, exec, s[10:11]
	s_mov_b32 s22, s8
	s_mov_b32 s23, s8
	;; [unrolled: 1-line block ×15, first 2 shown]
	v_mov_b64_e32 v[32:33], s[22:23]
	v_mov_b64_e32 v[30:31], s[20:21]
	;; [unrolled: 1-line block ×16, first 2 shown]
	s_and_saveexec_b64 s[10:11], s[6:7]
	s_cbranch_execnz .LBB82_64
; %bb.49:                               ;   in Loop: Header=BB82_5 Depth=1
	s_or_b64 exec, exec, s[10:11]
	s_and_saveexec_b64 s[10:11], s[6:7]
	s_cbranch_execnz .LBB82_65
.LBB82_50:                              ;   in Loop: Header=BB82_5 Depth=1
	s_or_b64 exec, exec, s[10:11]
	s_and_saveexec_b64 s[10:11], s[6:7]
	s_cbranch_execnz .LBB82_66
.LBB82_51:                              ;   in Loop: Header=BB82_5 Depth=1
	s_or_b64 exec, exec, s[10:11]
	s_and_saveexec_b64 s[10:11], s[6:7]
	s_cbranch_execnz .LBB82_67
.LBB82_52:                              ;   in Loop: Header=BB82_5 Depth=1
	s_or_b64 exec, exec, s[10:11]
	s_and_saveexec_b64 s[10:11], s[6:7]
	s_cbranch_execnz .LBB82_68
.LBB82_53:                              ;   in Loop: Header=BB82_5 Depth=1
	s_or_b64 exec, exec, s[10:11]
	s_and_saveexec_b64 s[10:11], s[6:7]
	s_cbranch_execnz .LBB82_69
.LBB82_54:                              ;   in Loop: Header=BB82_5 Depth=1
	s_or_b64 exec, exec, s[10:11]
	s_and_saveexec_b64 s[10:11], s[6:7]
	s_cbranch_execnz .LBB82_70
.LBB82_55:                              ;   in Loop: Header=BB82_5 Depth=1
	s_or_b64 exec, exec, s[10:11]
	s_and_saveexec_b64 s[10:11], s[6:7]
	s_cbranch_execnz .LBB82_71
.LBB82_56:                              ;   in Loop: Header=BB82_5 Depth=1
	s_or_b64 exec, exec, s[10:11]
	s_and_saveexec_b64 s[10:11], s[6:7]
	s_cbranch_execnz .LBB82_72
.LBB82_57:                              ;   in Loop: Header=BB82_5 Depth=1
	s_or_b64 exec, exec, s[10:11]
	s_and_saveexec_b64 s[10:11], s[6:7]
	s_cbranch_execnz .LBB82_73
.LBB82_58:                              ;   in Loop: Header=BB82_5 Depth=1
	s_or_b64 exec, exec, s[10:11]
	s_and_saveexec_b64 s[10:11], s[6:7]
	s_cbranch_execnz .LBB82_74
.LBB82_59:                              ;   in Loop: Header=BB82_5 Depth=1
	s_or_b64 exec, exec, s[10:11]
	s_and_saveexec_b64 s[10:11], s[6:7]
	s_cbranch_execnz .LBB82_75
.LBB82_60:                              ;   in Loop: Header=BB82_5 Depth=1
	s_or_b64 exec, exec, s[10:11]
	s_and_saveexec_b64 s[10:11], s[6:7]
	s_cbranch_execnz .LBB82_76
.LBB82_61:                              ;   in Loop: Header=BB82_5 Depth=1
	s_or_b64 exec, exec, s[10:11]
	s_and_saveexec_b64 s[10:11], s[6:7]
	s_cbranch_execnz .LBB82_77
.LBB82_62:                              ;   in Loop: Header=BB82_5 Depth=1
	s_or_b64 exec, exec, s[10:11]
	s_and_saveexec_b64 s[10:11], s[6:7]
	s_cbranch_execnz .LBB82_78
.LBB82_63:                              ;   in Loop: Header=BB82_5 Depth=1
	s_or_b64 exec, exec, s[10:11]
	s_and_saveexec_b64 s[10:11], s[6:7]
	s_cbranch_execz .LBB82_3
	s_branch .LBB82_79
.LBB82_64:                              ;   in Loop: Header=BB82_5 Depth=1
	v_lshl_add_u64 v[4:5], v[114:115], 0, v[50:51]
	global_load_ushort v2, v[4:5], off
	v_lshl_add_u64 v[4:5], v[116:117], 0, v[50:51]
	global_load_ushort v18, v[4:5], off
	v_mov_b32_e32 v16, v3
	v_mov_b32_e32 v17, v3
	;; [unrolled: 1-line block ×29, first 2 shown]
	s_waitcnt vmcnt(1)
	v_cvt_f32_f16_e32 v2, v2
	v_mov_b64_e32 v[48:49], v[16:17]
	s_waitcnt vmcnt(0)
	v_cvt_f32_f16_e32 v18, v18
	v_mov_b64_e32 v[46:47], v[14:15]
	v_mov_b64_e32 v[44:45], v[12:13]
	;; [unrolled: 1-line block ×7, first 2 shown]
	s_or_b64 exec, exec, s[10:11]
	s_and_saveexec_b64 s[10:11], s[6:7]
	s_cbranch_execz .LBB82_50
.LBB82_65:                              ;   in Loop: Header=BB82_5 Depth=1
	v_lshl_add_u64 v[4:5], v[110:111], 0, v[50:51]
	global_load_ushort v2, v[4:5], off
	v_lshl_add_u64 v[4:5], v[112:113], 0, v[50:51]
	global_load_ushort v4, v[4:5], off
	s_waitcnt vmcnt(1)
	v_cvt_f32_f16_e32 v35, v2
	s_waitcnt vmcnt(0)
	v_cvt_f32_f16_e32 v19, v4
	s_or_b64 exec, exec, s[10:11]
	s_and_saveexec_b64 s[10:11], s[6:7]
	s_cbranch_execz .LBB82_51
.LBB82_66:                              ;   in Loop: Header=BB82_5 Depth=1
	v_lshl_add_u64 v[4:5], v[106:107], 0, v[50:51]
	global_load_ushort v2, v[4:5], off
	v_lshl_add_u64 v[4:5], v[108:109], 0, v[50:51]
	global_load_ushort v4, v[4:5], off
	s_waitcnt vmcnt(1)
	v_cvt_f32_f16_e32 v36, v2
	s_waitcnt vmcnt(0)
	v_cvt_f32_f16_e32 v20, v4
	s_or_b64 exec, exec, s[10:11]
	s_and_saveexec_b64 s[10:11], s[6:7]
	s_cbranch_execz .LBB82_52
.LBB82_67:                              ;   in Loop: Header=BB82_5 Depth=1
	v_lshl_add_u64 v[4:5], v[102:103], 0, v[50:51]
	global_load_ushort v2, v[4:5], off
	v_lshl_add_u64 v[4:5], v[104:105], 0, v[50:51]
	global_load_ushort v4, v[4:5], off
	s_waitcnt vmcnt(1)
	v_cvt_f32_f16_e32 v37, v2
	s_waitcnt vmcnt(0)
	v_cvt_f32_f16_e32 v21, v4
	s_or_b64 exec, exec, s[10:11]
	s_and_saveexec_b64 s[10:11], s[6:7]
	s_cbranch_execz .LBB82_53
.LBB82_68:                              ;   in Loop: Header=BB82_5 Depth=1
	v_lshl_add_u64 v[4:5], v[96:97], 0, v[50:51]
	global_load_ushort v2, v[4:5], off
	v_lshl_add_u64 v[4:5], v[100:101], 0, v[50:51]
	global_load_ushort v4, v[4:5], off
	s_waitcnt vmcnt(1)
	v_cvt_f32_f16_e32 v38, v2
	s_waitcnt vmcnt(0)
	v_cvt_f32_f16_e32 v22, v4
	s_or_b64 exec, exec, s[10:11]
	s_and_saveexec_b64 s[10:11], s[6:7]
	s_cbranch_execz .LBB82_54
.LBB82_69:                              ;   in Loop: Header=BB82_5 Depth=1
	v_lshl_add_u64 v[4:5], v[92:93], 0, v[50:51]
	global_load_ushort v2, v[4:5], off
	v_lshl_add_u64 v[4:5], v[94:95], 0, v[50:51]
	global_load_ushort v4, v[4:5], off
	s_waitcnt vmcnt(1)
	v_cvt_f32_f16_e32 v39, v2
	s_waitcnt vmcnt(0)
	v_cvt_f32_f16_e32 v23, v4
	s_or_b64 exec, exec, s[10:11]
	s_and_saveexec_b64 s[10:11], s[6:7]
	s_cbranch_execz .LBB82_55
.LBB82_70:                              ;   in Loop: Header=BB82_5 Depth=1
	v_lshl_add_u64 v[4:5], v[88:89], 0, v[50:51]
	global_load_ushort v2, v[4:5], off
	v_lshl_add_u64 v[4:5], v[90:91], 0, v[50:51]
	global_load_ushort v4, v[4:5], off
	s_waitcnt vmcnt(1)
	v_cvt_f32_f16_e32 v40, v2
	s_waitcnt vmcnt(0)
	v_cvt_f32_f16_e32 v24, v4
	s_or_b64 exec, exec, s[10:11]
	s_and_saveexec_b64 s[10:11], s[6:7]
	s_cbranch_execz .LBB82_56
.LBB82_71:                              ;   in Loop: Header=BB82_5 Depth=1
	v_lshl_add_u64 v[4:5], v[84:85], 0, v[50:51]
	global_load_ushort v2, v[4:5], off
	v_lshl_add_u64 v[4:5], v[86:87], 0, v[50:51]
	global_load_ushort v4, v[4:5], off
	s_waitcnt vmcnt(1)
	v_cvt_f32_f16_e32 v41, v2
	s_waitcnt vmcnt(0)
	v_cvt_f32_f16_e32 v25, v4
	s_or_b64 exec, exec, s[10:11]
	s_and_saveexec_b64 s[10:11], s[6:7]
	s_cbranch_execz .LBB82_57
.LBB82_72:                              ;   in Loop: Header=BB82_5 Depth=1
	v_lshl_add_u64 v[4:5], v[80:81], 0, v[50:51]
	global_load_ushort v2, v[4:5], off
	v_lshl_add_u64 v[4:5], v[82:83], 0, v[50:51]
	global_load_ushort v4, v[4:5], off
	s_waitcnt vmcnt(1)
	v_cvt_f32_f16_e32 v42, v2
	s_waitcnt vmcnt(0)
	v_cvt_f32_f16_e32 v26, v4
	s_or_b64 exec, exec, s[10:11]
	s_and_saveexec_b64 s[10:11], s[6:7]
	s_cbranch_execz .LBB82_58
.LBB82_73:                              ;   in Loop: Header=BB82_5 Depth=1
	v_lshl_add_u64 v[4:5], v[76:77], 0, v[50:51]
	global_load_ushort v2, v[4:5], off
	v_lshl_add_u64 v[4:5], v[78:79], 0, v[50:51]
	global_load_ushort v4, v[4:5], off
	s_waitcnt vmcnt(1)
	v_cvt_f32_f16_e32 v43, v2
	s_waitcnt vmcnt(0)
	v_cvt_f32_f16_e32 v27, v4
	s_or_b64 exec, exec, s[10:11]
	s_and_saveexec_b64 s[10:11], s[6:7]
	s_cbranch_execz .LBB82_59
.LBB82_74:                              ;   in Loop: Header=BB82_5 Depth=1
	v_lshl_add_u64 v[4:5], v[72:73], 0, v[50:51]
	global_load_ushort v2, v[4:5], off
	v_lshl_add_u64 v[4:5], v[74:75], 0, v[50:51]
	global_load_ushort v4, v[4:5], off
	s_waitcnt vmcnt(1)
	v_cvt_f32_f16_e32 v44, v2
	s_waitcnt vmcnt(0)
	v_cvt_f32_f16_e32 v28, v4
	s_or_b64 exec, exec, s[10:11]
	s_and_saveexec_b64 s[10:11], s[6:7]
	s_cbranch_execz .LBB82_60
.LBB82_75:                              ;   in Loop: Header=BB82_5 Depth=1
	v_lshl_add_u64 v[4:5], v[68:69], 0, v[50:51]
	global_load_ushort v2, v[4:5], off
	v_lshl_add_u64 v[4:5], v[70:71], 0, v[50:51]
	global_load_ushort v4, v[4:5], off
	s_waitcnt vmcnt(1)
	v_cvt_f32_f16_e32 v45, v2
	s_waitcnt vmcnt(0)
	v_cvt_f32_f16_e32 v29, v4
	s_or_b64 exec, exec, s[10:11]
	s_and_saveexec_b64 s[10:11], s[6:7]
	s_cbranch_execz .LBB82_61
.LBB82_76:                              ;   in Loop: Header=BB82_5 Depth=1
	v_lshl_add_u64 v[4:5], v[64:65], 0, v[50:51]
	global_load_ushort v2, v[4:5], off
	v_lshl_add_u64 v[4:5], v[66:67], 0, v[50:51]
	global_load_ushort v4, v[4:5], off
	s_waitcnt vmcnt(1)
	v_cvt_f32_f16_e32 v46, v2
	s_waitcnt vmcnt(0)
	v_cvt_f32_f16_e32 v30, v4
	s_or_b64 exec, exec, s[10:11]
	s_and_saveexec_b64 s[10:11], s[6:7]
	s_cbranch_execz .LBB82_62
.LBB82_77:                              ;   in Loop: Header=BB82_5 Depth=1
	v_lshl_add_u64 v[4:5], v[60:61], 0, v[50:51]
	global_load_ushort v2, v[4:5], off
	v_lshl_add_u64 v[4:5], v[62:63], 0, v[50:51]
	global_load_ushort v4, v[4:5], off
	s_waitcnt vmcnt(1)
	v_cvt_f32_f16_e32 v47, v2
	s_waitcnt vmcnt(0)
	v_cvt_f32_f16_e32 v31, v4
	s_or_b64 exec, exec, s[10:11]
	s_and_saveexec_b64 s[10:11], s[6:7]
	s_cbranch_execz .LBB82_63
.LBB82_78:                              ;   in Loop: Header=BB82_5 Depth=1
	v_lshl_add_u64 v[4:5], v[56:57], 0, v[50:51]
	global_load_ushort v2, v[4:5], off
	v_lshl_add_u64 v[4:5], v[58:59], 0, v[50:51]
	global_load_ushort v4, v[4:5], off
	s_waitcnt vmcnt(1)
	v_cvt_f32_f16_e32 v48, v2
	s_waitcnt vmcnt(0)
	v_cvt_f32_f16_e32 v32, v4
	s_or_b64 exec, exec, s[10:11]
	s_and_saveexec_b64 s[10:11], s[6:7]
	s_cbranch_execz .LBB82_3
.LBB82_79:                              ;   in Loop: Header=BB82_5 Depth=1
	v_lshl_add_u64 v[4:5], v[52:53], 0, v[50:51]
	global_load_ushort v2, v[4:5], off
	v_lshl_add_u64 v[4:5], v[54:55], 0, v[50:51]
	global_load_ushort v4, v[4:5], off
	s_waitcnt vmcnt(1)
	v_cvt_f32_f16_e32 v49, v2
	s_waitcnt vmcnt(0)
	v_cvt_f32_f16_e32 v33, v4
	s_branch .LBB82_3
.LBB82_80:
                                        ; implicit-def: $vgpr99
	s_branch .LBB82_83
.LBB82_81:
	v_mov_b32_e32 v103, v125
.LBB82_82:
	s_cbranch_execnz .LBB82_130
.LBB82_83:
	v_mov_b32_e32 v99, 0
	s_mov_b32 s8, 0
	s_and_b64 vcc, exec, s[4:5]
	v_mov_b32_e32 v98, v99
	s_cbranch_vccnz .LBB82_130
; %bb.84:
	v_mov_b32_e32 v1, v103
	v_and_b32_e32 v0, 0x3ff, v1
	v_add_u32_e32 v2, s33, v0
	v_mov_b32_e32 v3, 0
	v_bfe_u32 v24, v1, 10, 10
	v_lshlrev_b64 v[50:51], 1, v[2:3]
	v_lshlrev_b32_e32 v2, 5, v24
	v_lshl_add_u64 v[0:1], s[34:35], 1, v[2:3]
	v_lshl_add_u64 v[6:7], v[0:1], 0, 2
	v_mov_b64_e32 v[4:5], s[28:29]
	v_mad_u64_u32 v[8:9], s[4:5], s26, v6, v[4:5]
	v_mul_lo_u32 v2, s26, v7
	v_mul_lo_u32 v7, s27, v6
	v_add3_u32 v9, v7, v9, v2
	scratch_store_dwordx2 off, v[8:9], off  ; 8-byte Folded Spill
	v_lshl_add_u64 v[8:9], v[0:1], 0, 4
	v_mad_u64_u32 v[10:11], s[4:5], s26, v8, v[4:5]
	v_mul_lo_u32 v9, s26, v9
	v_mul_lo_u32 v20, s27, v8
	v_add3_u32 v11, v20, v11, v9
	scratch_store_dwordx2 off, v[10:11], off offset:8 ; 8-byte Folded Spill
	v_lshl_add_u64 v[10:11], v[0:1], 0, 6
	v_mad_u64_u32 v[12:13], s[4:5], s26, v10, v[4:5]
	v_mul_lo_u32 v11, s26, v11
	v_mul_lo_u32 v21, s27, v10
	v_add3_u32 v13, v21, v13, v11
	scratch_store_dwordx2 off, v[12:13], off offset:16 ; 8-byte Folded Spill
	;; [unrolled: 6-line block ×3, first 2 shown]
	v_lshl_add_u64 v[14:15], v[0:1], 0, 10
	v_mad_u64_u32 v[16:17], s[4:5], s26, v14, v[4:5]
	v_mul_lo_u32 v15, s26, v15
	v_mul_lo_u32 v23, s27, v14
	v_mov_b64_e32 v[18:19], s[30:31]
	v_add3_u32 v17, v23, v17, v15
	v_mad_u64_u32 v[26:27], s[4:5], s26, v6, v[18:19]
	scratch_store_dwordx2 off, v[16:17], off offset:32 ; 8-byte Folded Spill
	v_lshl_add_u64 v[16:17], v[0:1], 0, 12
	v_add3_u32 v27, v7, v27, v2
	scratch_store_dwordx2 off, v[26:27], off offset:40 ; 8-byte Folded Spill
	v_mad_u64_u32 v[6:7], s[4:5], s26, v16, v[4:5]
	v_mul_lo_u32 v2, s26, v17
	v_mad_u64_u32 v[26:27], s[4:5], s26, v8, v[18:19]
	v_mul_lo_u32 v8, s27, v16
	v_add3_u32 v7, v8, v7, v2
	scratch_store_dwordx2 off, v[6:7], off offset:48 ; 8-byte Folded Spill
	v_mad_u64_u32 v[6:7], s[4:5], s26, v10, v[18:19]
	v_add3_u32 v7, v21, v7, v11
	v_mad_u64_u32 v[10:11], s[4:5], s26, v12, v[18:19]
	v_add3_u32 v11, v22, v11, v13
	scratch_store_dwordx2 off, v[10:11], off offset:72 ; 8-byte Folded Spill
	v_mad_u64_u32 v[10:11], s[4:5], s26, v14, v[18:19]
	scratch_store_dwordx2 off, v[6:7], off offset:64 ; 8-byte Folded Spill
	v_lshl_add_u64 v[6:7], v[0:1], 0, 14
	v_add3_u32 v11, v23, v11, v15
	v_mad_u64_u32 v[12:13], s[4:5], s26, v6, v[4:5]
	v_mul_lo_u32 v7, s26, v7
	scratch_store_dwordx2 off, v[10:11], off offset:88 ; 8-byte Folded Spill
	v_mul_lo_u32 v10, s27, v6
	v_add3_u32 v13, v10, v13, v7
	scratch_store_dwordx2 off, v[12:13], off offset:80 ; 8-byte Folded Spill
	v_mad_u64_u32 v[12:13], s[4:5], s26, v16, v[18:19]
	v_add3_u32 v13, v8, v13, v2
	v_add3_u32 v27, v20, v27, v9
	scratch_store_dwordx2 off, v[12:13], off offset:96 ; 8-byte Folded Spill
	v_lshl_add_u64 v[8:9], v[0:1], 0, 16
	v_mad_u64_u32 v[12:13], s[4:5], s26, v6, v[18:19]
	v_add3_u32 v13, v10, v13, v7
	v_mad_u64_u32 v[10:11], s[4:5], s26, v8, v[4:5]
	v_mul_lo_u32 v2, s26, v9
	v_mul_lo_u32 v6, s27, v8
	v_mad_u64_u32 v[8:9], s[4:5], s26, v8, v[18:19]
	v_add3_u32 v11, v6, v11, v2
	v_add3_u32 v9, v6, v9, v2
	v_lshl_add_u64 v[6:7], v[0:1], 0, 18
	scratch_store_dwordx2 off, v[8:9], off offset:120 ; 8-byte Folded Spill
	v_mul_lo_u32 v2, s26, v7
	v_mul_lo_u32 v7, s27, v6
	v_mad_u64_u32 v[8:9], s[4:5], s26, v6, v[4:5]
	v_add3_u32 v9, v7, v9, v2
	scratch_store_dwordx2 off, v[8:9], off offset:128 ; 8-byte Folded Spill
	v_mad_u64_u32 v[8:9], s[4:5], s26, v6, v[18:19]
	v_add3_u32 v9, v7, v9, v2
	v_lshl_add_u64 v[6:7], v[0:1], 0, 20
	scratch_store_dwordx2 off, v[8:9], off offset:136 ; 8-byte Folded Spill
	v_mul_lo_u32 v2, s26, v7
	v_mul_lo_u32 v7, s27, v6
	v_mad_u64_u32 v[8:9], s[4:5], s26, v6, v[4:5]
	v_add3_u32 v9, v7, v9, v2
	scratch_store_dwordx2 off, v[8:9], off offset:144 ; 8-byte Folded Spill
	v_mad_u64_u32 v[8:9], s[4:5], s26, v6, v[18:19]
	;; [unrolled: 9-line block ×5, first 2 shown]
	v_add3_u32 v9, v7, v9, v2
	v_lshl_add_u64 v[6:7], v[0:1], 0, 28
	v_lshl_add_u64 v[0:1], v[0:1], 0, 30
	v_mad_u64_u32 v[108:109], s[4:5], s26, v0, v[4:5]
	v_mad_u64_u32 v[110:111], s[4:5], s26, v0, v[18:19]
	v_mul_lo_u32 v1, s26, v1
	v_mul_lo_u32 v0, s27, v0
	v_add3_u32 v109, v0, v109, v1
	v_add3_u32 v111, v0, v111, v1
	v_lshlrev_b32_e32 v0, 4, v24
	v_mov_b32_e32 v1, v3
	scratch_store_dwordx2 off, v[8:9], off offset:200 ; 8-byte Folded Spill
	v_lshl_add_u64 v[8:9], v[0:1], 0, s[34:35]
	v_mul_lo_u32 v2, s26, v7
	v_mul_lo_u32 v7, s27, v6
	v_mad_u64_u32 v[104:105], s[4:5], s26, v6, v[4:5]
	v_mad_u64_u32 v[106:107], s[4:5], s26, v6, v[18:19]
	scratch_store_dwordx2 off, v[0:1], off offset:220 ; 8-byte Folded Spill
	v_lshl_add_u64 v[0:1], v[8:9], 0, 15
	v_add3_u32 v105, v7, v105, v2
	v_add3_u32 v107, v7, v107, v2
	v_mul_lo_u32 v2, s27, v0
	v_mul_lo_u32 v4, s26, v1
	v_mad_u64_u32 v[0:1], s[4:5], s26, v0, 0
	v_add3_u32 v1, v1, v4, v2
	v_lshl_add_u64 v[4:5], v[8:9], 0, 14
	v_mul_lo_u32 v2, s27, v4
	v_mul_lo_u32 v6, s26, v5
	v_mad_u64_u32 v[4:5], s[4:5], s26, v4, 0
	v_add3_u32 v5, v5, v6, v2
	v_lshl_add_u64 v[6:7], v[8:9], 0, 13
	scratch_store_dwordx2 off, v[10:11], off offset:112 ; 8-byte Folded Spill
	v_mul_lo_u32 v2, s27, v6
	v_mul_lo_u32 v10, s26, v7
	v_mad_u64_u32 v[6:7], s[4:5], s26, v6, 0
	v_add3_u32 v7, v7, v10, v2
	v_lshl_add_u64 v[10:11], v[8:9], 0, 12
	scratch_store_dwordx2 off, v[12:13], off offset:104 ; 8-byte Folded Spill
	v_mul_lo_u32 v2, s27, v10
	v_mul_lo_u32 v12, s26, v11
	v_mad_u64_u32 v[10:11], s[4:5], s26, v10, 0
	v_add3_u32 v11, v11, v12, v2
	v_lshl_add_u64 v[12:13], v[8:9], 0, 11
	v_mul_lo_u32 v2, s27, v12
	v_mul_lo_u32 v14, s26, v13
	v_mad_u64_u32 v[12:13], s[4:5], s26, v12, 0
	v_add3_u32 v13, v13, v14, v2
	v_lshl_add_u64 v[14:15], v[8:9], 0, 10
	;; [unrolled: 5-line block ×6, first 2 shown]
	scratch_store_dword off, v24, off offset:216 ; 4-byte Folded Spill
	v_mul_lo_u32 v2, s27, v22
	v_mul_lo_u32 v24, s26, v23
	v_mad_u64_u32 v[22:23], s[4:5], s26, v22, 0
	v_lshlrev_b64 v[0:1], 1, v[0:1]
	v_add3_u32 v23, v23, v24, v2
	v_lshl_add_u64 v[24:25], v[8:9], 0, 5
	v_lshl_add_u64 v[118:119], s[28:29], 0, v[0:1]
	v_lshl_add_u64 v[120:121], s[30:31], 0, v[0:1]
	v_lshlrev_b64 v[0:1], 1, v[4:5]
	scratch_store_dwordx2 off, v[26:27], off offset:56 ; 8-byte Folded Spill
	v_mul_lo_u32 v2, s27, v24
	v_mul_lo_u32 v26, s26, v25
	v_mad_u64_u32 v[24:25], s[4:5], s26, v24, 0
	v_lshl_add_u64 v[122:123], s[28:29], 0, v[0:1]
	v_lshl_add_u64 v[124:125], s[30:31], 0, v[0:1]
	v_lshlrev_b64 v[0:1], 1, v[6:7]
	v_lshlrev_b64 v[4:5], 1, v[10:11]
	v_add3_u32 v25, v25, v26, v2
	v_lshl_add_u64 v[26:27], v[8:9], 0, 4
	v_lshl_add_u64 v[126:127], s[28:29], 0, v[0:1]
	;; [unrolled: 1-line block ×5, first 2 shown]
	v_lshlrev_b64 v[4:5], 1, v[12:13]
	v_mul_lo_u32 v2, s27, v26
	v_mul_lo_u32 v28, s26, v27
	v_mad_u64_u32 v[26:27], s[4:5], s26, v26, 0
	v_lshl_add_u64 v[54:55], s[28:29], 0, v[4:5]
	v_lshl_add_u64 v[56:57], s[30:31], 0, v[4:5]
	v_lshlrev_b64 v[4:5], 1, v[14:15]
	v_add3_u32 v27, v27, v28, v2
	v_lshl_add_u64 v[28:29], v[8:9], 0, 3
	v_lshl_add_u64 v[58:59], s[28:29], 0, v[4:5]
	;; [unrolled: 1-line block ×3, first 2 shown]
	v_lshlrev_b64 v[4:5], 1, v[16:17]
	v_mul_lo_u32 v2, s27, v28
	v_mul_lo_u32 v30, s26, v29
	v_mad_u64_u32 v[28:29], s[4:5], s26, v28, 0
	v_lshl_add_u64 v[62:63], s[28:29], 0, v[4:5]
	v_lshl_add_u64 v[64:65], s[30:31], 0, v[4:5]
	v_lshlrev_b64 v[4:5], 1, v[18:19]
	v_add3_u32 v29, v29, v30, v2
	v_lshl_add_u64 v[30:31], v[8:9], 0, 2
	s_load_dword s3, s[0:1], 0x44
	v_lshl_add_u64 v[66:67], s[28:29], 0, v[4:5]
	v_lshl_add_u64 v[68:69], s[30:31], 0, v[4:5]
	v_lshlrev_b64 v[4:5], 1, v[20:21]
	v_mul_lo_u32 v2, s27, v30
	v_mul_lo_u32 v32, s26, v31
	v_mad_u64_u32 v[30:31], s[4:5], s26, v30, 0
	v_lshl_add_u64 v[70:71], s[28:29], 0, v[4:5]
	v_lshl_add_u64 v[72:73], s[30:31], 0, v[4:5]
	v_lshlrev_b64 v[4:5], 1, v[22:23]
	v_add3_u32 v31, v31, v32, v2
	v_mov_b64_e32 v[32:33], s[26:27]
	v_lshl_add_u64 v[74:75], s[28:29], 0, v[4:5]
	v_lshl_add_u64 v[76:77], s[30:31], 0, v[4:5]
	v_lshlrev_b64 v[4:5], 1, v[24:25]
	v_mad_u64_u32 v[32:33], s[4:5], s26, v8, v[32:33]
	v_mul_lo_u32 v2, s27, v8
	v_mul_lo_u32 v34, s26, v9
	v_mad_u64_u32 v[8:9], s[4:5], s26, v8, 0
	v_lshl_add_u64 v[78:79], s[28:29], 0, v[4:5]
	v_lshl_add_u64 v[80:81], s[30:31], 0, v[4:5]
	v_lshlrev_b64 v[4:5], 1, v[26:27]
	s_add_u32 s4, s0, 64
	v_lshl_add_u64 v[82:83], s[28:29], 0, v[4:5]
	v_lshl_add_u64 v[84:85], s[30:31], 0, v[4:5]
	v_lshlrev_b64 v[4:5], 1, v[28:29]
	v_add3_u32 v9, v9, v34, v2
	v_add3_u32 v33, v2, v33, v34
	s_addc_u32 s5, s1, 0
	s_waitcnt lgkmcnt(0)
	s_lshl_b32 s3, s3, 8
	v_lshl_add_u64 v[86:87], s[28:29], 0, v[4:5]
	v_lshl_add_u64 v[88:89], s[30:31], 0, v[4:5]
	v_lshlrev_b64 v[4:5], 1, v[30:31]
	v_mbcnt_lo_u32_b32 v2, -1, 0
	s_add_u32 s6, s34, 0xff
	s_mul_i32 s9, s27, s3
	s_mul_hi_u32 s10, s26, s3
	v_lshlrev_b64 v[8:9], 1, v[8:9]
	v_lshl_add_u64 v[90:91], s[28:29], 0, v[4:5]
	v_lshl_add_u64 v[92:93], s[30:31], 0, v[4:5]
	v_lshlrev_b64 v[4:5], 1, v[32:33]
	v_mbcnt_hi_u32_b32 v2, -1, v2
	s_addc_u32 s7, 0, 0
	s_add_i32 s11, s10, s9
	s_mul_i32 s10, s26, s3
	v_lshl_add_u64 v[114:115], s[28:29], 0, v[8:9]
	v_lshl_add_u64 v[116:117], s[30:31], 0, v[8:9]
	;; [unrolled: 1-line block ×4, first 2 shown]
	s_movk_i32 s28, 0xff01
	s_movk_i32 s30, 0xff02
	;; [unrolled: 1-line block ×16, first 2 shown]
	v_lshlrev_b32_e32 v2, 2, v2
	s_lshl_b64 s[40:41], s[10:11], 1
	s_mov_b32 s29, -1
	s_mov_b32 s31, -1
	;; [unrolled: 1-line block ×16, first 2 shown]
	v_and_b32_e32 v102, 0x100, v2
	v_mov_b32_e32 v98, v3
	v_mov_b32_e32 v99, v3
	s_branch .LBB82_88
.LBB82_85:                              ;   in Loop: Header=BB82_88 Depth=1
	s_or_b64 exec, exec, s[12:13]
.LBB82_86:                              ;   in Loop: Header=BB82_88 Depth=1
	s_or_b64 exec, exec, s[10:11]
	v_lshl_add_u64 v[4:5], v[114:115], 0, v[50:51]
	global_load_ushort v2, v[4:5], off
	v_lshl_add_u64 v[4:5], v[116:117], 0, v[50:51]
	v_lshl_add_u64 v[38:39], v[106:107], 0, v[50:51]
	s_waitcnt vmcnt(1)
	ds_bpermute_b32 v37, v102, v36
	scratch_load_dwordx2 v[6:7], off, off offset:96 ; 8-byte Folded Reload
	scratch_load_dwordx2 v[18:19], off, off offset:168 ; 8-byte Folded Reload
	scratch_load_dwordx2 v[8:9], off, off offset:104 ; 8-byte Folded Reload
	scratch_load_dwordx2 v[22:23], off, off offset:200 ; 8-byte Folded Reload
	scratch_load_dwordx2 v[10:11], off, off offset:120 ; 8-byte Folded Reload
	scratch_load_dwordx2 v[12:13], off, off offset:136 ; 8-byte Folded Reload
	scratch_load_dwordx2 v[14:15], off, off offset:152 ; 8-byte Folded Reload
	scratch_load_dwordx2 v[20:21], off, off offset:184 ; 8-byte Folded Reload
	s_waitcnt vmcnt(8)
	v_cvt_f32_f16_e32 v24, v2
	global_load_ushort v2, v[4:5], off
	s_waitcnt vmcnt(8)
	v_lshl_add_u64 v[6:7], v[6:7], 0, v[50:51]
	scratch_load_dwordx2 v[4:5], off, off   ; 8-byte Folded Reload
	s_waitcnt vmcnt(7)
	v_lshl_add_u64 v[8:9], v[8:9], 0, v[50:51]
	v_lshl_add_u64 v[18:19], v[18:19], 0, v[50:51]
	s_waitcnt vmcnt(5)
	v_lshl_add_u64 v[10:11], v[10:11], 0, v[50:51]
	s_waitcnt vmcnt(4)
	;; [unrolled: 2-line block ×3, first 2 shown]
	v_lshl_add_u64 v[14:15], v[14:15], 0, v[50:51]
	v_lshl_add_u64 v[22:23], v[22:23], 0, v[50:51]
	s_waitcnt vmcnt(2)
	v_lshl_add_u64 v[20:21], v[20:21], 0, v[50:51]
	s_waitcnt vmcnt(1)
	v_cvt_f32_f16_e32 v25, v2
	s_waitcnt vmcnt(0)
	v_lshl_add_u64 v[4:5], v[4:5], 0, v[50:51]
	global_load_ushort v2, v[4:5], off
	s_waitcnt vmcnt(0)
	v_cvt_f32_f16_e32 v26, v2
	scratch_load_dwordx2 v[4:5], off, off offset:40 ; 8-byte Folded Reload
	s_waitcnt vmcnt(0)
	v_lshl_add_u64 v[4:5], v[4:5], 0, v[50:51]
	global_load_ushort v2, v[4:5], off
	s_waitcnt vmcnt(0)
	v_cvt_f32_f16_e32 v27, v2
	scratch_load_dwordx2 v[4:5], off, off offset:8 ; 8-byte Folded Reload
	;; [unrolled: 6-line block ×10, first 2 shown]
	s_waitcnt vmcnt(0)
	v_lshl_add_u64 v[4:5], v[4:5], 0, v[50:51]
	global_load_ushort v2, v[4:5], off
	s_waitcnt vmcnt(0)
	v_cvt_f32_f16_e32 v4, v2
	global_load_ushort v2, v[6:7], off
	s_waitcnt vmcnt(0)
	v_cvt_f32_f16_e32 v5, v2
	scratch_load_dwordx2 v[6:7], off, off offset:80 ; 8-byte Folded Reload
	s_waitcnt vmcnt(0)
	v_lshl_add_u64 v[6:7], v[6:7], 0, v[50:51]
	global_load_ushort v2, v[6:7], off
	s_waitcnt vmcnt(0)
	v_cvt_f32_f16_e32 v6, v2
	global_load_ushort v2, v[8:9], off
	s_waitcnt vmcnt(0)
	v_cvt_f32_f16_e32 v7, v2
	scratch_load_dwordx2 v[8:9], off, off offset:112 ; 8-byte Folded Reload
	;; [unrolled: 9-line block ×7, first 2 shown]
	s_waitcnt vmcnt(0)
	v_lshl_add_u64 v[20:21], v[20:21], 0, v[50:51]
	global_load_ushort v2, v[20:21], off
	s_waitcnt vmcnt(0)
	v_cvt_f32_f16_e32 v20, v2
	global_load_ushort v2, v[22:23], off
	v_lshl_add_u64 v[22:23], v[104:105], 0, v[50:51]
	s_waitcnt vmcnt(0)
	v_cvt_f32_f16_e32 v21, v2
	global_load_ushort v2, v[22:23], off
	s_waitcnt vmcnt(0)
	v_cvt_f32_f16_e32 v22, v2
	global_load_ushort v2, v[38:39], off
	v_lshl_add_u64 v[38:39], v[108:109], 0, v[50:51]
	s_waitcnt vmcnt(0)
	v_cvt_f32_f16_e32 v23, v2
	global_load_ushort v2, v[38:39], off
	v_lshl_add_u64 v[38:39], v[110:111], 0, v[50:51]
	s_waitcnt vmcnt(0)
	v_cvt_f32_f16_e32 v16, v2
	global_load_ushort v2, v[38:39], off
	ds_bpermute_b32 v38, v102, v17
	s_waitcnt lgkmcnt(0)
	v_sub_f32_e32 v25, v25, v38
	ds_bpermute_b32 v38, v102, v17 offset:4
	v_mul_f32_e32 v25, v25, v24
	v_mul_f32_e32 v25, v25, v37
	ds_bpermute_b32 v37, v102, v36 offset:4
	s_waitcnt lgkmcnt(1)
	v_sub_f32_e32 v27, v27, v38
	ds_bpermute_b32 v38, v102, v17 offset:8
	v_mul_f32_e32 v27, v27, v26
	s_waitcnt lgkmcnt(1)
	v_mul_f32_e32 v27, v27, v37
	ds_bpermute_b32 v37, v102, v36 offset:8
	s_waitcnt lgkmcnt(1)
	v_sub_f32_e32 v29, v29, v38
	ds_bpermute_b32 v38, v102, v17 offset:12
	v_mul_f32_e32 v29, v29, v28
	s_waitcnt lgkmcnt(1)
	;; [unrolled: 7-line block ×4, first 2 shown]
	v_mul_f32_e32 v33, v33, v37
	ds_bpermute_b32 v37, v102, v36 offset:20
	s_waitcnt lgkmcnt(1)
	v_sub_f32_e32 v35, v35, v38
	scratch_load_dwordx2 v[38:39], off, off offset:208 ; 8-byte Folded Reload
	v_mul_f32_e32 v35, v35, v34
	s_waitcnt lgkmcnt(0)
	v_mul_f32_e32 v35, v35, v37
	s_waitcnt vmcnt(1)
	v_cvt_f32_f16_e32 v2, v2
	s_waitcnt vmcnt(0)
	v_pk_add_f32 v[24:25], v[38:39], v[24:25]
	s_nop 0
	v_pk_add_f32 v[24:25], v[24:25], v[26:27]
	ds_bpermute_b32 v27, v102, v17 offset:24
	ds_bpermute_b32 v26, v102, v36 offset:24
	v_pk_add_f32 v[24:25], v[24:25], v[28:29]
	s_waitcnt lgkmcnt(1)
	v_sub_f32_e32 v5, v5, v27
	ds_bpermute_b32 v27, v102, v17 offset:28
	v_mul_f32_e32 v5, v5, v4
	s_waitcnt lgkmcnt(1)
	v_mul_f32_e32 v5, v5, v26
	ds_bpermute_b32 v26, v102, v36 offset:28
	v_pk_add_f32 v[24:25], v[24:25], v[30:31]
	s_waitcnt lgkmcnt(1)
	v_sub_f32_e32 v7, v7, v27
	ds_bpermute_b32 v27, v102, v17 offset:32
	v_mul_f32_e32 v7, v7, v6
	s_waitcnt lgkmcnt(1)
	v_mul_f32_e32 v7, v7, v26
	;; [unrolled: 8-line block ×6, first 2 shown]
	ds_bpermute_b32 v26, v102, v36 offset:48
	ds_bpermute_b32 v7, v102, v17 offset:60
	s_waitcnt lgkmcnt(2)
	v_sub_f32_e32 v19, v19, v27
	ds_bpermute_b32 v27, v102, v17 offset:52
	v_mul_f32_e32 v19, v19, v18
	s_waitcnt lgkmcnt(2)
	v_mul_f32_e32 v19, v19, v26
	ds_bpermute_b32 v26, v102, v36 offset:52
	v_pk_add_f32 v[4:5], v[4:5], v[8:9]
	s_waitcnt lgkmcnt(1)
	v_sub_f32_e32 v21, v21, v27
	ds_bpermute_b32 v27, v102, v17 offset:56
	v_mul_f32_e32 v21, v21, v20
	s_waitcnt lgkmcnt(1)
	v_mul_f32_e32 v21, v21, v26
	ds_bpermute_b32 v26, v102, v36 offset:56
	v_pk_add_f32 v[4:5], v[4:5], v[10:11]
	ds_bpermute_b32 v6, v102, v36 offset:60
	v_pk_add_f32 v[4:5], v[4:5], v[12:13]
	s_waitcnt lgkmcnt(2)
	v_sub_f32_e32 v23, v23, v27
	v_pk_add_f32 v[4:5], v[4:5], v[14:15]
	v_mul_f32_e32 v23, v23, v22
	v_pk_add_f32 v[4:5], v[4:5], v[18:19]
	v_sub_f32_e32 v2, v2, v7
	s_waitcnt lgkmcnt(1)
	v_mul_f32_e32 v23, v23, v26
	v_pk_add_f32 v[4:5], v[4:5], v[20:21]
	v_mul_f32_e32 v2, v2, v16
	v_pk_add_f32 v[4:5], v[4:5], v[22:23]
	s_waitcnt lgkmcnt(0)
	v_mul_f32_e32 v17, v2, v6
	v_pk_add_f32 v[98:99], v[4:5], v[16:17]
.LBB82_87:                              ;   in Loop: Header=BB82_88 Depth=1
	s_add_u32 s34, s34, s3
	s_addc_u32 s35, s35, 0
	v_mov_b64_e32 v[4:5], s[24:25]
	v_cmp_ge_i64_e32 vcc, s[34:35], v[4:5]
	scratch_load_dwordx2 v[4:5], off, off   ; 8-byte Folded Reload
	s_add_u32 s6, s6, s3
	s_addc_u32 s7, s7, 0
	v_lshl_add_u64 v[104:105], v[104:105], 0, s[40:41]
	v_lshl_add_u64 v[108:109], v[108:109], 0, s[40:41]
	;; [unrolled: 1-line block ×36, first 2 shown]
	s_and_b64 vcc, exec, vcc
	s_waitcnt vmcnt(0)
	v_lshl_add_u64 v[4:5], v[4:5], 0, s[40:41]
	scratch_store_dwordx2 off, v[4:5], off  ; 8-byte Folded Spill
	scratch_load_dwordx2 v[4:5], off, off offset:8 ; 8-byte Folded Reload
	s_waitcnt vmcnt(0)
	v_lshl_add_u64 v[4:5], v[4:5], 0, s[40:41]
	scratch_store_dwordx2 off, v[4:5], off offset:8 ; 8-byte Folded Spill
	scratch_load_dwordx2 v[4:5], off, off offset:16 ; 8-byte Folded Reload
	s_waitcnt vmcnt(0)
	v_lshl_add_u64 v[4:5], v[4:5], 0, s[40:41]
	scratch_store_dwordx2 off, v[4:5], off offset:16 ; 8-byte Folded Spill
	;; [unrolled: 4-line block ×25, first 2 shown]
	s_cbranch_vccnz .LBB82_130
.LBB82_88:                              ; =>This Inner Loop Header: Depth=1
	v_mov_b64_e32 v[4:5], s[24:25]
	v_cmp_ge_i64_e32 vcc, s[6:7], v[4:5]
	scratch_load_dwordx2 v[4:5], off, off offset:220 ; 8-byte Folded Reload
	s_nop 0
	scratch_store_dwordx2 off, v[98:99], off offset:208 ; 8-byte Folded Spill
	s_waitcnt vmcnt(1)
	v_lshl_add_u64 v[100:101], v[4:5], 0, s[6:7]
	s_cbranch_vccz .LBB82_126
; %bb.89:                               ;   in Loop: Header=BB82_88 Depth=1
	scratch_load_dword v4, off, off offset:216 ; 4-byte Folded Reload
	s_load_dword s9, s[4:5], 0xc
	v_mov_b32_e32 v2, v103
	v_and_b32_e32 v2, 0x3ff, v2
	v_mov_b32_e32 v99, 0
	v_mov_b32_e32 v98, 0
	s_waitcnt lgkmcnt(0)
	s_and_b32 s9, s9, 0xffff
	s_waitcnt vmcnt(0)
	v_mad_u32_u24 v2, v4, s9, v2
	v_and_b32_e32 v2, 63, v2
	v_cmp_gt_u32_e32 vcc, 16, v2
	s_and_saveexec_b64 s[10:11], vcc
	s_cbranch_execz .LBB82_93
; %bb.90:                               ;   in Loop: Header=BB82_88 Depth=1
	v_lshl_add_u64 v[4:5], v[100:101], 0, v[2:3]
	v_lshl_add_u64 v[4:5], v[4:5], 0, s[28:29]
	v_cmp_gt_i64_e32 vcc, s[24:25], v[4:5]
	v_mov_b32_e32 v98, 0
	v_mov_b32_e32 v99, 0
	s_and_saveexec_b64 s[12:13], vcc
	s_cbranch_execz .LBB82_92
; %bb.91:                               ;   in Loop: Header=BB82_88 Depth=1
	v_lshlrev_b64 v[4:5], 2, v[4:5]
	v_lshl_add_u64 v[6:7], s[38:39], 0, v[4:5]
	v_lshl_add_u64 v[4:5], s[36:37], 0, v[4:5]
	global_load_dword v98, v[4:5], off
	global_load_dword v99, v[6:7], off
.LBB82_92:                              ;   in Loop: Header=BB82_88 Depth=1
	s_or_b64 exec, exec, s[12:13]
.LBB82_93:                              ;   in Loop: Header=BB82_88 Depth=1
	s_or_b64 exec, exec, s[10:11]
	s_mov_b32 s22, s8
	s_mov_b32 s23, s8
	s_mov_b32 s9, s8
	s_mov_b32 s10, s8
	s_mov_b32 s11, s8
	s_mov_b32 s12, s8
	s_mov_b32 s13, s8
	s_mov_b32 s14, s8
	s_mov_b32 s15, s8
	s_mov_b32 s16, s8
	s_mov_b32 s17, s8
	s_mov_b32 s18, s8
	s_mov_b32 s19, s8
	s_mov_b32 s20, s8
	s_mov_b32 s21, s8
	v_mov_b64_e32 v[32:33], s[22:23]
	v_lshl_add_u64 v[4:5], v[100:101], 0, s[28:29]
	v_mov_b64_e32 v[30:31], s[20:21]
	v_mov_b64_e32 v[28:29], s[18:19]
	;; [unrolled: 1-line block ×8, first 2 shown]
	v_cmp_gt_i64_e32 vcc, s[24:25], v[4:5]
	v_mov_b64_e32 v[46:47], v[30:31]
	v_mov_b64_e32 v[44:45], v[28:29]
	;; [unrolled: 1-line block ×7, first 2 shown]
	s_and_saveexec_b64 s[10:11], vcc
	s_cbranch_execz .LBB82_95
; %bb.94:                               ;   in Loop: Header=BB82_88 Depth=1
	v_lshl_add_u64 v[4:5], v[114:115], 0, v[50:51]
	global_load_ushort v2, v[4:5], off
	v_lshl_add_u64 v[4:5], v[116:117], 0, v[50:51]
	global_load_ushort v18, v[4:5], off
	v_mov_b32_e32 v16, v3
	v_mov_b32_e32 v17, v3
	;; [unrolled: 1-line block ×29, first 2 shown]
	s_waitcnt vmcnt(1)
	v_cvt_f32_f16_e32 v2, v2
	v_mov_b64_e32 v[48:49], v[16:17]
	s_waitcnt vmcnt(0)
	v_cvt_f32_f16_e32 v18, v18
	v_mov_b64_e32 v[46:47], v[14:15]
	v_mov_b64_e32 v[44:45], v[12:13]
	;; [unrolled: 1-line block ×7, first 2 shown]
.LBB82_95:                              ;   in Loop: Header=BB82_88 Depth=1
	s_or_b64 exec, exec, s[10:11]
	v_lshl_add_u64 v[4:5], v[100:101], 0, s[30:31]
	v_cmp_gt_i64_e32 vcc, s[24:25], v[4:5]
	s_and_saveexec_b64 s[10:11], vcc
	s_cbranch_execz .LBB82_97
; %bb.96:                               ;   in Loop: Header=BB82_88 Depth=1
	v_lshl_add_u64 v[4:5], v[94:95], 0, v[50:51]
	global_load_ushort v2, v[4:5], off
	v_lshl_add_u64 v[4:5], v[96:97], 0, v[50:51]
	global_load_ushort v4, v[4:5], off
	s_waitcnt vmcnt(1)
	v_cvt_f32_f16_e32 v35, v2
	s_waitcnt vmcnt(0)
	v_cvt_f32_f16_e32 v19, v4
.LBB82_97:                              ;   in Loop: Header=BB82_88 Depth=1
	s_or_b64 exec, exec, s[10:11]
	v_lshl_add_u64 v[4:5], v[100:101], 0, s[42:43]
	v_cmp_gt_i64_e32 vcc, s[24:25], v[4:5]
	s_and_saveexec_b64 s[10:11], vcc
	s_cbranch_execz .LBB82_99
; %bb.98:                               ;   in Loop: Header=BB82_88 Depth=1
	v_lshl_add_u64 v[4:5], v[90:91], 0, v[50:51]
	global_load_ushort v2, v[4:5], off
	v_lshl_add_u64 v[4:5], v[92:93], 0, v[50:51]
	global_load_ushort v4, v[4:5], off
	s_waitcnt vmcnt(1)
	v_cvt_f32_f16_e32 v36, v2
	s_waitcnt vmcnt(0)
	v_cvt_f32_f16_e32 v20, v4
.LBB82_99:                              ;   in Loop: Header=BB82_88 Depth=1
	s_or_b64 exec, exec, s[10:11]
	v_lshl_add_u64 v[4:5], v[100:101], 0, s[44:45]
	v_cmp_gt_i64_e32 vcc, s[24:25], v[4:5]
	s_and_saveexec_b64 s[10:11], vcc
	s_cbranch_execz .LBB82_101
; %bb.100:                              ;   in Loop: Header=BB82_88 Depth=1
	v_lshl_add_u64 v[4:5], v[86:87], 0, v[50:51]
	global_load_ushort v2, v[4:5], off
	v_lshl_add_u64 v[4:5], v[88:89], 0, v[50:51]
	global_load_ushort v4, v[4:5], off
	s_waitcnt vmcnt(1)
	v_cvt_f32_f16_e32 v37, v2
	s_waitcnt vmcnt(0)
	v_cvt_f32_f16_e32 v21, v4
.LBB82_101:                             ;   in Loop: Header=BB82_88 Depth=1
	s_or_b64 exec, exec, s[10:11]
	v_lshl_add_u64 v[4:5], v[100:101], 0, s[46:47]
	v_cmp_gt_i64_e32 vcc, s[24:25], v[4:5]
	s_and_saveexec_b64 s[10:11], vcc
	s_cbranch_execz .LBB82_103
; %bb.102:                              ;   in Loop: Header=BB82_88 Depth=1
	v_lshl_add_u64 v[4:5], v[82:83], 0, v[50:51]
	global_load_ushort v2, v[4:5], off
	v_lshl_add_u64 v[4:5], v[84:85], 0, v[50:51]
	global_load_ushort v4, v[4:5], off
	s_waitcnt vmcnt(1)
	v_cvt_f32_f16_e32 v38, v2
	s_waitcnt vmcnt(0)
	v_cvt_f32_f16_e32 v22, v4
.LBB82_103:                             ;   in Loop: Header=BB82_88 Depth=1
	;; [unrolled: 15-line block ×13, first 2 shown]
	s_or_b64 exec, exec, s[10:11]
	scratch_load_dwordx2 v[16:17], off, off offset:208 ; 8-byte Folded Reload
	s_waitcnt vmcnt(2)
	ds_bpermute_b32 v4, v102, v98
	s_waitcnt vmcnt(1)
	ds_bpermute_b32 v2, v102, v99
	v_mov_b32_e32 v6, v35
	v_mov_b32_e32 v8, v36
	;; [unrolled: 1-line block ×3, first 2 shown]
	s_waitcnt lgkmcnt(1)
	v_sub_f32_e32 v4, v18, v4
	v_mul_f32_e32 v4, v34, v4
	s_waitcnt lgkmcnt(0)
	v_mul_f32_e32 v5, v4, v2
	ds_bpermute_b32 v4, v102, v98 offset:4
	ds_bpermute_b32 v2, v102, v99 offset:4
	v_mov_b32_e32 v12, v38
	v_mov_b32_e32 v14, v39
	;; [unrolled: 1-line block ×3, first 2 shown]
	s_waitcnt lgkmcnt(1)
	v_sub_f32_e32 v4, v19, v4
	v_mul_f32_e32 v4, v35, v4
	s_waitcnt lgkmcnt(0)
	v_mul_f32_e32 v7, v4, v2
	ds_bpermute_b32 v4, v102, v98 offset:8
	ds_bpermute_b32 v2, v102, v99 offset:8
	s_waitcnt lgkmcnt(1)
	v_sub_f32_e32 v4, v20, v4
	v_mul_f32_e32 v4, v36, v4
	s_waitcnt lgkmcnt(0)
	v_mul_f32_e32 v9, v4, v2
	ds_bpermute_b32 v4, v102, v98 offset:12
	ds_bpermute_b32 v2, v102, v99 offset:12
	v_mov_b32_e32 v20, v47
	s_waitcnt lgkmcnt(1)
	v_sub_f32_e32 v4, v21, v4
	v_mul_f32_e32 v4, v37, v4
	s_waitcnt lgkmcnt(0)
	v_mul_f32_e32 v11, v4, v2
	ds_bpermute_b32 v4, v102, v98 offset:16
	ds_bpermute_b32 v2, v102, v99 offset:16
	s_waitcnt lgkmcnt(1)
	v_sub_f32_e32 v4, v22, v4
	v_mul_f32_e32 v4, v38, v4
	s_waitcnt lgkmcnt(0)
	v_mul_f32_e32 v13, v4, v2
	ds_bpermute_b32 v4, v102, v98 offset:20
	ds_bpermute_b32 v2, v102, v99 offset:20
	v_mov_b32_e32 v22, v48
	s_waitcnt lgkmcnt(1)
	v_sub_f32_e32 v4, v23, v4
	v_mul_f32_e32 v4, v39, v4
	s_waitcnt lgkmcnt(0)
	v_mul_f32_e32 v15, v4, v2
	v_mov_b32_e32 v4, v34
	ds_bpermute_b32 v2, v102, v99 offset:24
	s_waitcnt vmcnt(0)
	v_pk_add_f32 v[4:5], v[16:17], v[4:5]
	s_nop 0
	v_pk_add_f32 v[4:5], v[6:7], v[4:5]
	ds_bpermute_b32 v6, v102, v98 offset:24
	v_pk_add_f32 v[4:5], v[8:9], v[4:5]
	v_mov_b32_e32 v8, v41
	v_pk_add_f32 v[4:5], v[10:11], v[4:5]
	v_mov_b32_e32 v10, v42
	s_waitcnt lgkmcnt(0)
	v_sub_f32_e32 v6, v24, v6
	v_mul_f32_e32 v6, v40, v6
	v_mul_f32_e32 v7, v6, v2
	ds_bpermute_b32 v6, v102, v98 offset:28
	ds_bpermute_b32 v2, v102, v99 offset:28
	v_pk_add_f32 v[4:5], v[12:13], v[4:5]
	v_mov_b32_e32 v12, v43
	v_pk_add_f32 v[4:5], v[14:15], v[4:5]
	s_waitcnt lgkmcnt(1)
	v_sub_f32_e32 v6, v25, v6
	v_mul_f32_e32 v6, v41, v6
	s_waitcnt lgkmcnt(0)
	v_mul_f32_e32 v9, v6, v2
	ds_bpermute_b32 v6, v102, v98 offset:32
	ds_bpermute_b32 v2, v102, v99 offset:32
	v_mov_b32_e32 v14, v44
	v_mov_b32_e32 v16, v45
	s_waitcnt lgkmcnt(1)
	v_sub_f32_e32 v6, v26, v6
	v_mul_f32_e32 v6, v42, v6
	s_waitcnt lgkmcnt(0)
	v_mul_f32_e32 v11, v6, v2
	ds_bpermute_b32 v6, v102, v98 offset:36
	ds_bpermute_b32 v2, v102, v99 offset:36
	s_waitcnt lgkmcnt(1)
	v_sub_f32_e32 v6, v27, v6
	v_mul_f32_e32 v6, v43, v6
	s_waitcnt lgkmcnt(0)
	v_mul_f32_e32 v13, v6, v2
	ds_bpermute_b32 v6, v102, v98 offset:40
	ds_bpermute_b32 v2, v102, v99 offset:40
	;; [unrolled: 7-line block ×6, first 2 shown]
	s_waitcnt lgkmcnt(1)
	v_sub_f32_e32 v6, v32, v6
	v_mul_f32_e32 v6, v48, v6
	s_waitcnt lgkmcnt(0)
	v_mul_f32_e32 v23, v6, v2
	v_mov_b32_e32 v6, v40
	v_pk_add_f32 v[4:5], v[6:7], v[4:5]
	ds_bpermute_b32 v6, v102, v98 offset:60
	v_pk_add_f32 v[4:5], v[8:9], v[4:5]
	ds_bpermute_b32 v2, v102, v99 offset:60
	v_pk_add_f32 v[4:5], v[10:11], v[4:5]
	s_waitcnt lgkmcnt(1)
	v_sub_f32_e32 v6, v33, v6
	v_pk_add_f32 v[4:5], v[12:13], v[4:5]
	v_mul_f32_e32 v6, v49, v6
	v_pk_add_f32 v[4:5], v[14:15], v[4:5]
	s_waitcnt lgkmcnt(0)
	v_mul_f32_e32 v7, v6, v2
	v_pk_add_f32 v[4:5], v[16:17], v[4:5]
	v_mov_b32_e32 v6, v49
	v_pk_add_f32 v[4:5], v[18:19], v[4:5]
	s_nop 0
	v_pk_add_f32 v[4:5], v[20:21], v[4:5]
	s_nop 0
	;; [unrolled: 2-line block ×3, first 2 shown]
	v_pk_add_f32 v[98:99], v[6:7], v[4:5]
	s_branch .LBB82_87
.LBB82_126:                             ;   in Loop: Header=BB82_88 Depth=1
                                        ; implicit-def: $vgpr99
	s_cbranch_execz .LBB82_87
; %bb.127:                              ;   in Loop: Header=BB82_88 Depth=1
	s_load_dword s9, s[4:5], 0x0
	scratch_load_dword v5, off, off offset:216 ; 4-byte Folded Reload
	v_mov_b32_e32 v4, v103
	v_and_b32_e32 v4, 0x3ff, v4
	v_mov_b32_e32 v36, 0
	s_waitcnt lgkmcnt(0)
	s_cmp_lt_u32 s2, s9
	s_cselect_b32 s9, 12, 18
	s_add_u32 s10, s4, s9
	s_addc_u32 s11, s5, 0
	global_load_ushort v2, v3, s[10:11]
	v_mov_b32_e32 v17, 0
	s_waitcnt vmcnt(0)
	v_mad_u32_u24 v2, v5, v2, v4
	v_and_b32_e32 v2, 63, v2
	v_cmp_gt_u32_e32 vcc, 16, v2
	s_and_saveexec_b64 s[10:11], vcc
	s_cbranch_execz .LBB82_86
; %bb.128:                              ;   in Loop: Header=BB82_88 Depth=1
	v_lshl_add_u64 v[4:5], v[100:101], 0, v[2:3]
	v_lshl_add_u64 v[4:5], v[4:5], 0, s[28:29]
	v_cmp_gt_i64_e32 vcc, s[24:25], v[4:5]
	v_mov_b32_e32 v17, 0
	v_mov_b32_e32 v36, 0
	s_and_saveexec_b64 s[12:13], vcc
	s_cbranch_execz .LBB82_85
; %bb.129:                              ;   in Loop: Header=BB82_88 Depth=1
	v_lshlrev_b64 v[4:5], 2, v[4:5]
	v_lshl_add_u64 v[6:7], s[38:39], 0, v[4:5]
	v_lshl_add_u64 v[4:5], s[36:37], 0, v[4:5]
	global_load_dword v17, v[4:5], off
	global_load_dword v36, v[6:7], off
	s_branch .LBB82_85
.LBB82_130:
	v_bfe_u32 v6, v103, 10, 10
	v_and_b32_e32 v0, 0x3ff, v103
	s_movk_i32 s3, 0x41
	v_mad_u32_u24 v1, v6, s3, v0
	v_lshl_add_u32 v1, v1, 2, 0
	v_lshrrev_b32_e32 v8, 6, v0
	ds_write_b32 v1, v99
	ds_write_b32 v1, v98 offset:4160
	v_add_u32_e32 v1, v8, v6
	s_mov_b32 s3, 0
	v_cmp_gt_u32_e32 vcc, 64, v1
	s_waitcnt lgkmcnt(0)
	s_barrier
	s_and_saveexec_b64 s[4:5], vcc
	s_cbranch_execz .LBB82_140
; %bb.131:
	v_and_b32_e32 v1, 63, v0
	s_load_dwordx4 s[4:7], s[0:1], 0x30
	v_cmp_gt_u32_e64 s[0:1], 16, v1
	v_mul_u32_u24_e32 v14, 0x41, v1
	v_mbcnt_lo_u32_b32 v1, -1, 0
	v_mbcnt_hi_u32_b32 v1, -1, v1
	v_and_b32_e32 v2, 64, v1
	v_add_u32_e32 v2, 64, v2
	s_lshl_b64 s[8:9], s[2:3], 6
	v_cmp_eq_u32_e64 s[2:3], 0, v0
	v_xor_b32_e32 v0, 8, v1
	v_cmp_lt_i32_e32 vcc, v0, v2
	v_mov_b32_e32 v9, 0
	v_mov_b32_e32 v7, v9
	v_cndmask_b32_e32 v0, v1, v0, vcc
	v_lshlrev_b32_e32 v10, 2, v0
	v_xor_b32_e32 v0, 4, v1
	v_cmp_lt_i32_e32 vcc, v0, v2
	s_waitcnt lgkmcnt(0)
	s_cmp_lg_u64 s[4:5], 0
	s_cselect_b64 s[12:13], -1, 0
	v_cndmask_b32_e32 v0, v1, v0, vcc
	v_lshlrev_b32_e32 v11, 2, v0
	v_xor_b32_e32 v0, 2, v1
	v_cmp_lt_i32_e32 vcc, v0, v2
	s_cmp_lg_u64 s[6:7], 0
	s_mov_b64 s[10:11], 0
	v_cndmask_b32_e32 v0, v1, v0, vcc
	v_lshlrev_b32_e32 v12, 2, v0
	v_xor_b32_e32 v0, 1, v1
	v_cmp_lt_i32_e32 vcc, v0, v2
	s_nop 1
	v_cndmask_b32_e32 v0, v1, v0, vcc
	v_lshlrev_b32_e32 v13, 2, v0
	v_lshl_add_u64 v[0:1], v[8:9], 0, v[6:7]
	v_lshl_add_u64 v[2:3], v[0:1], 0, s[8:9]
	v_lshlrev_b64 v[4:5], 1, v[2:3]
	v_add3_u32 v6, v14, v6, v8
	v_lshl_add_u64 v[2:3], s[6:7], 0, v[4:5]
	v_lshl_add_u32 v8, v6, 2, 0
	v_cndmask_b32_e64 v6, 0, 1, s[12:13]
	s_cselect_b64 s[6:7], -1, 0
	v_lshl_add_u64 v[4:5], s[4:5], 0, v[4:5]
	v_cmp_ne_u32_e64 s[4:5], 1, v6
	v_cndmask_b32_e64 v6, 0, 1, s[6:7]
	v_cmp_ne_u32_e64 s[6:7], 1, v6
                                        ; implicit-def: $vgpr6
	s_branch .LBB82_133
.LBB82_132:                             ;   in Loop: Header=BB82_133 Depth=1
	s_or_b64 exec, exec, s[12:13]
	v_lshl_add_u64 v[0:1], v[0:1], 0, 16
	v_add_u32_e32 v9, -16, v0
	v_cmp_lt_u32_e32 vcc, 47, v9
	v_lshl_add_u64 v[2:3], v[2:3], 0, 32
	v_lshl_add_u64 v[4:5], v[4:5], 0, 32
	s_or_b64 s[10:11], vcc, s[10:11]
	v_add_u32_e32 v8, 64, v8
	s_andn2_b64 exec, exec, s[10:11]
	s_cbranch_execz .LBB82_140
.LBB82_133:                             ; =>This Inner Loop Header: Depth=1
	s_and_saveexec_b64 s[12:13], s[0:1]
	s_cbranch_execz .LBB82_135
; %bb.134:                              ;   in Loop: Header=BB82_133 Depth=1
	ds_read_b32 v7, v8
	ds_read_b32 v6, v8 offset:4160
.LBB82_135:                             ;   in Loop: Header=BB82_133 Depth=1
	s_or_b64 exec, exec, s[12:13]
	s_waitcnt lgkmcnt(1)
	ds_bpermute_b32 v15, v10, v7
	s_waitcnt lgkmcnt(1)
	ds_bpermute_b32 v14, v10, v6
	v_lshl_add_u64 v[16:17], s[8:9], 0, v[0:1]
	v_cmp_gt_i64_e32 vcc, s[26:27], v[16:17]
	s_and_b64 s[14:15], s[2:3], vcc
	s_waitcnt lgkmcnt(0)
	v_pk_add_f32 v[6:7], v[6:7], v[14:15]
	ds_bpermute_b32 v15, v11, v7
	ds_bpermute_b32 v14, v11, v6
	s_waitcnt lgkmcnt(0)
	v_pk_add_f32 v[6:7], v[6:7], v[14:15]
	ds_bpermute_b32 v15, v12, v7
	ds_bpermute_b32 v14, v12, v6
	;; [unrolled: 4-line block ×3, first 2 shown]
	s_waitcnt lgkmcnt(0)
	v_pk_add_f32 v[6:7], v[6:7], v[14:15]
	s_and_saveexec_b64 s[12:13], s[14:15]
	s_cbranch_execz .LBB82_132
; %bb.136:                              ;   in Loop: Header=BB82_133 Depth=1
	s_and_b64 vcc, exec, s[4:5]
	s_cbranch_vccnz .LBB82_138
; %bb.137:                              ;   in Loop: Header=BB82_133 Depth=1
	v_cvt_f16_f32_e32 v9, v7
	global_store_short v[4:5], v9, off
.LBB82_138:                             ;   in Loop: Header=BB82_133 Depth=1
	s_and_b64 vcc, exec, s[6:7]
	s_cbranch_vccnz .LBB82_132
; %bb.139:                              ;   in Loop: Header=BB82_133 Depth=1
	v_cvt_f16_f32_e32 v9, v6
	global_store_short v[2:3], v9, off
	s_branch .LBB82_132
.LBB82_140:
	s_endpgm
	.section	.rodata,"a",@progbits
	.p2align	6, 0x0
	.amdhsa_kernel _ZN2at6native12_GLOBAL__N_135GammaBetaBackwardCUDAKernelTemplateIN3c104HalfEfLj64ELj16ELj256ELb0ELb0ELb0EEEvllPKT_S7_PKT0_SA_PS5_SB_
		.amdhsa_group_segment_fixed_size 0
		.amdhsa_private_segment_fixed_size 232
		.amdhsa_kernarg_size 320
		.amdhsa_user_sgpr_count 2
		.amdhsa_user_sgpr_dispatch_ptr 0
		.amdhsa_user_sgpr_queue_ptr 0
		.amdhsa_user_sgpr_kernarg_segment_ptr 1
		.amdhsa_user_sgpr_dispatch_id 0
		.amdhsa_user_sgpr_kernarg_preload_length 0
		.amdhsa_user_sgpr_kernarg_preload_offset 0
		.amdhsa_user_sgpr_private_segment_size 0
		.amdhsa_uses_dynamic_stack 0
		.amdhsa_enable_private_segment 1
		.amdhsa_system_sgpr_workgroup_id_x 1
		.amdhsa_system_sgpr_workgroup_id_y 1
		.amdhsa_system_sgpr_workgroup_id_z 0
		.amdhsa_system_sgpr_workgroup_info 0
		.amdhsa_system_vgpr_workitem_id 1
		.amdhsa_next_free_vgpr 128
		.amdhsa_next_free_sgpr 82
		.amdhsa_accum_offset 128
		.amdhsa_reserve_vcc 1
		.amdhsa_float_round_mode_32 0
		.amdhsa_float_round_mode_16_64 0
		.amdhsa_float_denorm_mode_32 3
		.amdhsa_float_denorm_mode_16_64 3
		.amdhsa_dx10_clamp 1
		.amdhsa_ieee_mode 1
		.amdhsa_fp16_overflow 0
		.amdhsa_tg_split 0
		.amdhsa_exception_fp_ieee_invalid_op 0
		.amdhsa_exception_fp_denorm_src 0
		.amdhsa_exception_fp_ieee_div_zero 0
		.amdhsa_exception_fp_ieee_overflow 0
		.amdhsa_exception_fp_ieee_underflow 0
		.amdhsa_exception_fp_ieee_inexact 0
		.amdhsa_exception_int_div_zero 0
	.end_amdhsa_kernel
	.section	.text._ZN2at6native12_GLOBAL__N_135GammaBetaBackwardCUDAKernelTemplateIN3c104HalfEfLj64ELj16ELj256ELb0ELb0ELb0EEEvllPKT_S7_PKT0_SA_PS5_SB_,"axG",@progbits,_ZN2at6native12_GLOBAL__N_135GammaBetaBackwardCUDAKernelTemplateIN3c104HalfEfLj64ELj16ELj256ELb0ELb0ELb0EEEvllPKT_S7_PKT0_SA_PS5_SB_,comdat
.Lfunc_end82:
	.size	_ZN2at6native12_GLOBAL__N_135GammaBetaBackwardCUDAKernelTemplateIN3c104HalfEfLj64ELj16ELj256ELb0ELb0ELb0EEEvllPKT_S7_PKT0_SA_PS5_SB_, .Lfunc_end82-_ZN2at6native12_GLOBAL__N_135GammaBetaBackwardCUDAKernelTemplateIN3c104HalfEfLj64ELj16ELj256ELb0ELb0ELb0EEEvllPKT_S7_PKT0_SA_PS5_SB_
                                        ; -- End function
	.section	.AMDGPU.csdata,"",@progbits
; Kernel info:
; codeLenInByte = 14864
; NumSgprs: 88
; NumVgprs: 128
; NumAgprs: 0
; TotalNumVgprs: 128
; ScratchSize: 232
; MemoryBound: 0
; FloatMode: 240
; IeeeMode: 1
; LDSByteSize: 0 bytes/workgroup (compile time only)
; SGPRBlocks: 10
; VGPRBlocks: 15
; NumSGPRsForWavesPerEU: 88
; NumVGPRsForWavesPerEU: 128
; AccumOffset: 128
; Occupancy: 4
; WaveLimiterHint : 0
; COMPUTE_PGM_RSRC2:SCRATCH_EN: 1
; COMPUTE_PGM_RSRC2:USER_SGPR: 2
; COMPUTE_PGM_RSRC2:TRAP_HANDLER: 0
; COMPUTE_PGM_RSRC2:TGID_X_EN: 1
; COMPUTE_PGM_RSRC2:TGID_Y_EN: 1
; COMPUTE_PGM_RSRC2:TGID_Z_EN: 0
; COMPUTE_PGM_RSRC2:TIDIG_COMP_CNT: 1
; COMPUTE_PGM_RSRC3_GFX90A:ACCUM_OFFSET: 31
; COMPUTE_PGM_RSRC3_GFX90A:TG_SPLIT: 0
	.section	.text._ZN2at6native12_GLOBAL__N_135GammaBetaBackwardCUDAKernelTemplateIN3c104HalfEfLj32ELj1ELj32ELb1ELb1ELb0EEEvllPKT_S7_PKT0_SA_PS5_SB_,"axG",@progbits,_ZN2at6native12_GLOBAL__N_135GammaBetaBackwardCUDAKernelTemplateIN3c104HalfEfLj32ELj1ELj32ELb1ELb1ELb0EEEvllPKT_S7_PKT0_SA_PS5_SB_,comdat
	.globl	_ZN2at6native12_GLOBAL__N_135GammaBetaBackwardCUDAKernelTemplateIN3c104HalfEfLj32ELj1ELj32ELb1ELb1ELb0EEEvllPKT_S7_PKT0_SA_PS5_SB_ ; -- Begin function _ZN2at6native12_GLOBAL__N_135GammaBetaBackwardCUDAKernelTemplateIN3c104HalfEfLj32ELj1ELj32ELb1ELb1ELb0EEEvllPKT_S7_PKT0_SA_PS5_SB_
	.p2align	8
	.type	_ZN2at6native12_GLOBAL__N_135GammaBetaBackwardCUDAKernelTemplateIN3c104HalfEfLj32ELj1ELj32ELb1ELb1ELb0EEEvllPKT_S7_PKT0_SA_PS5_SB_,@function
_ZN2at6native12_GLOBAL__N_135GammaBetaBackwardCUDAKernelTemplateIN3c104HalfEfLj32ELj1ELj32ELb1ELb1ELb0EEEvllPKT_S7_PKT0_SA_PS5_SB_: ; @_ZN2at6native12_GLOBAL__N_135GammaBetaBackwardCUDAKernelTemplateIN3c104HalfEfLj32ELj1ELj32ELb1ELb1ELb0EEEvllPKT_S7_PKT0_SA_PS5_SB_
; %bb.0:
	s_load_dwordx4 s[16:19], s[0:1], 0x0
	s_lshl_b32 s6, s3, 5
	s_mov_b32 s7, 0
	s_mov_b32 s4, s3
	v_bfe_u32 v1, v0, 10, 10
	s_waitcnt lgkmcnt(0)
	v_mov_b64_e32 v[2:3], s[16:17]
	v_cmp_lt_i64_e32 vcc, s[6:7], v[2:3]
	s_cbranch_vccnz .LBB83_2
; %bb.1:
	s_add_u32 s24, s0, 64
	s_addc_u32 s25, s1, 0
	s_mov_b64 s[8:9], 0
	v_bfe_u32 v2, v0, 10, 10
	s_branch .LBB83_3
.LBB83_2:
	s_mov_b64 s[8:9], -1
                                        ; implicit-def: $sgpr24_sgpr25
                                        ; implicit-def: $vgpr2
.LBB83_3:
	s_load_dwordx4 s[20:23], s[0:1], 0x30
	v_and_b32_e32 v0, 0x3ff, v0
	s_andn2_b64 vcc, exec, s[8:9]
	v_mov_b32_e32 v6, s7
	s_cbranch_vccnz .LBB83_11
; %bb.4:
	s_load_dword s3, s[0:1], 0x4c
	s_load_dword s5, s[0:1], 0x44
	s_load_dwordx8 s[8:15], s[0:1], 0x10
	s_add_u32 s24, s0, 64
	s_addc_u32 s25, s1, 0
	s_waitcnt lgkmcnt(0)
	s_and_b32 s0, s3, 0xffff
	v_mad_u32_u24 v2, v1, s0, v0
	v_lshlrev_b32_e32 v8, 5, v1
	v_mov_b32_e32 v9, 0
	v_mbcnt_lo_u32_b32 v4, -1, 0
	v_and_b32_e32 v2, 63, v2
	v_mov_b32_e32 v3, v9
	v_mbcnt_hi_u32_b32 v4, -1, v4
	s_lshl_b32 s26, s5, 5
	v_lshl_add_u64 v[10:11], v[8:9], 0, s[6:7]
	v_cmp_gt_u32_e64 s[0:1], 32, v2
	v_lshl_add_u32 v6, s2, 5, v0
	v_mov_b32_e32 v7, v9
	v_lshlrev_b32_e32 v4, 2, v4
	v_lshl_add_u64 v[2:3], v[10:11], 0, v[2:3]
	v_mul_lo_u32 v8, s19, v10
	v_mul_lo_u32 v12, s18, v11
	v_mad_u64_u32 v[10:11], s[30:31], s18, v10, 0
	s_mul_i32 s3, s19, s26
	s_mul_hi_u32 s5, s18, s26
	s_mov_b32 s27, 0
	v_and_b32_e32 v14, 0x100, v4
	v_add3_u32 v11, v11, v12, v8
	v_lshlrev_b64 v[6:7], 1, v[6:7]
	s_add_i32 s31, s5, s3
	s_mul_i32 s30, s18, s26
	v_or_b32_e32 v15, 4, v14
	v_or_b32_e32 v16, 8, v14
	;; [unrolled: 1-line block ×31, first 2 shown]
	v_lshlrev_b64 v[4:5], 2, v[2:3]
	s_lshl_b64 s[28:29], s[26:27], 2
	v_lshl_add_u64 v[6:7], v[10:11], 1, v[6:7]
	s_lshl_b64 s[30:31], s[30:31], 1
	s_lshl_b64 s[34:35], s[18:19], 1
	v_mov_b32_e32 v8, v9
	s_branch .LBB83_7
.LBB83_5:                               ;   in Loop: Header=BB83_7 Depth=1
	s_or_b64 exec, exec, s[38:39]
.LBB83_6:                               ;   in Loop: Header=BB83_7 Depth=1
	s_or_b64 exec, exec, s[36:37]
	v_lshl_add_u64 v[10:11], s[10:11], 0, v[6:7]
	global_load_ushort v50, v[10:11], off
	v_lshl_add_u64 v[12:13], s[8:9], 0, v[6:7]
	global_load_ushort v51, v[12:13], off
	v_lshl_add_u64 v[48:49], v[10:11], 0, s[34:35]
	v_lshl_add_u64 v[12:13], v[12:13], 0, s[34:35]
	global_load_ushort v11, v[48:49], off
	global_load_ushort v52, v[12:13], off
	s_waitcnt vmcnt(5)
	ds_bpermute_b32 v53, v14, v47
	v_lshl_add_u64 v[48:49], v[48:49], 0, s[34:35]
	v_lshl_add_u64 v[12:13], v[12:13], 0, s[34:35]
	s_waitcnt vmcnt(4)
	ds_bpermute_b32 v54, v14, v46
	ds_bpermute_b32 v55, v17, v47
	;; [unrolled: 1-line block ×17, first 2 shown]
	s_add_u32 s6, s6, s26
	s_addc_u32 s7, s7, 0
	v_lshl_add_u64 v[4:5], v[4:5], 0, s[28:29]
	v_lshl_add_u64 v[2:3], v[2:3], 0, s[26:27]
	;; [unrolled: 1-line block ×3, first 2 shown]
	s_waitcnt vmcnt(3)
	v_cvt_f32_f16_e32 v50, v50
	s_waitcnt vmcnt(2)
	v_cvt_f32_f16_e32 v10, v51
	ds_bpermute_b32 v51, v15, v47
	s_waitcnt lgkmcnt(14)
	v_sub_f32_e32 v50, v50, v53
	s_waitcnt vmcnt(1)
	v_cvt_f32_f16_e32 v53, v11
	v_mul_f32_e32 v11, v50, v10
	s_waitcnt vmcnt(0)
	v_cvt_f32_f16_e32 v50, v52
	global_load_ushort v52, v[48:49], off
	s_waitcnt lgkmcnt(0)
	v_sub_f32_e32 v51, v53, v51
	global_load_ushort v53, v[12:13], off
	v_mul_f32_e32 v11, v11, v54
	ds_bpermute_b32 v54, v15, v46
	v_mul_f32_e32 v51, v51, v50
	v_lshl_add_u64 v[48:49], v[48:49], 0, s[34:35]
	v_lshl_add_u64 v[12:13], v[12:13], 0, s[34:35]
	v_pk_add_f32 v[8:9], v[8:9], v[10:11]
	s_waitcnt lgkmcnt(0)
	v_mul_f32_e32 v51, v51, v54
	ds_bpermute_b32 v54, v16, v47
	v_pk_add_f32 v[8:9], v[8:9], v[50:51]
	s_waitcnt vmcnt(1)
	v_cvt_f32_f16_e32 v52, v52
	s_waitcnt lgkmcnt(0)
	v_sub_f32_e32 v54, v52, v54
	s_waitcnt vmcnt(0)
	v_cvt_f32_f16_e32 v52, v53
	v_mul_f32_e32 v53, v54, v52
	ds_bpermute_b32 v54, v16, v46
	s_waitcnt lgkmcnt(0)
	v_mul_f32_e32 v53, v53, v54
	global_load_ushort v54, v[48:49], off
	v_lshl_add_u64 v[48:49], v[48:49], 0, s[34:35]
	v_pk_add_f32 v[8:9], v[8:9], v[52:53]
	s_waitcnt vmcnt(0)
	v_cvt_f32_f16_e32 v54, v54
	v_sub_f32_e32 v55, v54, v55
	global_load_ushort v54, v[12:13], off
	v_lshl_add_u64 v[12:13], v[12:13], 0, s[34:35]
	s_waitcnt vmcnt(0)
	v_cvt_f32_f16_e32 v54, v54
	v_mul_f32_e32 v55, v55, v54
	v_mul_f32_e32 v55, v55, v56
	global_load_ushort v56, v[48:49], off
	v_lshl_add_u64 v[48:49], v[48:49], 0, s[34:35]
	v_pk_add_f32 v[8:9], v[8:9], v[54:55]
	ds_bpermute_b32 v55, v28, v47
	s_waitcnt vmcnt(0)
	v_cvt_f32_f16_e32 v56, v56
	v_sub_f32_e32 v57, v56, v57
	global_load_ushort v56, v[12:13], off
	v_lshl_add_u64 v[12:13], v[12:13], 0, s[34:35]
	s_waitcnt vmcnt(0)
	v_cvt_f32_f16_e32 v56, v56
	v_mul_f32_e32 v57, v57, v56
	v_mul_f32_e32 v57, v57, v58
	global_load_ushort v58, v[48:49], off
	v_lshl_add_u64 v[48:49], v[48:49], 0, s[34:35]
	v_pk_add_f32 v[8:9], v[8:9], v[56:57]
	ds_bpermute_b32 v56, v28, v46
	ds_bpermute_b32 v57, v29, v47
	s_waitcnt vmcnt(0)
	v_cvt_f32_f16_e32 v58, v58
	v_sub_f32_e32 v59, v58, v59
	global_load_ushort v58, v[12:13], off
	v_lshl_add_u64 v[12:13], v[12:13], 0, s[34:35]
	s_waitcnt vmcnt(0)
	v_cvt_f32_f16_e32 v58, v58
	v_mul_f32_e32 v59, v59, v58
	v_mul_f32_e32 v59, v59, v60
	global_load_ushort v60, v[48:49], off
	v_lshl_add_u64 v[48:49], v[48:49], 0, s[34:35]
	v_pk_add_f32 v[8:9], v[8:9], v[58:59]
	ds_bpermute_b32 v58, v29, v46
	;; [unrolled: 14-line block ×4, first 2 shown]
	ds_bpermute_b32 v63, v32, v47
	s_waitcnt vmcnt(0)
	v_cvt_f32_f16_e32 v64, v64
	v_sub_f32_e32 v65, v64, v65
	global_load_ushort v64, v[12:13], off
	v_lshl_add_u64 v[12:13], v[12:13], 0, s[34:35]
	s_waitcnt vmcnt(0)
	v_cvt_f32_f16_e32 v64, v64
	v_mul_f32_e32 v65, v65, v64
	v_mul_f32_e32 v65, v65, v66
	global_load_ushort v66, v[48:49], off
	v_lshl_add_u64 v[48:49], v[48:49], 0, s[34:35]
	v_lshl_add_u64 v[10:11], v[48:49], 0, s[34:35]
	global_load_ushort v52, v[10:11], off
	v_lshl_add_u64 v[10:11], v[10:11], 0, s[34:35]
	global_load_ushort v54, v[10:11], off
	v_lshl_add_u64 v[50:51], v[10:11], 0, s[34:35]
	ds_bpermute_b32 v11, v25, v47
	v_pk_add_f32 v[8:9], v[8:9], v[64:65]
	ds_bpermute_b32 v64, v32, v46
	ds_bpermute_b32 v65, v33, v47
	s_waitcnt vmcnt(2)
	v_cvt_f32_f16_e32 v66, v66
	v_sub_f32_e32 v67, v66, v67
	global_load_ushort v66, v[12:13], off
	v_lshl_add_u64 v[12:13], v[12:13], 0, s[34:35]
	s_waitcnt vmcnt(0)
	v_cvt_f32_f16_e32 v66, v66
	v_mul_f32_e32 v67, v67, v66
	v_mul_f32_e32 v67, v67, v68
	global_load_ushort v68, v[48:49], off
	v_pk_add_f32 v[8:9], v[8:9], v[66:67]
	ds_bpermute_b32 v66, v33, v46
	ds_bpermute_b32 v67, v34, v47
	s_waitcnt vmcnt(0)
	v_cvt_f32_f16_e32 v68, v68
	v_sub_f32_e32 v69, v68, v69
	global_load_ushort v68, v[12:13], off
	v_lshl_add_u64 v[12:13], v[12:13], 0, s[34:35]
	global_load_ushort v53, v[12:13], off
	v_lshl_add_u64 v[48:49], v[12:13], 0, s[34:35]
	global_load_ushort v12, v[48:49], off
	v_cvt_f32_f16_e32 v13, v52
	ds_bpermute_b32 v52, v25, v46
	v_lshl_add_u64 v[48:49], v[48:49], 0, s[34:35]
	s_waitcnt lgkmcnt(5)
	v_sub_f32_e32 v11, v13, v11
	ds_bpermute_b32 v13, v26, v47
	s_waitcnt vmcnt(2)
	v_cvt_f32_f16_e32 v68, v68
	s_waitcnt vmcnt(1)
	v_cvt_f32_f16_e32 v10, v53
	v_cvt_f32_f16_e32 v53, v54
	s_waitcnt vmcnt(0)
	v_cvt_f32_f16_e32 v12, v12
	ds_bpermute_b32 v54, v27, v47
	v_mul_f32_e32 v11, v11, v10
	s_waitcnt lgkmcnt(2)
	v_mul_f32_e32 v11, v11, v52
	ds_bpermute_b32 v52, v26, v46
	s_waitcnt lgkmcnt(2)
	v_sub_f32_e32 v13, v53, v13
	global_load_ushort v53, v[50:51], off
	v_mul_f32_e32 v13, v13, v12
	v_lshl_add_u64 v[50:51], v[50:51], 0, s[34:35]
	s_waitcnt lgkmcnt(0)
	v_mul_f32_e32 v13, v13, v52
	global_load_ushort v52, v[48:49], off
	v_lshl_add_u64 v[48:49], v[48:49], 0, s[34:35]
	v_mul_f32_e32 v69, v69, v68
	v_mul_f32_e32 v69, v69, v70
	v_pk_add_f32 v[8:9], v[8:9], v[68:69]
	ds_bpermute_b32 v68, v34, v46
	v_pk_add_f32 v[8:9], v[8:9], v[10:11]
	ds_bpermute_b32 v69, v35, v47
	;; [unrolled: 2-line block ×3, first 2 shown]
	s_waitcnt vmcnt(1)
	v_cvt_f32_f16_e32 v53, v53
	v_sub_f32_e32 v53, v53, v54
	s_waitcnt vmcnt(0)
	v_cvt_f32_f16_e32 v52, v52
	ds_bpermute_b32 v54, v27, v46
	v_mul_f32_e32 v53, v53, v52
	s_waitcnt lgkmcnt(0)
	v_mul_f32_e32 v53, v53, v54
	global_load_ushort v54, v[50:51], off
	v_lshl_add_u64 v[50:51], v[50:51], 0, s[34:35]
	v_pk_add_f32 v[8:9], v[8:9], v[52:53]
	ds_bpermute_b32 v52, v36, v47
	ds_bpermute_b32 v53, v36, v46
	s_waitcnt vmcnt(0)
	v_cvt_f32_f16_e32 v54, v54
	v_sub_f32_e32 v55, v54, v55
	global_load_ushort v54, v[48:49], off
	v_lshl_add_u64 v[48:49], v[48:49], 0, s[34:35]
	s_waitcnt vmcnt(0)
	v_cvt_f32_f16_e32 v54, v54
	v_mul_f32_e32 v55, v55, v54
	v_mul_f32_e32 v55, v55, v56
	global_load_ushort v56, v[50:51], off
	v_lshl_add_u64 v[50:51], v[50:51], 0, s[34:35]
	v_pk_add_f32 v[8:9], v[8:9], v[54:55]
	ds_bpermute_b32 v55, v39, v47
	s_waitcnt vmcnt(0)
	v_cvt_f32_f16_e32 v56, v56
	v_sub_f32_e32 v57, v56, v57
	global_load_ushort v56, v[48:49], off
	v_lshl_add_u64 v[48:49], v[48:49], 0, s[34:35]
	s_waitcnt vmcnt(0)
	v_cvt_f32_f16_e32 v56, v56
	v_mul_f32_e32 v57, v57, v56
	v_mul_f32_e32 v57, v57, v58
	global_load_ushort v58, v[50:51], off
	v_lshl_add_u64 v[50:51], v[50:51], 0, s[34:35]
	v_pk_add_f32 v[8:9], v[8:9], v[56:57]
	ds_bpermute_b32 v56, v39, v46
	ds_bpermute_b32 v57, v40, v47
	s_waitcnt vmcnt(0)
	v_cvt_f32_f16_e32 v58, v58
	v_sub_f32_e32 v59, v58, v59
	global_load_ushort v58, v[48:49], off
	v_lshl_add_u64 v[48:49], v[48:49], 0, s[34:35]
	s_waitcnt vmcnt(0)
	v_cvt_f32_f16_e32 v58, v58
	v_mul_f32_e32 v59, v59, v58
	v_mul_f32_e32 v59, v59, v60
	global_load_ushort v60, v[50:51], off
	v_lshl_add_u64 v[50:51], v[50:51], 0, s[34:35]
	v_pk_add_f32 v[8:9], v[8:9], v[58:59]
	ds_bpermute_b32 v58, v40, v46
	ds_bpermute_b32 v59, v41, v47
	s_waitcnt vmcnt(0)
	v_cvt_f32_f16_e32 v60, v60
	v_sub_f32_e32 v61, v60, v61
	global_load_ushort v60, v[48:49], off
	v_lshl_add_u64 v[48:49], v[48:49], 0, s[34:35]
	s_waitcnt vmcnt(0)
	v_cvt_f32_f16_e32 v60, v60
	v_mul_f32_e32 v61, v61, v60
	v_mul_f32_e32 v61, v61, v62
	global_load_ushort v62, v[50:51], off
	v_lshl_add_u64 v[50:51], v[50:51], 0, s[34:35]
	v_pk_add_f32 v[8:9], v[8:9], v[60:61]
	ds_bpermute_b32 v60, v41, v46
	ds_bpermute_b32 v61, v42, v47
	s_waitcnt vmcnt(0)
	v_cvt_f32_f16_e32 v62, v62
	v_sub_f32_e32 v63, v62, v63
	global_load_ushort v62, v[48:49], off
	v_lshl_add_u64 v[48:49], v[48:49], 0, s[34:35]
	s_waitcnt vmcnt(0)
	v_cvt_f32_f16_e32 v62, v62
	v_mul_f32_e32 v63, v63, v62
	v_mul_f32_e32 v63, v63, v64
	global_load_ushort v64, v[50:51], off
	v_lshl_add_u64 v[50:51], v[50:51], 0, s[34:35]
	v_pk_add_f32 v[8:9], v[8:9], v[62:63]
	ds_bpermute_b32 v62, v42, v46
	ds_bpermute_b32 v63, v43, v47
	s_waitcnt vmcnt(0)
	v_cvt_f32_f16_e32 v64, v64
	v_sub_f32_e32 v65, v64, v65
	global_load_ushort v64, v[48:49], off
	v_lshl_add_u64 v[48:49], v[48:49], 0, s[34:35]
	s_waitcnt vmcnt(0)
	v_cvt_f32_f16_e32 v64, v64
	v_mul_f32_e32 v65, v65, v64
	v_mul_f32_e32 v65, v65, v66
	global_load_ushort v66, v[50:51], off
	v_lshl_add_u64 v[50:51], v[50:51], 0, s[34:35]
	v_lshl_add_u64 v[10:11], v[50:51], 0, s[34:35]
	v_pk_add_f32 v[8:9], v[8:9], v[64:65]
	ds_bpermute_b32 v64, v43, v46
	ds_bpermute_b32 v65, v44, v47
	s_waitcnt vmcnt(0)
	v_cvt_f32_f16_e32 v66, v66
	v_sub_f32_e32 v67, v66, v67
	global_load_ushort v66, v[48:49], off
	v_lshl_add_u64 v[48:49], v[48:49], 0, s[34:35]
	v_lshl_add_u64 v[12:13], v[48:49], 0, s[34:35]
	s_waitcnt vmcnt(0)
	v_cvt_f32_f16_e32 v66, v66
	v_mul_f32_e32 v67, v67, v66
	v_mul_f32_e32 v67, v67, v68
	global_load_ushort v68, v[50:51], off
	v_pk_add_f32 v[8:9], v[8:9], v[66:67]
	global_load_ushort v50, v[10:11], off
	v_lshl_add_u64 v[10:11], v[10:11], 0, s[34:35]
	ds_bpermute_b32 v66, v44, v46
	s_waitcnt vmcnt(1)
	v_cvt_f32_f16_e32 v68, v68
	s_waitcnt vmcnt(0)
	v_cvt_f32_f16_e32 v50, v50
	v_sub_f32_e32 v69, v68, v69
	global_load_ushort v68, v[48:49], off
	s_waitcnt lgkmcnt(13)
	v_sub_f32_e32 v50, v50, v52
	global_load_ushort v48, v[12:13], off
	global_load_ushort v49, v[10:11], off
	v_lshl_add_u64 v[12:13], v[12:13], 0, s[34:35]
	global_load_ushort v51, v[12:13], off
	ds_bpermute_b32 v52, v37, v47
	v_lshl_add_u64 v[10:11], v[10:11], 0, s[34:35]
	v_lshl_add_u64 v[12:13], v[12:13], 0, s[34:35]
	s_waitcnt vmcnt(3)
	v_cvt_f32_f16_e32 v68, v68
	s_waitcnt vmcnt(2)
	v_cvt_f32_f16_e32 v48, v48
	;; [unrolled: 2-line block ×3, first 2 shown]
	v_mul_f32_e32 v69, v69, v68
	v_mul_f32_e32 v69, v69, v70
	;; [unrolled: 1-line block ×3, first 2 shown]
	s_waitcnt vmcnt(0)
	v_cvt_f32_f16_e32 v50, v51
	s_waitcnt lgkmcnt(0)
	v_sub_f32_e32 v51, v54, v52
	ds_bpermute_b32 v52, v37, v46
	v_mul_f32_e32 v49, v49, v53
	global_load_ushort v53, v[10:11], off
	v_mul_f32_e32 v51, v51, v50
	ds_bpermute_b32 v54, v38, v47
	s_waitcnt lgkmcnt(1)
	v_mul_f32_e32 v51, v51, v52
	global_load_ushort v52, v[12:13], off
	v_lshl_add_u64 v[10:11], v[10:11], 0, s[34:35]
	v_lshl_add_u64 v[12:13], v[12:13], 0, s[34:35]
	v_pk_add_f32 v[8:9], v[8:9], v[68:69]
	s_waitcnt vmcnt(1)
	v_cvt_f32_f16_e32 v53, v53
	v_pk_add_f32 v[8:9], v[8:9], v[48:49]
	s_waitcnt lgkmcnt(0)
	v_sub_f32_e32 v53, v53, v54
	s_waitcnt vmcnt(0)
	v_cvt_f32_f16_e32 v52, v52
	ds_bpermute_b32 v54, v38, v46
	v_pk_add_f32 v[8:9], v[8:9], v[50:51]
	v_mul_f32_e32 v53, v53, v52
	s_waitcnt lgkmcnt(0)
	v_mul_f32_e32 v53, v53, v54
	global_load_ushort v54, v[10:11], off
	v_lshl_add_u64 v[10:11], v[10:11], 0, s[34:35]
	v_pk_add_f32 v[8:9], v[8:9], v[52:53]
	s_waitcnt vmcnt(0)
	v_cvt_f32_f16_e32 v54, v54
	v_sub_f32_e32 v55, v54, v55
	global_load_ushort v54, v[12:13], off
	v_lshl_add_u64 v[12:13], v[12:13], 0, s[34:35]
	s_waitcnt vmcnt(0)
	v_cvt_f32_f16_e32 v54, v54
	v_mul_f32_e32 v55, v55, v54
	v_mul_f32_e32 v55, v55, v56
	global_load_ushort v56, v[10:11], off
	v_lshl_add_u64 v[10:11], v[10:11], 0, s[34:35]
	v_pk_add_f32 v[8:9], v[8:9], v[54:55]
	s_waitcnt vmcnt(0)
	v_cvt_f32_f16_e32 v56, v56
	v_sub_f32_e32 v57, v56, v57
	global_load_ushort v56, v[12:13], off
	v_lshl_add_u64 v[12:13], v[12:13], 0, s[34:35]
	s_waitcnt vmcnt(0)
	v_cvt_f32_f16_e32 v56, v56
	v_mul_f32_e32 v57, v57, v56
	;; [unrolled: 12-line block ×5, first 2 shown]
	v_mul_f32_e32 v63, v63, v64
	global_load_ushort v64, v[10:11], off
	v_lshl_add_u64 v[10:11], v[10:11], 0, s[34:35]
	global_load_ushort v11, v[10:11], off
	v_pk_add_f32 v[8:9], v[8:9], v[62:63]
	s_waitcnt vmcnt(1)
	v_cvt_f32_f16_e32 v64, v64
	s_waitcnt vmcnt(0)
	v_cvt_f32_f16_e32 v11, v11
	v_sub_f32_e32 v65, v64, v65
	global_load_ushort v64, v[12:13], off
	v_lshl_add_u64 v[12:13], v[12:13], 0, s[34:35]
	global_load_ushort v12, v[12:13], off
	ds_bpermute_b32 v13, v45, v46
	s_waitcnt vmcnt(1)
	v_cvt_f32_f16_e32 v64, v64
	s_waitcnt vmcnt(0)
	v_cvt_f32_f16_e32 v10, v12
	ds_bpermute_b32 v12, v45, v47
	v_mul_f32_e32 v65, v65, v64
	v_mul_f32_e32 v65, v65, v66
	v_pk_add_f32 v[8:9], v[8:9], v[64:65]
	s_waitcnt lgkmcnt(0)
	v_sub_f32_e32 v11, v11, v12
	v_mul_f32_e32 v11, v11, v10
	v_mul_f32_e32 v11, v11, v13
	v_pk_add_f32 v[8:9], v[8:9], v[10:11]
	v_mov_b64_e32 v[10:11], s[16:17]
	v_cmp_lt_i64_e32 vcc, s[6:7], v[10:11]
	s_cbranch_vccz .LBB83_10
.LBB83_7:                               ; =>This Inner Loop Header: Depth=1
	v_mov_b32_e32 v46, 0
	v_mov_b32_e32 v47, 0
	s_and_saveexec_b64 s[36:37], s[0:1]
	s_cbranch_execz .LBB83_6
; %bb.8:                                ;   in Loop: Header=BB83_7 Depth=1
	v_cmp_gt_i64_e32 vcc, s[16:17], v[2:3]
	v_mov_b32_e32 v47, 0
	v_mov_b32_e32 v46, 0
	s_and_saveexec_b64 s[38:39], vcc
	s_cbranch_execz .LBB83_5
; %bb.9:                                ;   in Loop: Header=BB83_7 Depth=1
	v_lshl_add_u64 v[12:13], s[12:13], 0, v[4:5]
	v_lshl_add_u64 v[10:11], s[14:15], 0, v[4:5]
	global_load_dword v47, v[12:13], off
	global_load_dword v46, v[10:11], off
	s_branch .LBB83_5
.LBB83_10:
	v_cvt_f16_f32_e32 v2, v9
	v_cvt_f16_f32_e32 v3, v8
	v_pack_b32_f16 v6, v3, v2
	v_mov_b32_e32 v2, v1
.LBB83_11:
	s_load_dword s5, s[24:25], 0xc
	s_mov_b32 s3, 0
	v_mov_b32_e32 v1, 0
	s_lshl_b64 s[0:1], s[2:3], 5
	v_lshl_add_u64 v[4:5], s[0:1], 0, v[0:1]
	s_waitcnt lgkmcnt(0)
	s_lshr_b32 s0, s5, 16
	v_mov_b32_e32 v3, v1
	v_mov_b32_e32 v0, s4
	v_mad_u64_u32 v[0:1], s[0:1], s0, v0, v[2:3]
	s_cmp_eq_u64 s[20:21], 0
	v_mul_lo_u32 v1, v1, s18
	v_mul_lo_u32 v2, v0, s19
	s_cbranch_scc1 .LBB83_13
; %bb.12:
	v_mad_u64_u32 v[8:9], s[0:1], v0, s18, 0
	v_add3_u32 v9, v9, v2, v1
	v_lshl_add_u64 v[8:9], v[8:9], 1, s[20:21]
	v_lshl_add_u64 v[8:9], v[4:5], 1, v[8:9]
	global_store_short_d16_hi v[8:9], v6, off
.LBB83_13:
	s_cmp_eq_u64 s[22:23], 0
	s_cbranch_scc1 .LBB83_15
; %bb.14:
	v_mad_u64_u32 v[8:9], s[0:1], v0, s18, 0
	v_add3_u32 v9, v9, v2, v1
	v_lshl_add_u64 v[0:1], v[8:9], 1, s[22:23]
	v_lshl_add_u64 v[0:1], v[4:5], 1, v[0:1]
	global_store_short v[0:1], v6, off
.LBB83_15:
	s_endpgm
	.section	.rodata,"a",@progbits
	.p2align	6, 0x0
	.amdhsa_kernel _ZN2at6native12_GLOBAL__N_135GammaBetaBackwardCUDAKernelTemplateIN3c104HalfEfLj32ELj1ELj32ELb1ELb1ELb0EEEvllPKT_S7_PKT0_SA_PS5_SB_
		.amdhsa_group_segment_fixed_size 0
		.amdhsa_private_segment_fixed_size 0
		.amdhsa_kernarg_size 320
		.amdhsa_user_sgpr_count 2
		.amdhsa_user_sgpr_dispatch_ptr 0
		.amdhsa_user_sgpr_queue_ptr 0
		.amdhsa_user_sgpr_kernarg_segment_ptr 1
		.amdhsa_user_sgpr_dispatch_id 0
		.amdhsa_user_sgpr_kernarg_preload_length 0
		.amdhsa_user_sgpr_kernarg_preload_offset 0
		.amdhsa_user_sgpr_private_segment_size 0
		.amdhsa_uses_dynamic_stack 0
		.amdhsa_enable_private_segment 0
		.amdhsa_system_sgpr_workgroup_id_x 1
		.amdhsa_system_sgpr_workgroup_id_y 1
		.amdhsa_system_sgpr_workgroup_id_z 0
		.amdhsa_system_sgpr_workgroup_info 0
		.amdhsa_system_vgpr_workitem_id 1
		.amdhsa_next_free_vgpr 71
		.amdhsa_next_free_sgpr 40
		.amdhsa_accum_offset 72
		.amdhsa_reserve_vcc 1
		.amdhsa_float_round_mode_32 0
		.amdhsa_float_round_mode_16_64 0
		.amdhsa_float_denorm_mode_32 3
		.amdhsa_float_denorm_mode_16_64 3
		.amdhsa_dx10_clamp 1
		.amdhsa_ieee_mode 1
		.amdhsa_fp16_overflow 0
		.amdhsa_tg_split 0
		.amdhsa_exception_fp_ieee_invalid_op 0
		.amdhsa_exception_fp_denorm_src 0
		.amdhsa_exception_fp_ieee_div_zero 0
		.amdhsa_exception_fp_ieee_overflow 0
		.amdhsa_exception_fp_ieee_underflow 0
		.amdhsa_exception_fp_ieee_inexact 0
		.amdhsa_exception_int_div_zero 0
	.end_amdhsa_kernel
	.section	.text._ZN2at6native12_GLOBAL__N_135GammaBetaBackwardCUDAKernelTemplateIN3c104HalfEfLj32ELj1ELj32ELb1ELb1ELb0EEEvllPKT_S7_PKT0_SA_PS5_SB_,"axG",@progbits,_ZN2at6native12_GLOBAL__N_135GammaBetaBackwardCUDAKernelTemplateIN3c104HalfEfLj32ELj1ELj32ELb1ELb1ELb0EEEvllPKT_S7_PKT0_SA_PS5_SB_,comdat
.Lfunc_end83:
	.size	_ZN2at6native12_GLOBAL__N_135GammaBetaBackwardCUDAKernelTemplateIN3c104HalfEfLj32ELj1ELj32ELb1ELb1ELb0EEEvllPKT_S7_PKT0_SA_PS5_SB_, .Lfunc_end83-_ZN2at6native12_GLOBAL__N_135GammaBetaBackwardCUDAKernelTemplateIN3c104HalfEfLj32ELj1ELj32ELb1ELb1ELb0EEEvllPKT_S7_PKT0_SA_PS5_SB_
                                        ; -- End function
	.section	.AMDGPU.csdata,"",@progbits
; Kernel info:
; codeLenInByte = 3580
; NumSgprs: 46
; NumVgprs: 71
; NumAgprs: 0
; TotalNumVgprs: 71
; ScratchSize: 0
; MemoryBound: 0
; FloatMode: 240
; IeeeMode: 1
; LDSByteSize: 0 bytes/workgroup (compile time only)
; SGPRBlocks: 5
; VGPRBlocks: 8
; NumSGPRsForWavesPerEU: 46
; NumVGPRsForWavesPerEU: 71
; AccumOffset: 72
; Occupancy: 7
; WaveLimiterHint : 0
; COMPUTE_PGM_RSRC2:SCRATCH_EN: 0
; COMPUTE_PGM_RSRC2:USER_SGPR: 2
; COMPUTE_PGM_RSRC2:TRAP_HANDLER: 0
; COMPUTE_PGM_RSRC2:TGID_X_EN: 1
; COMPUTE_PGM_RSRC2:TGID_Y_EN: 1
; COMPUTE_PGM_RSRC2:TGID_Z_EN: 0
; COMPUTE_PGM_RSRC2:TIDIG_COMP_CNT: 1
; COMPUTE_PGM_RSRC3_GFX90A:ACCUM_OFFSET: 17
; COMPUTE_PGM_RSRC3_GFX90A:TG_SPLIT: 0
	.section	.text._ZN2at6native12_GLOBAL__N_135GammaBetaBackwardCUDAKernelTemplateIN3c104HalfEfLj32ELj1ELj32ELb1ELb0ELb0EEEvllPKT_S7_PKT0_SA_PS5_SB_,"axG",@progbits,_ZN2at6native12_GLOBAL__N_135GammaBetaBackwardCUDAKernelTemplateIN3c104HalfEfLj32ELj1ELj32ELb1ELb0ELb0EEEvllPKT_S7_PKT0_SA_PS5_SB_,comdat
	.globl	_ZN2at6native12_GLOBAL__N_135GammaBetaBackwardCUDAKernelTemplateIN3c104HalfEfLj32ELj1ELj32ELb1ELb0ELb0EEEvllPKT_S7_PKT0_SA_PS5_SB_ ; -- Begin function _ZN2at6native12_GLOBAL__N_135GammaBetaBackwardCUDAKernelTemplateIN3c104HalfEfLj32ELj1ELj32ELb1ELb0ELb0EEEvllPKT_S7_PKT0_SA_PS5_SB_
	.p2align	8
	.type	_ZN2at6native12_GLOBAL__N_135GammaBetaBackwardCUDAKernelTemplateIN3c104HalfEfLj32ELj1ELj32ELb1ELb0ELb0EEEvllPKT_S7_PKT0_SA_PS5_SB_,@function
_ZN2at6native12_GLOBAL__N_135GammaBetaBackwardCUDAKernelTemplateIN3c104HalfEfLj32ELj1ELj32ELb1ELb0ELb0EEEvllPKT_S7_PKT0_SA_PS5_SB_: ; @_ZN2at6native12_GLOBAL__N_135GammaBetaBackwardCUDAKernelTemplateIN3c104HalfEfLj32ELj1ELj32ELb1ELb0ELb0EEEvllPKT_S7_PKT0_SA_PS5_SB_
; %bb.0:
	s_load_dwordx8 s[12:19], s[0:1], 0x0
	s_load_dwordx4 s[20:23], s[0:1], 0x20
	s_mov_b32 s8, s3
	s_lshl_b32 s3, s2, 5
	v_mov_b32_e32 v212, v0
	s_or_b32 s10, s3, 31
	s_mov_b32 s11, 0
	s_waitcnt lgkmcnt(0)
	v_mov_b64_e32 v[0:1], s[14:15]
	v_cmp_ge_i64_e32 vcc, s[10:11], v[0:1]
	s_lshl_b32 s10, s8, 5
	v_mov_b64_e32 v[0:1], s[12:13]
	v_cmp_lt_i64_e64 s[4:5], s[10:11], v[0:1]
	s_nop 1
	v_cndmask_b32_e64 v0, 0, 1, s[4:5]
	v_cmp_ne_u32_e64 s[4:5], 1, v0
	s_cbranch_vccz .LBB84_144
; %bb.1:
	s_mov_b32 s6, s11
	s_mov_b32 s7, s11
	s_and_b64 vcc, exec, s[4:5]
	v_mov_b64_e32 v[70:71], s[6:7]
	s_cbranch_vccnz .LBB84_145
; %bb.2:
	v_mov_b32_e32 v1, 0
	v_bfe_u32 v203, v212, 10, 10
	v_lshlrev_b32_e32 v2, 5, v203
	v_mov_b32_e32 v3, v1
	v_and_b32_e32 v202, 0x3ff, v212
	v_lshl_add_u64 v[70:71], v[2:3], 0, s[10:11]
	v_add_u32_e32 v0, s3, v202
	v_lshl_add_u64 v[6:7], v[70:71], 0, 31
	v_cmp_gt_i64_e64 s[6:7], s[14:15], v[0:1]
	v_lshlrev_b64 v[4:5], 1, v[0:1]
	v_mul_lo_u32 v0, s15, v6
	v_mul_lo_u32 v8, s14, v7
	v_mad_u64_u32 v[6:7], s[30:31], s14, v6, 0
	v_lshl_add_u64 v[10:11], v[70:71], 0, 30
	v_add3_u32 v7, v7, v8, v0
	v_mul_lo_u32 v0, s15, v10
	v_mul_lo_u32 v12, s14, v11
	v_mad_u64_u32 v[10:11], s[34:35], s14, v10, 0
	v_lshl_add_u64 v[14:15], v[70:71], 0, 29
	v_add3_u32 v11, v11, v12, v0
	;; [unrolled: 5-line block ×25, first 2 shown]
	v_mul_lo_u32 v0, s15, v108
	v_mul_lo_u32 v110, s14, v109
	v_mad_u64_u32 v[108:109], s[34:35], s14, v108, 0
	v_lshl_add_u64 v[112:113], v[70:71], 0, 5
	s_load_dword s9, s[0:1], 0x44
	v_add3_u32 v109, v109, v110, v0
	v_mul_lo_u32 v0, s15, v112
	v_mul_lo_u32 v114, s14, v113
	v_mad_u64_u32 v[112:113], s[34:35], s14, v112, 0
	v_lshl_add_u64 v[116:117], v[70:71], 0, 4
	v_add3_u32 v113, v113, v114, v0
	v_mul_lo_u32 v0, s15, v116
	v_mul_lo_u32 v118, s14, v117
	v_mad_u64_u32 v[116:117], s[34:35], s14, v116, 0
	v_lshl_add_u64 v[120:121], v[70:71], 0, 3
	;; [unrolled: 5-line block ×3, first 2 shown]
	v_add3_u32 v121, v121, v122, v0
	v_mul_lo_u32 v0, s15, v124
	v_mul_lo_u32 v126, s14, v125
	v_mad_u64_u32 v[124:125], s[34:35], s14, v124, 0
	v_mov_b64_e32 v[128:129], s[14:15]
	s_add_u32 s26, s0, 64
	v_add3_u32 v125, v125, v126, v0
	v_mad_u64_u32 v[128:129], s[34:35], s14, v70, v[128:129]
	v_mul_lo_u32 v0, s14, v71
	v_mul_lo_u32 v132, s15, v70
	v_mad_u64_u32 v[70:71], s[34:35], s14, v70, 0
	s_addc_u32 s27, s1, 0
	s_waitcnt lgkmcnt(0)
	s_lshl_b32 s24, s9, 5
	v_add3_u32 v129, v132, v129, v0
	v_add3_u32 v71, v71, v0, v132
	v_mbcnt_lo_u32_b32 v0, -1, 0
	s_mul_i32 s9, s15, s24
	s_mul_hi_u32 s30, s14, s24
	v_mbcnt_hi_u32_b32 v0, -1, v0
	v_lshlrev_b64 v[8:9], 1, v[6:7]
	s_add_i32 s31, s30, s9
	s_mul_i32 s30, s14, s24
	v_lshlrev_b64 v[12:13], 1, v[10:11]
	v_lshlrev_b64 v[16:17], 1, v[14:15]
	;; [unrolled: 1-line block ×31, first 2 shown]
	v_lshlrev_b32_e32 v0, 2, v0
	s_mov_b32 s25, 0
	s_mov_b64 s[28:29], 31
	v_lshl_add_u64 v[6:7], s[16:17], 0, v[8:9]
	s_lshl_b64 s[30:31], s[30:31], 1
	v_lshl_add_u64 v[8:9], s[18:19], 0, v[8:9]
	v_lshl_add_u64 v[10:11], s[16:17], 0, v[12:13]
	v_lshl_add_u64 v[12:13], s[18:19], 0, v[12:13]
	v_lshl_add_u64 v[14:15], s[16:17], 0, v[16:17]
	v_lshl_add_u64 v[16:17], s[18:19], 0, v[16:17]
	v_lshl_add_u64 v[18:19], s[16:17], 0, v[20:21]
	v_lshl_add_u64 v[20:21], s[18:19], 0, v[20:21]
	v_lshl_add_u64 v[22:23], s[16:17], 0, v[24:25]
	v_lshl_add_u64 v[24:25], s[18:19], 0, v[24:25]
	v_lshl_add_u64 v[26:27], s[16:17], 0, v[28:29]
	v_lshl_add_u64 v[28:29], s[18:19], 0, v[28:29]
	v_lshl_add_u64 v[30:31], s[16:17], 0, v[32:33]
	v_lshl_add_u64 v[32:33], s[18:19], 0, v[32:33]
	v_lshl_add_u64 v[34:35], s[16:17], 0, v[36:37]
	v_lshl_add_u64 v[36:37], s[18:19], 0, v[36:37]
	v_lshl_add_u64 v[38:39], s[16:17], 0, v[40:41]
	v_lshl_add_u64 v[40:41], s[18:19], 0, v[40:41]
	v_lshl_add_u64 v[42:43], s[16:17], 0, v[44:45]
	v_lshl_add_u64 v[44:45], s[18:19], 0, v[44:45]
	v_lshl_add_u64 v[46:47], s[16:17], 0, v[48:49]
	v_lshl_add_u64 v[48:49], s[18:19], 0, v[48:49]
	v_lshl_add_u64 v[50:51], s[16:17], 0, v[52:53]
	v_lshl_add_u64 v[52:53], s[18:19], 0, v[52:53]
	v_lshl_add_u64 v[54:55], s[16:17], 0, v[56:57]
	v_lshl_add_u64 v[56:57], s[18:19], 0, v[56:57]
	v_lshl_add_u64 v[58:59], s[16:17], 0, v[60:61]
	v_lshl_add_u64 v[60:61], s[18:19], 0, v[60:61]
	v_lshl_add_u64 v[62:63], s[16:17], 0, v[64:65]
	v_lshl_add_u64 v[64:65], s[18:19], 0, v[64:65]
	v_lshl_add_u64 v[66:67], s[16:17], 0, v[68:69]
	v_lshl_add_u64 v[68:69], s[18:19], 0, v[68:69]
	v_lshl_add_u64 v[72:73], s[16:17], 0, v[74:75]
	v_lshl_add_u64 v[74:75], s[18:19], 0, v[74:75]
	v_lshl_add_u64 v[76:77], s[16:17], 0, v[78:79]
	v_lshl_add_u64 v[78:79], s[18:19], 0, v[78:79]
	v_lshl_add_u64 v[80:81], s[16:17], 0, v[82:83]
	v_lshl_add_u64 v[82:83], s[18:19], 0, v[82:83]
	v_lshl_add_u64 v[84:85], s[16:17], 0, v[86:87]
	v_lshl_add_u64 v[86:87], s[18:19], 0, v[86:87]
	v_lshl_add_u64 v[88:89], s[16:17], 0, v[90:91]
	v_lshl_add_u64 v[90:91], s[18:19], 0, v[90:91]
	v_lshl_add_u64 v[92:93], s[16:17], 0, v[94:95]
	v_lshl_add_u64 v[94:95], s[18:19], 0, v[94:95]
	v_lshl_add_u64 v[96:97], s[16:17], 0, v[98:99]
	v_lshl_add_u64 v[98:99], s[18:19], 0, v[98:99]
	v_lshl_add_u64 v[100:101], s[16:17], 0, v[102:103]
	v_lshl_add_u64 v[102:103], s[18:19], 0, v[102:103]
	v_lshl_add_u64 v[104:105], s[16:17], 0, v[106:107]
	v_lshl_add_u64 v[106:107], s[18:19], 0, v[106:107]
	v_lshl_add_u64 v[108:109], s[16:17], 0, v[110:111]
	v_lshl_add_u64 v[110:111], s[18:19], 0, v[110:111]
	v_lshl_add_u64 v[112:113], s[16:17], 0, v[114:115]
	v_lshl_add_u64 v[114:115], s[18:19], 0, v[114:115]
	v_lshl_add_u64 v[116:117], s[16:17], 0, v[118:119]
	v_lshl_add_u64 v[118:119], s[18:19], 0, v[118:119]
	v_lshl_add_u64 v[120:121], s[16:17], 0, v[122:123]
	v_lshl_add_u64 v[122:123], s[18:19], 0, v[122:123]
	v_lshl_add_u64 v[124:125], s[16:17], 0, v[126:127]
	v_lshl_add_u64 v[126:127], s[18:19], 0, v[126:127]
	v_lshl_add_u64 v[128:129], s[16:17], 0, v[130:131]
	v_lshl_add_u64 v[130:131], s[18:19], 0, v[130:131]
	v_lshl_add_u64 v[132:133], s[16:17], 0, v[70:71]
	v_lshl_add_u64 v[134:135], s[18:19], 0, v[70:71]
	v_and_b32_e32 v204, 0x100, v0
	v_mov_b32_e32 v70, v1
	v_mov_b32_e32 v71, v1
	s_mov_b64 s[34:35], s[10:11]
	s_branch .LBB84_5
.LBB84_3:                               ;   in Loop: Header=BB84_5 Depth=1
	s_or_b64 exec, exec, s[36:37]
	s_waitcnt vmcnt(1)
	ds_bpermute_b32 v139, v204, v197
	s_waitcnt vmcnt(0)
	ds_bpermute_b32 v159, v204, v149
	ds_bpermute_b32 v207, v204, v197 offset:4
	ds_bpermute_b32 v167, v204, v149 offset:4
	;; [unrolled: 1-line block ×3, first 2 shown]
	s_waitcnt lgkmcnt(4)
	v_sub_f32_e32 v137, v137, v139
	v_mul_f32_e32 v137, v138, v137
	s_waitcnt lgkmcnt(3)
	v_mul_f32_e32 v139, v137, v159
	ds_bpermute_b32 v159, v204, v149 offset:8
	s_waitcnt lgkmcnt(3)
	v_sub_f32_e32 v137, v141, v207
	v_mul_f32_e32 v137, v140, v137
	s_waitcnt lgkmcnt(2)
	v_mul_f32_e32 v141, v137, v167
	s_waitcnt lgkmcnt(1)
	v_sub_f32_e32 v137, v143, v208
	ds_bpermute_b32 v143, v204, v197 offset:12
	v_mul_f32_e32 v137, v136, v137
	s_waitcnt lgkmcnt(1)
	v_mul_f32_e32 v137, v137, v159
	ds_bpermute_b32 v159, v204, v149 offset:12
	ds_bpermute_b32 v167, v204, v197 offset:16
	s_waitcnt lgkmcnt(2)
	v_sub_f32_e32 v143, v145, v143
	v_mul_f32_e32 v143, v144, v143
	ds_bpermute_b32 v207, v204, v149 offset:16
	s_waitcnt lgkmcnt(2)
	v_mul_f32_e32 v145, v143, v159
	s_waitcnt lgkmcnt(1)
	v_sub_f32_e32 v143, v147, v167
	ds_bpermute_b32 v147, v204, v197 offset:20
	ds_bpermute_b32 v159, v204, v149 offset:20
	;; [unrolled: 1-line block ×3, first 2 shown]
	v_pk_add_f32 v[70:71], v[70:71], v[138:139]
	v_mul_f32_e32 v143, v142, v143
	s_waitcnt lgkmcnt(2)
	v_sub_f32_e32 v147, v151, v147
	v_mul_f32_e32 v147, v150, v147
	s_waitcnt lgkmcnt(1)
	v_mul_f32_e32 v151, v147, v159
	s_waitcnt lgkmcnt(0)
	v_sub_f32_e32 v147, v153, v167
	ds_bpermute_b32 v153, v204, v197 offset:28
	ds_bpermute_b32 v159, v204, v149 offset:28
	;; [unrolled: 1-line block ×3, first 2 shown]
	v_pk_add_f32 v[70:71], v[70:71], v[140:141]
	v_mul_f32_e32 v143, v143, v207
	s_waitcnt lgkmcnt(2)
	v_sub_f32_e32 v153, v155, v153
	ds_bpermute_b32 v155, v204, v149 offset:32
	v_mul_f32_e32 v153, v158, v153
	s_waitcnt lgkmcnt(2)
	v_mul_f32_e32 v159, v153, v159
	s_waitcnt lgkmcnt(1)
	v_sub_f32_e32 v153, v157, v167
	ds_bpermute_b32 v167, v204, v197 offset:36
	v_pk_add_f32 v[70:71], v[70:71], v[136:137]
	ds_bpermute_b32 v136, v204, v197 offset:44
	v_mul_f32_e32 v153, v156, v153
	ds_bpermute_b32 v207, v204, v149 offset:24
	s_waitcnt lgkmcnt(3)
	v_mul_f32_e32 v157, v153, v155
	ds_bpermute_b32 v153, v204, v149 offset:36
	ds_bpermute_b32 v155, v204, v197 offset:40
	;; [unrolled: 1-line block ×3, first 2 shown]
	s_waitcnt lgkmcnt(5)
	v_sub_f32_e32 v163, v163, v167
	s_waitcnt lgkmcnt(4)
	v_sub_f32_e32 v136, v161, v136
	ds_bpermute_b32 v138, v204, v197 offset:48
	v_mul_f32_e32 v147, v146, v147
	v_mul_f32_e32 v163, v166, v163
	;; [unrolled: 1-line block ×3, first 2 shown]
	s_waitcnt lgkmcnt(4)
	v_mul_f32_e32 v147, v147, v207
	ds_bpermute_b32 v207, v204, v149 offset:40
	s_waitcnt lgkmcnt(4)
	v_mul_f32_e32 v167, v163, v153
	s_waitcnt lgkmcnt(3)
	v_sub_f32_e32 v153, v165, v155
	s_waitcnt lgkmcnt(2)
	v_mul_f32_e32 v155, v136, v137
	ds_bpermute_b32 v136, v204, v149 offset:48
	ds_bpermute_b32 v137, v204, v197 offset:52
	;; [unrolled: 1-line block ×3, first 2 shown]
	s_waitcnt lgkmcnt(4)
	v_sub_f32_e32 v138, v169, v138
	v_mul_f32_e32 v153, v164, v153
	v_mul_f32_e32 v138, v152, v138
	s_waitcnt lgkmcnt(3)
	v_mul_f32_e32 v165, v153, v207
	s_waitcnt lgkmcnt(2)
	;; [unrolled: 2-line block ×3, first 2 shown]
	v_sub_f32_e32 v136, v171, v137
	ds_bpermute_b32 v137, v204, v197 offset:56
	v_mul_f32_e32 v136, v162, v136
	s_waitcnt lgkmcnt(1)
	v_mul_f32_e32 v163, v136, v139
	ds_bpermute_b32 v136, v204, v149 offset:56
	ds_bpermute_b32 v138, v204, v197 offset:60
	ds_bpermute_b32 v139, v204, v149 offset:60
	s_waitcnt lgkmcnt(3)
	v_sub_f32_e32 v137, v173, v137
	v_mul_f32_e32 v137, v160, v137
	s_waitcnt lgkmcnt(2)
	v_mul_f32_e32 v161, v137, v136
	s_waitcnt lgkmcnt(1)
	v_sub_f32_e32 v136, v175, v138
	ds_bpermute_b32 v137, v204, v197 offset:64
	v_mul_f32_e32 v136, v170, v136
	s_waitcnt lgkmcnt(1)
	v_mul_f32_e32 v171, v136, v139
	ds_bpermute_b32 v136, v204, v149 offset:64
	ds_bpermute_b32 v138, v204, v197 offset:68
	ds_bpermute_b32 v139, v204, v149 offset:68
	s_waitcnt lgkmcnt(3)
	v_sub_f32_e32 v137, v177, v137
	v_mul_f32_e32 v137, v168, v137
	s_waitcnt lgkmcnt(2)
	v_mul_f32_e32 v169, v137, v136
	s_waitcnt lgkmcnt(1)
	;; [unrolled: 14-line block ×4, first 2 shown]
	v_sub_f32_e32 v136, v191, v138
	v_mul_f32_e32 v136, v186, v136
	s_waitcnt lgkmcnt(0)
	v_mul_f32_e32 v187, v136, v139
	ds_bpermute_b32 v136, v204, v197 offset:88
	ds_bpermute_b32 v137, v204, v149 offset:88
	;; [unrolled: 1-line block ×4, first 2 shown]
	v_pk_add_f32 v[70:71], v[70:71], v[144:145]
	s_waitcnt lgkmcnt(3)
	v_sub_f32_e32 v136, v185, v136
	v_mul_f32_e32 v136, v176, v136
	s_waitcnt lgkmcnt(2)
	v_mul_f32_e32 v177, v136, v137
	s_waitcnt lgkmcnt(1)
	v_sub_f32_e32 v136, v189, v138
	ds_bpermute_b32 v137, v204, v197 offset:96
	v_mul_f32_e32 v136, v184, v136
	s_waitcnt lgkmcnt(1)
	v_mul_f32_e32 v185, v136, v139
	ds_bpermute_b32 v136, v204, v149 offset:96
	ds_bpermute_b32 v138, v204, v197 offset:100
	;; [unrolled: 1-line block ×3, first 2 shown]
	v_pk_add_f32 v[70:71], v[70:71], v[142:143]
	s_waitcnt lgkmcnt(3)
	v_sub_f32_e32 v137, v193, v137
	v_pk_add_f32 v[70:71], v[70:71], v[150:151]
	v_mul_f32_e32 v137, v182, v137
	v_pk_add_f32 v[70:71], v[70:71], v[146:147]
	s_waitcnt lgkmcnt(2)
	v_mul_f32_e32 v183, v137, v136
	s_waitcnt lgkmcnt(1)
	v_sub_f32_e32 v136, v195, v138
	ds_bpermute_b32 v137, v204, v197 offset:104
	v_pk_add_f32 v[70:71], v[70:71], v[158:159]
	v_mul_f32_e32 v136, v190, v136
	v_pk_add_f32 v[70:71], v[70:71], v[156:157]
	s_waitcnt lgkmcnt(1)
	v_mul_f32_e32 v191, v136, v139
	ds_bpermute_b32 v136, v204, v149 offset:104
	ds_bpermute_b32 v138, v204, v197 offset:108
	v_pk_add_f32 v[70:71], v[70:71], v[166:167]
	ds_bpermute_b32 v139, v204, v149 offset:108
	v_pk_add_f32 v[70:71], v[70:71], v[164:165]
	s_waitcnt lgkmcnt(3)
	v_sub_f32_e32 v137, v199, v137
	v_pk_add_f32 v[70:71], v[70:71], v[154:155]
	v_mul_f32_e32 v137, v188, v137
	v_pk_add_f32 v[70:71], v[70:71], v[152:153]
	s_waitcnt lgkmcnt(2)
	v_mul_f32_e32 v189, v137, v136
	v_pk_add_f32 v[70:71], v[70:71], v[162:163]
	s_waitcnt lgkmcnt(1)
	v_sub_f32_e32 v136, v200, v138
	ds_bpermute_b32 v137, v204, v197 offset:112
	v_pk_add_f32 v[70:71], v[70:71], v[160:161]
	v_mul_f32_e32 v136, v194, v136
	v_pk_add_f32 v[70:71], v[70:71], v[170:171]
	s_waitcnt lgkmcnt(1)
	v_mul_f32_e32 v195, v136, v139
	ds_bpermute_b32 v136, v204, v149 offset:112
	ds_bpermute_b32 v138, v204, v197 offset:116
	v_pk_add_f32 v[70:71], v[70:71], v[168:169]
	ds_bpermute_b32 v139, v204, v149 offset:116
	v_pk_add_f32 v[70:71], v[70:71], v[174:175]
	s_waitcnt lgkmcnt(3)
	v_sub_f32_e32 v137, v201, v137
	v_pk_add_f32 v[70:71], v[70:71], v[172:173]
	v_mul_f32_e32 v137, v192, v137
	v_pk_add_f32 v[70:71], v[70:71], v[180:181]
	s_waitcnt lgkmcnt(2)
	v_mul_f32_e32 v193, v137, v136
	v_pk_add_f32 v[70:71], v[70:71], v[178:179]
	s_waitcnt lgkmcnt(1)
	v_sub_f32_e32 v136, v206, v138
	v_pk_add_f32 v[70:71], v[70:71], v[186:187]
	v_mul_f32_e32 v136, v198, v136
	s_waitcnt lgkmcnt(0)
	v_mul_f32_e32 v199, v136, v139
	v_pk_add_f32 v[70:71], v[70:71], v[176:177]
	ds_bpermute_b32 v136, v204, v197 offset:120
	v_pk_add_f32 v[70:71], v[70:71], v[184:185]
	ds_bpermute_b32 v137, v204, v149 offset:120
	;; [unrolled: 2-line block ×3, first 2 shown]
	v_pk_add_f32 v[70:71], v[70:71], v[190:191]
	s_waitcnt lgkmcnt(2)
	v_sub_f32_e32 v136, v205, v136
	v_pk_add_f32 v[70:71], v[70:71], v[188:189]
	v_mul_f32_e32 v136, v196, v136
	v_pk_add_f32 v[70:71], v[70:71], v[194:195]
	s_waitcnt lgkmcnt(1)
	v_mul_f32_e32 v197, v136, v137
	v_pk_add_f32 v[70:71], v[70:71], v[192:193]
	ds_bpermute_b32 v140, v204, v149 offset:124
	v_pk_add_f32 v[70:71], v[70:71], v[198:199]
	s_nop 0
	v_pk_add_f32 v[138:139], v[70:71], v[196:197]
.LBB84_4:                               ;   in Loop: Header=BB84_5 Depth=1
	s_waitcnt lgkmcnt(1)
	v_sub_f32_e32 v0, v0, v141
	s_add_u32 s34, s34, s24
	v_mul_f32_e32 v0, v148, v0
	s_addc_u32 s35, s35, 0
	v_mov_b64_e32 v[136:137], s[12:13]
	s_waitcnt lgkmcnt(0)
	v_mul_f32_e32 v149, v0, v140
	s_add_u32 s28, s28, s24
	v_cmp_lt_i64_e32 vcc, s[34:35], v[136:137]
	v_pk_add_f32 v[70:71], v[138:139], v[148:149]
	v_lshl_add_u64 v[6:7], v[6:7], 0, s[30:31]
	v_lshl_add_u64 v[8:9], v[8:9], 0, s[30:31]
	;; [unrolled: 1-line block ×65, first 2 shown]
	s_addc_u32 s29, s29, 0
	s_cbranch_vccz .LBB84_145
.LBB84_5:                               ; =>This Inner Loop Header: Depth=1
	s_add_u32 s36, s10, s28
	s_addc_u32 s37, 0, s29
	v_mov_b64_e32 v[136:137], s[12:13]
	v_cmp_ge_i64_e32 vcc, s[36:37], v[136:137]
	v_lshl_add_u64 v[136:137], s[10:11], 0, v[2:3]
	s_cbranch_vccz .LBB84_75
; %bb.6:                                ;   in Loop: Header=BB84_5 Depth=1
	s_load_dword s9, s[26:27], 0xc
	v_mov_b32_e32 v138, 0
	v_mov_b32_e32 v149, 0
	v_mov_b32_e32 v199, 0
	s_waitcnt lgkmcnt(0)
	s_and_b32 s9, s9, 0xffff
	v_mad_u32_u24 v0, v203, s9, v202
	v_and_b32_e32 v0, 63, v0
	v_cmp_gt_u32_e32 vcc, 32, v0
	s_and_saveexec_b64 s[36:37], vcc
	s_cbranch_execz .LBB84_10
; %bb.7:                                ;   in Loop: Header=BB84_5 Depth=1
	v_lshl_add_u64 v[140:141], v[136:137], 0, v[0:1]
	v_cmp_gt_i64_e32 vcc, s[12:13], v[140:141]
	v_mov_b32_e32 v199, 0
	v_mov_b32_e32 v149, 0
	s_and_saveexec_b64 s[38:39], vcc
	s_cbranch_execz .LBB84_9
; %bb.8:                                ;   in Loop: Header=BB84_5 Depth=1
	v_lshlrev_b64 v[140:141], 2, v[140:141]
	v_lshl_add_u64 v[142:143], s[22:23], 0, v[140:141]
	v_lshl_add_u64 v[140:141], s[20:21], 0, v[140:141]
	global_load_dword v199, v[140:141], off
	global_load_dword v149, v[142:143], off
.LBB84_9:                               ;   in Loop: Header=BB84_5 Depth=1
	s_or_b64 exec, exec, s[38:39]
.LBB84_10:                              ;   in Loop: Header=BB84_5 Depth=1
	s_or_b64 exec, exec, s[36:37]
	v_cmp_gt_i64_e32 vcc, s[12:13], v[136:137]
	s_and_b64 s[38:39], s[6:7], vcc
	v_mov_b32_e32 v139, 0
	s_and_saveexec_b64 s[36:37], s[38:39]
	s_cbranch_execz .LBB84_12
; %bb.11:                               ;   in Loop: Header=BB84_5 Depth=1
	v_lshl_add_u64 v[138:139], v[132:133], 0, v[4:5]
	global_load_ushort v0, v[138:139], off
	v_lshl_add_u64 v[138:139], v[134:135], 0, v[4:5]
	global_load_ushort v139, v[138:139], off
	s_waitcnt vmcnt(1)
	v_cvt_f32_f16_e32 v138, v0
	s_waitcnt vmcnt(0)
	v_cvt_f32_f16_e32 v139, v139
.LBB84_12:                              ;   in Loop: Header=BB84_5 Depth=1
	s_or_b64 exec, exec, s[36:37]
	v_lshl_add_u64 v[140:141], v[136:137], 0, 1
	v_cmp_gt_i64_e32 vcc, s[12:13], v[140:141]
	s_and_b64 s[38:39], s[6:7], vcc
	v_mov_b32_e32 v140, 0
	v_mov_b32_e32 v142, 0
	v_mov_b32_e32 v141, 0
	s_and_saveexec_b64 s[36:37], s[38:39]
	s_cbranch_execz .LBB84_14
; %bb.13:                               ;   in Loop: Header=BB84_5 Depth=1
	v_lshl_add_u64 v[142:143], v[128:129], 0, v[4:5]
	global_load_ushort v0, v[142:143], off
	v_lshl_add_u64 v[142:143], v[130:131], 0, v[4:5]
	global_load_ushort v141, v[142:143], off
	s_waitcnt vmcnt(1)
	v_cvt_f32_f16_e32 v142, v0
	s_waitcnt vmcnt(0)
	v_cvt_f32_f16_e32 v141, v141
.LBB84_14:                              ;   in Loop: Header=BB84_5 Depth=1
	s_or_b64 exec, exec, s[36:37]
	v_lshl_add_u64 v[144:145], v[136:137], 0, 2
	v_cmp_gt_i64_e32 vcc, s[12:13], v[144:145]
	s_and_b64 s[38:39], s[6:7], vcc
	v_mov_b32_e32 v145, 0
	s_and_saveexec_b64 s[36:37], s[38:39]
	s_cbranch_execz .LBB84_16
; %bb.15:                               ;   in Loop: Header=BB84_5 Depth=1
	v_lshl_add_u64 v[144:145], v[124:125], 0, v[4:5]
	global_load_ushort v0, v[144:145], off
	v_lshl_add_u64 v[144:145], v[126:127], 0, v[4:5]
	global_load_ushort v143, v[144:145], off
	s_waitcnt vmcnt(1)
	v_cvt_f32_f16_e32 v140, v0
	s_waitcnt vmcnt(0)
	v_cvt_f32_f16_e32 v145, v143
.LBB84_16:                              ;   in Loop: Header=BB84_5 Depth=1
	s_or_b64 exec, exec, s[36:37]
	v_lshl_add_u64 v[146:147], v[136:137], 0, 3
	v_cmp_gt_i64_e32 vcc, s[12:13], v[146:147]
	s_and_b64 s[38:39], s[6:7], vcc
	v_mov_b32_e32 v144, 0
	v_mov_b32_e32 v146, 0
	v_mov_b32_e32 v147, 0
	s_and_saveexec_b64 s[36:37], s[38:39]
	s_cbranch_execz .LBB84_18
; %bb.17:                               ;   in Loop: Header=BB84_5 Depth=1
	v_lshl_add_u64 v[146:147], v[120:121], 0, v[4:5]
	global_load_ushort v0, v[146:147], off
	v_lshl_add_u64 v[146:147], v[122:123], 0, v[4:5]
	global_load_ushort v143, v[146:147], off
	s_waitcnt vmcnt(1)
	v_cvt_f32_f16_e32 v146, v0
	s_waitcnt vmcnt(0)
	v_cvt_f32_f16_e32 v147, v143
.LBB84_18:                              ;   in Loop: Header=BB84_5 Depth=1
	s_or_b64 exec, exec, s[36:37]
	v_lshl_add_u64 v[150:151], v[136:137], 0, 4
	;; [unrolled: 36-line block ×15, first 2 shown]
	v_cmp_gt_i64_e32 vcc, s[12:13], v[210:211]
	s_and_b64 s[38:39], s[6:7], vcc
	v_mov_b32_e32 v207, 0
	s_and_saveexec_b64 s[36:37], s[38:39]
	s_cbranch_execz .LBB84_72
; %bb.71:                               ;   in Loop: Header=BB84_5 Depth=1
	v_lshl_add_u64 v[210:211], v[10:11], 0, v[4:5]
	global_load_ushort v0, v[210:211], off
	v_lshl_add_u64 v[210:211], v[12:13], 0, v[4:5]
	global_load_ushort v143, v[210:211], off
	s_waitcnt vmcnt(1)
	v_cvt_f32_f16_e32 v198, v0
	s_waitcnt vmcnt(0)
	v_cvt_f32_f16_e32 v207, v143
.LBB84_72:                              ;   in Loop: Header=BB84_5 Depth=1
	s_or_b64 exec, exec, s[36:37]
	v_lshl_add_u64 v[210:211], v[136:137], 0, 31
	v_cmp_gt_i64_e32 vcc, s[12:13], v[210:211]
	s_and_b64 s[38:39], s[6:7], vcc
	v_mov_b32_e32 v148, 0
	v_mov_b32_e32 v0, 0
	s_and_saveexec_b64 s[36:37], s[38:39]
	s_cbranch_execz .LBB84_74
; %bb.73:                               ;   in Loop: Header=BB84_5 Depth=1
	v_lshl_add_u64 v[210:211], v[6:7], 0, v[4:5]
	global_load_ushort v0, v[210:211], off
	v_lshl_add_u64 v[210:211], v[8:9], 0, v[4:5]
	global_load_ushort v143, v[210:211], off
	s_waitcnt vmcnt(1)
	v_cvt_f32_f16_e32 v148, v0
	s_waitcnt vmcnt(0)
	v_cvt_f32_f16_e32 v0, v143
.LBB84_74:                              ;   in Loop: Header=BB84_5 Depth=1
	s_or_b64 exec, exec, s[36:37]
	s_waitcnt vmcnt(1)
	ds_bpermute_b32 v143, v204, v199
	s_waitcnt vmcnt(0)
	ds_bpermute_b32 v161, v204, v149
	ds_bpermute_b32 v209, v204, v199 offset:4
	ds_bpermute_b32 v169, v204, v149 offset:4
	;; [unrolled: 1-line block ×3, first 2 shown]
	s_waitcnt lgkmcnt(4)
	v_sub_f32_e32 v139, v139, v143
	v_mul_f32_e32 v139, v138, v139
	s_waitcnt lgkmcnt(3)
	v_mul_f32_e32 v139, v139, v161
	ds_bpermute_b32 v161, v204, v149 offset:8
	s_waitcnt lgkmcnt(3)
	v_sub_f32_e32 v141, v141, v209
	v_mul_f32_e32 v141, v142, v141
	s_waitcnt lgkmcnt(2)
	v_mul_f32_e32 v143, v141, v169
	s_waitcnt lgkmcnt(1)
	v_sub_f32_e32 v141, v145, v210
	ds_bpermute_b32 v145, v204, v199 offset:12
	v_mul_f32_e32 v141, v140, v141
	s_waitcnt lgkmcnt(1)
	v_mul_f32_e32 v141, v141, v161
	ds_bpermute_b32 v161, v204, v149 offset:12
	ds_bpermute_b32 v169, v204, v199 offset:16
	s_waitcnt lgkmcnt(2)
	v_sub_f32_e32 v145, v147, v145
	v_mul_f32_e32 v145, v146, v145
	ds_bpermute_b32 v209, v204, v149 offset:16
	s_waitcnt lgkmcnt(2)
	v_mul_f32_e32 v147, v145, v161
	s_waitcnt lgkmcnt(1)
	v_sub_f32_e32 v145, v151, v169
	ds_bpermute_b32 v151, v204, v199 offset:20
	ds_bpermute_b32 v161, v204, v149 offset:20
	;; [unrolled: 1-line block ×3, first 2 shown]
	v_pk_add_f32 v[138:139], v[70:71], v[138:139]
	v_mul_f32_e32 v145, v144, v145
	s_waitcnt lgkmcnt(2)
	v_sub_f32_e32 v151, v153, v151
	v_mul_f32_e32 v151, v152, v151
	s_waitcnt lgkmcnt(1)
	v_mul_f32_e32 v153, v151, v161
	s_waitcnt lgkmcnt(0)
	v_sub_f32_e32 v151, v155, v169
	ds_bpermute_b32 v155, v204, v199 offset:28
	ds_bpermute_b32 v161, v204, v149 offset:28
	;; [unrolled: 1-line block ×3, first 2 shown]
	v_pk_add_f32 v[138:139], v[138:139], v[142:143]
	v_mul_f32_e32 v145, v145, v209
	s_waitcnt lgkmcnt(2)
	v_sub_f32_e32 v155, v157, v155
	ds_bpermute_b32 v157, v204, v149 offset:32
	v_mul_f32_e32 v155, v160, v155
	ds_bpermute_b32 v209, v204, v149 offset:24
	s_waitcnt lgkmcnt(3)
	v_mul_f32_e32 v161, v155, v161
	s_waitcnt lgkmcnt(2)
	v_sub_f32_e32 v155, v159, v169
	ds_bpermute_b32 v159, v204, v199 offset:36
	v_pk_add_f32 v[138:139], v[138:139], v[140:141]
	ds_bpermute_b32 v140, v204, v199 offset:44
	v_mul_f32_e32 v155, v154, v155
	s_waitcnt lgkmcnt(3)
	v_mul_f32_e32 v155, v155, v157
	ds_bpermute_b32 v157, v204, v149 offset:36
	ds_bpermute_b32 v141, v204, v149 offset:44
	v_mul_f32_e32 v151, v150, v151
	s_waitcnt lgkmcnt(4)
	v_mul_f32_e32 v151, v151, v209
	ds_bpermute_b32 v209, v204, v199 offset:40
	s_waitcnt lgkmcnt(4)
	v_sub_f32_e32 v159, v163, v159
	s_waitcnt lgkmcnt(3)
	v_sub_f32_e32 v140, v167, v140
	ds_bpermute_b32 v142, v204, v199 offset:48
	v_mul_f32_e32 v159, v168, v159
	v_mul_f32_e32 v140, v158, v140
	ds_bpermute_b32 v163, v204, v149 offset:40
	s_waitcnt lgkmcnt(4)
	v_mul_f32_e32 v169, v159, v157
	s_waitcnt lgkmcnt(3)
	v_mul_f32_e32 v159, v140, v141
	ds_bpermute_b32 v140, v204, v149 offset:48
	ds_bpermute_b32 v141, v204, v199 offset:52
	;; [unrolled: 1-line block ×3, first 2 shown]
	s_waitcnt lgkmcnt(5)
	v_sub_f32_e32 v157, v165, v209
	s_waitcnt lgkmcnt(4)
	v_sub_f32_e32 v142, v171, v142
	v_mul_f32_e32 v157, v164, v157
	v_mul_f32_e32 v142, v156, v142
	s_waitcnt lgkmcnt(3)
	v_mul_f32_e32 v165, v157, v163
	s_waitcnt lgkmcnt(2)
	;; [unrolled: 2-line block ×3, first 2 shown]
	v_sub_f32_e32 v140, v173, v141
	ds_bpermute_b32 v141, v204, v199 offset:56
	v_mul_f32_e32 v140, v166, v140
	s_waitcnt lgkmcnt(1)
	v_mul_f32_e32 v167, v140, v143
	ds_bpermute_b32 v140, v204, v149 offset:56
	ds_bpermute_b32 v142, v204, v199 offset:60
	ds_bpermute_b32 v143, v204, v149 offset:60
	s_waitcnt lgkmcnt(3)
	v_sub_f32_e32 v141, v175, v141
	v_mul_f32_e32 v141, v162, v141
	s_waitcnt lgkmcnt(2)
	v_mul_f32_e32 v163, v141, v140
	s_waitcnt lgkmcnt(1)
	v_sub_f32_e32 v140, v177, v142
	ds_bpermute_b32 v141, v204, v199 offset:64
	v_mul_f32_e32 v140, v172, v140
	s_waitcnt lgkmcnt(1)
	v_mul_f32_e32 v173, v140, v143
	ds_bpermute_b32 v140, v204, v149 offset:64
	ds_bpermute_b32 v142, v204, v199 offset:68
	ds_bpermute_b32 v143, v204, v149 offset:68
	s_waitcnt lgkmcnt(3)
	v_sub_f32_e32 v141, v179, v141
	v_mul_f32_e32 v141, v170, v141
	s_waitcnt lgkmcnt(2)
	v_mul_f32_e32 v171, v141, v140
	s_waitcnt lgkmcnt(1)
	;; [unrolled: 14-line block ×4, first 2 shown]
	v_sub_f32_e32 v140, v193, v142
	v_mul_f32_e32 v140, v188, v140
	s_waitcnt lgkmcnt(0)
	v_mul_f32_e32 v189, v140, v143
	ds_bpermute_b32 v140, v204, v199 offset:88
	ds_bpermute_b32 v141, v204, v149 offset:88
	;; [unrolled: 1-line block ×4, first 2 shown]
	v_pk_add_f32 v[138:139], v[138:139], v[146:147]
	s_waitcnt lgkmcnt(3)
	v_sub_f32_e32 v140, v187, v140
	v_mul_f32_e32 v140, v178, v140
	s_waitcnt lgkmcnt(2)
	v_mul_f32_e32 v179, v140, v141
	s_waitcnt lgkmcnt(1)
	v_sub_f32_e32 v140, v191, v142
	ds_bpermute_b32 v141, v204, v199 offset:96
	v_mul_f32_e32 v140, v186, v140
	s_waitcnt lgkmcnt(1)
	v_mul_f32_e32 v187, v140, v143
	ds_bpermute_b32 v140, v204, v149 offset:96
	ds_bpermute_b32 v142, v204, v199 offset:100
	;; [unrolled: 1-line block ×3, first 2 shown]
	s_waitcnt lgkmcnt(3)
	v_sub_f32_e32 v141, v195, v141
	v_pk_add_f32 v[138:139], v[138:139], v[144:145]
	v_mul_f32_e32 v141, v184, v141
	v_pk_add_f32 v[138:139], v[138:139], v[152:153]
	s_waitcnt lgkmcnt(2)
	v_mul_f32_e32 v185, v141, v140
	s_waitcnt lgkmcnt(1)
	v_sub_f32_e32 v140, v197, v142
	ds_bpermute_b32 v141, v204, v199 offset:104
	v_pk_add_f32 v[138:139], v[138:139], v[150:151]
	v_mul_f32_e32 v140, v192, v140
	v_pk_add_f32 v[138:139], v[138:139], v[160:161]
	s_waitcnt lgkmcnt(1)
	v_mul_f32_e32 v193, v140, v143
	ds_bpermute_b32 v140, v204, v149 offset:104
	ds_bpermute_b32 v142, v204, v199 offset:108
	v_pk_add_f32 v[138:139], v[138:139], v[154:155]
	ds_bpermute_b32 v143, v204, v149 offset:108
	v_pk_add_f32 v[138:139], v[138:139], v[168:169]
	s_waitcnt lgkmcnt(3)
	v_sub_f32_e32 v141, v201, v141
	v_pk_add_f32 v[138:139], v[138:139], v[164:165]
	v_mul_f32_e32 v141, v190, v141
	v_pk_add_f32 v[138:139], v[138:139], v[158:159]
	s_waitcnt lgkmcnt(2)
	v_mul_f32_e32 v191, v141, v140
	v_pk_add_f32 v[138:139], v[138:139], v[156:157]
	s_waitcnt lgkmcnt(1)
	v_sub_f32_e32 v140, v205, v142
	ds_bpermute_b32 v141, v204, v199 offset:112
	v_pk_add_f32 v[138:139], v[138:139], v[166:167]
	v_mul_f32_e32 v140, v196, v140
	v_pk_add_f32 v[138:139], v[138:139], v[162:163]
	s_waitcnt lgkmcnt(1)
	v_mul_f32_e32 v197, v140, v143
	ds_bpermute_b32 v140, v204, v149 offset:112
	ds_bpermute_b32 v142, v204, v199 offset:116
	v_pk_add_f32 v[138:139], v[138:139], v[172:173]
	ds_bpermute_b32 v143, v204, v149 offset:116
	v_pk_add_f32 v[138:139], v[138:139], v[170:171]
	s_waitcnt lgkmcnt(3)
	v_sub_f32_e32 v141, v206, v141
	v_pk_add_f32 v[138:139], v[138:139], v[176:177]
	v_mul_f32_e32 v141, v194, v141
	v_pk_add_f32 v[138:139], v[138:139], v[174:175]
	s_waitcnt lgkmcnt(2)
	v_mul_f32_e32 v195, v141, v140
	v_pk_add_f32 v[138:139], v[138:139], v[182:183]
	s_waitcnt lgkmcnt(1)
	v_sub_f32_e32 v140, v208, v142
	v_pk_add_f32 v[138:139], v[138:139], v[180:181]
	v_mul_f32_e32 v140, v200, v140
	v_pk_add_f32 v[138:139], v[138:139], v[188:189]
	s_waitcnt lgkmcnt(0)
	v_mul_f32_e32 v201, v140, v143
	ds_bpermute_b32 v140, v204, v199 offset:120
	v_pk_add_f32 v[138:139], v[138:139], v[178:179]
	ds_bpermute_b32 v142, v204, v149 offset:120
	v_pk_add_f32 v[138:139], v[138:139], v[186:187]
	;; [unrolled: 2-line block ×3, first 2 shown]
	s_waitcnt lgkmcnt(2)
	v_sub_f32_e32 v143, v207, v140
	v_pk_add_f32 v[138:139], v[138:139], v[192:193]
	ds_bpermute_b32 v140, v204, v149 offset:124
	v_pk_add_f32 v[138:139], v[138:139], v[190:191]
	v_mul_f32_e32 v143, v198, v143
	v_pk_add_f32 v[138:139], v[138:139], v[196:197]
	s_waitcnt lgkmcnt(2)
	v_mul_f32_e32 v199, v143, v142
	v_pk_add_f32 v[138:139], v[138:139], v[194:195]
	s_nop 0
	v_pk_add_f32 v[138:139], v[138:139], v[200:201]
	s_nop 0
	v_pk_add_f32 v[138:139], v[138:139], v[198:199]
	s_branch .LBB84_4
.LBB84_75:                              ;   in Loop: Header=BB84_5 Depth=1
                                        ; implicit-def: $vgpr138_vgpr139
                                        ; implicit-def: $vgpr140
                                        ; implicit-def: $vgpr148
                                        ; implicit-def: $vgpr0
                                        ; implicit-def: $vgpr141
	s_cbranch_execz .LBB84_4
; %bb.76:                               ;   in Loop: Header=BB84_5 Depth=1
	s_load_dword s9, s[26:27], 0x0
	v_mov_b32_e32 v138, 0
	v_mov_b32_e32 v149, 0
	;; [unrolled: 1-line block ×3, first 2 shown]
	s_waitcnt lgkmcnt(0)
	s_cmp_lt_u32 s2, s9
	s_cselect_b32 s9, 12, 18
	s_add_u32 s36, s26, s9
	s_addc_u32 s37, s27, 0
	global_load_ushort v0, v1, s[36:37]
	s_waitcnt vmcnt(0)
	v_mad_u32_u24 v0, v203, v0, v202
	v_and_b32_e32 v0, 63, v0
	v_cmp_gt_u32_e32 vcc, 32, v0
	s_and_saveexec_b64 s[36:37], vcc
	s_cbranch_execz .LBB84_80
; %bb.77:                               ;   in Loop: Header=BB84_5 Depth=1
	v_lshl_add_u64 v[136:137], v[136:137], 0, v[0:1]
	v_cmp_gt_i64_e32 vcc, s[12:13], v[136:137]
	v_mov_b32_e32 v197, 0
	v_mov_b32_e32 v149, 0
	s_and_saveexec_b64 s[38:39], vcc
	s_cbranch_execz .LBB84_79
; %bb.78:                               ;   in Loop: Header=BB84_5 Depth=1
	v_lshlrev_b64 v[136:137], 2, v[136:137]
	v_lshl_add_u64 v[140:141], s[22:23], 0, v[136:137]
	v_lshl_add_u64 v[136:137], s[20:21], 0, v[136:137]
	global_load_dword v197, v[136:137], off
	global_load_dword v149, v[140:141], off
.LBB84_79:                              ;   in Loop: Header=BB84_5 Depth=1
	s_or_b64 exec, exec, s[38:39]
.LBB84_80:                              ;   in Loop: Header=BB84_5 Depth=1
	s_or_b64 exec, exec, s[36:37]
	v_mov_b32_e32 v137, 0
	s_and_saveexec_b64 s[36:37], s[6:7]
	s_cbranch_execz .LBB84_82
; %bb.81:                               ;   in Loop: Header=BB84_5 Depth=1
	v_lshl_add_u64 v[136:137], v[132:133], 0, v[4:5]
	global_load_ushort v0, v[136:137], off
	v_lshl_add_u64 v[136:137], v[134:135], 0, v[4:5]
	global_load_ushort v136, v[136:137], off
	s_waitcnt vmcnt(1)
	v_cvt_f32_f16_e32 v138, v0
	s_waitcnt vmcnt(0)
	v_cvt_f32_f16_e32 v137, v136
.LBB84_82:                              ;   in Loop: Header=BB84_5 Depth=1
	s_or_b64 exec, exec, s[36:37]
	v_mov_b32_e32 v136, 0
	v_mov_b32_e32 v140, 0
	v_mov_b32_e32 v141, 0
	s_and_saveexec_b64 s[36:37], s[6:7]
	s_cbranch_execz .LBB84_84
; %bb.83:                               ;   in Loop: Header=BB84_5 Depth=1
	v_lshl_add_u64 v[140:141], v[128:129], 0, v[4:5]
	global_load_ushort v0, v[140:141], off
	v_lshl_add_u64 v[140:141], v[130:131], 0, v[4:5]
	global_load_ushort v139, v[140:141], off
	s_waitcnt vmcnt(1)
	v_cvt_f32_f16_e32 v140, v0
	s_waitcnt vmcnt(0)
	v_cvt_f32_f16_e32 v141, v139
.LBB84_84:                              ;   in Loop: Header=BB84_5 Depth=1
	s_or_b64 exec, exec, s[36:37]
	v_mov_b32_e32 v143, 0
	s_and_saveexec_b64 s[36:37], s[6:7]
	s_cbranch_execz .LBB84_86
; %bb.85:                               ;   in Loop: Header=BB84_5 Depth=1
	v_lshl_add_u64 v[142:143], v[124:125], 0, v[4:5]
	global_load_ushort v0, v[142:143], off
	v_lshl_add_u64 v[142:143], v[126:127], 0, v[4:5]
	global_load_ushort v139, v[142:143], off
	s_waitcnt vmcnt(1)
	v_cvt_f32_f16_e32 v136, v0
	s_waitcnt vmcnt(0)
	v_cvt_f32_f16_e32 v143, v139
.LBB84_86:                              ;   in Loop: Header=BB84_5 Depth=1
	s_or_b64 exec, exec, s[36:37]
	v_mov_b32_e32 v142, 0
	v_mov_b32_e32 v144, 0
	v_mov_b32_e32 v145, 0
	s_and_saveexec_b64 s[36:37], s[6:7]
	s_cbranch_execz .LBB84_88
; %bb.87:                               ;   in Loop: Header=BB84_5 Depth=1
	v_lshl_add_u64 v[144:145], v[120:121], 0, v[4:5]
	global_load_ushort v0, v[144:145], off
	v_lshl_add_u64 v[144:145], v[122:123], 0, v[4:5]
	global_load_ushort v139, v[144:145], off
	s_waitcnt vmcnt(1)
	v_cvt_f32_f16_e32 v144, v0
	s_waitcnt vmcnt(0)
	v_cvt_f32_f16_e32 v145, v139
.LBB84_88:                              ;   in Loop: Header=BB84_5 Depth=1
	;; [unrolled: 30-line block ×4, first 2 shown]
	s_or_b64 exec, exec, s[36:37]
	v_mov_b32_e32 v157, 0
	s_and_saveexec_b64 s[36:37], s[6:7]
	s_cbranch_execz .LBB84_98
; %bb.97:                               ;   in Loop: Header=BB84_5 Depth=1
	v_lshl_add_u64 v[156:157], v[100:101], 0, v[4:5]
	global_load_ushort v0, v[156:157], off
	v_lshl_add_u64 v[156:157], v[102:103], 0, v[4:5]
	global_load_ushort v139, v[156:157], off
	s_waitcnt vmcnt(1)
	v_cvt_f32_f16_e32 v156, v0
	s_waitcnt vmcnt(0)
	v_cvt_f32_f16_e32 v157, v139
.LBB84_98:                              ;   in Loop: Header=BB84_5 Depth=1
	s_or_b64 exec, exec, s[36:37]
	v_mov_b32_e32 v164, 0
	v_mov_b32_e32 v166, 0
	;; [unrolled: 1-line block ×3, first 2 shown]
	s_and_saveexec_b64 s[36:37], s[6:7]
	s_cbranch_execz .LBB84_100
; %bb.99:                               ;   in Loop: Header=BB84_5 Depth=1
	v_lshl_add_u64 v[160:161], v[96:97], 0, v[4:5]
	global_load_ushort v0, v[160:161], off
	v_lshl_add_u64 v[160:161], v[98:99], 0, v[4:5]
	global_load_ushort v139, v[160:161], off
	s_waitcnt vmcnt(1)
	v_cvt_f32_f16_e32 v166, v0
	s_waitcnt vmcnt(0)
	v_cvt_f32_f16_e32 v163, v139
.LBB84_100:                             ;   in Loop: Header=BB84_5 Depth=1
	s_or_b64 exec, exec, s[36:37]
	v_mov_b32_e32 v165, 0
	s_and_saveexec_b64 s[36:37], s[6:7]
	s_cbranch_execz .LBB84_102
; %bb.101:                              ;   in Loop: Header=BB84_5 Depth=1
	v_lshl_add_u64 v[160:161], v[92:93], 0, v[4:5]
	global_load_ushort v0, v[160:161], off
	v_lshl_add_u64 v[160:161], v[94:95], 0, v[4:5]
	global_load_ushort v139, v[160:161], off
	s_waitcnt vmcnt(1)
	v_cvt_f32_f16_e32 v164, v0
	s_waitcnt vmcnt(0)
	v_cvt_f32_f16_e32 v165, v139
.LBB84_102:                             ;   in Loop: Header=BB84_5 Depth=1
	s_or_b64 exec, exec, s[36:37]
	v_mov_b32_e32 v152, 0
	v_mov_b32_e32 v154, 0
	v_mov_b32_e32 v161, 0
	s_and_saveexec_b64 s[36:37], s[6:7]
	s_cbranch_execz .LBB84_104
; %bb.103:                              ;   in Loop: Header=BB84_5 Depth=1
	v_lshl_add_u64 v[160:161], v[88:89], 0, v[4:5]
	global_load_ushort v0, v[160:161], off
	v_lshl_add_u64 v[160:161], v[90:91], 0, v[4:5]
	global_load_ushort v139, v[160:161], off
	s_waitcnt vmcnt(1)
	v_cvt_f32_f16_e32 v154, v0
	s_waitcnt vmcnt(0)
	v_cvt_f32_f16_e32 v161, v139
.LBB84_104:                             ;   in Loop: Header=BB84_5 Depth=1
	s_or_b64 exec, exec, s[36:37]
	v_mov_b32_e32 v169, 0
	s_and_saveexec_b64 s[36:37], s[6:7]
	s_cbranch_execz .LBB84_106
; %bb.105:                              ;   in Loop: Header=BB84_5 Depth=1
	v_lshl_add_u64 v[168:169], v[84:85], 0, v[4:5]
	global_load_ushort v0, v[168:169], off
	v_lshl_add_u64 v[168:169], v[86:87], 0, v[4:5]
	global_load_ushort v139, v[168:169], off
	s_waitcnt vmcnt(1)
	v_cvt_f32_f16_e32 v152, v0
	s_waitcnt vmcnt(0)
	v_cvt_f32_f16_e32 v169, v139
.LBB84_106:                             ;   in Loop: Header=BB84_5 Depth=1
	s_or_b64 exec, exec, s[36:37]
	v_mov_b32_e32 v160, 0
	v_mov_b32_e32 v162, 0
	v_mov_b32_e32 v171, 0
	s_and_saveexec_b64 s[36:37], s[6:7]
	s_cbranch_execz .LBB84_108
; %bb.107:                              ;   in Loop: Header=BB84_5 Depth=1
	v_lshl_add_u64 v[170:171], v[80:81], 0, v[4:5]
	global_load_ushort v0, v[170:171], off
	v_lshl_add_u64 v[170:171], v[82:83], 0, v[4:5]
	global_load_ushort v139, v[170:171], off
	s_waitcnt vmcnt(1)
	v_cvt_f32_f16_e32 v162, v0
	s_waitcnt vmcnt(0)
	v_cvt_f32_f16_e32 v171, v139
.LBB84_108:                             ;   in Loop: Header=BB84_5 Depth=1
	;; [unrolled: 30-line block ×10, first 2 shown]
	s_or_b64 exec, exec, s[36:37]
	v_mov_b32_e32 v205, 0
	s_and_saveexec_b64 s[36:37], s[6:7]
	s_cbranch_execz .LBB84_142
; %bb.141:                              ;   in Loop: Header=BB84_5 Depth=1
	v_lshl_add_u64 v[208:209], v[10:11], 0, v[4:5]
	global_load_ushort v0, v[208:209], off
	v_lshl_add_u64 v[208:209], v[12:13], 0, v[4:5]
	global_load_ushort v139, v[208:209], off
	s_waitcnt vmcnt(1)
	v_cvt_f32_f16_e32 v196, v0
	s_waitcnt vmcnt(0)
	v_cvt_f32_f16_e32 v205, v139
.LBB84_142:                             ;   in Loop: Header=BB84_5 Depth=1
	s_or_b64 exec, exec, s[36:37]
	v_mov_b32_e32 v148, 0
	v_mov_b32_e32 v0, 0
	s_and_saveexec_b64 s[36:37], s[6:7]
	s_cbranch_execz .LBB84_3
; %bb.143:                              ;   in Loop: Header=BB84_5 Depth=1
	v_lshl_add_u64 v[208:209], v[6:7], 0, v[4:5]
	global_load_ushort v0, v[208:209], off
	v_lshl_add_u64 v[208:209], v[8:9], 0, v[4:5]
	global_load_ushort v139, v[208:209], off
	s_waitcnt vmcnt(1)
	v_cvt_f32_f16_e32 v148, v0
	s_waitcnt vmcnt(0)
	v_cvt_f32_f16_e32 v0, v139
	s_branch .LBB84_3
.LBB84_144:
                                        ; implicit-def: $vgpr70_vgpr71
	s_branch .LBB84_146
.LBB84_145:
	s_cbranch_execnz .LBB84_226
.LBB84_146:
	s_mov_b32 s7, 0
	s_mov_b32 s6, s7
	s_and_b64 vcc, exec, s[4:5]
	v_mov_b64_e32 v[70:71], s[6:7]
	s_cbranch_vccnz .LBB84_226
; %bb.147:
	v_and_b32_e32 v0, 0x3ff, v212
	v_accvgpr_write_b32 a1, v0
	v_add_u32_e32 v72, s3, v0
	v_mov_b32_e32 v73, 0
	v_bfe_u32 v0, v212, 10, 10
	v_lshlrev_b64 v[6:7], 1, v[72:73]
	v_lshlrev_b32_e32 v72, 6, v0
	v_lshlrev_b32_e32 v4, 5, v0
	v_accvgpr_write_b32 a4, v0
	v_lshl_add_u64 v[0:1], s[10:11], 1, v[72:73]
	v_lshl_add_u64 v[42:43], v[0:1], 0, 2
	v_mov_b64_e32 v[10:11], s[16:17]
	v_mad_u64_u32 v[2:3], s[24:25], s14, v42, v[10:11]
	v_mul_lo_u32 v43, s14, v43
	v_mul_lo_u32 v72, s15, v42
	v_add3_u32 v3, v72, v3, v43
	v_accvgpr_write_b32 a7, v3
	v_lshl_add_u64 v[50:51], v[0:1], 0, 4
	v_accvgpr_write_b32 a6, v2
	v_mad_u64_u32 v[2:3], s[26:27], s14, v50, v[10:11]
	v_mul_lo_u32 v51, s14, v51
	v_mul_lo_u32 v80, s15, v50
	v_add3_u32 v3, v80, v3, v51
	v_accvgpr_write_b32 a9, v3
	v_lshl_add_u64 v[52:53], v[0:1], 0, 6
	v_accvgpr_write_b32 a8, v2
	;; [unrolled: 7-line block ×29, first 2 shown]
	v_mad_u64_u32 v[2:3], s[26:27], s14, v8, v[10:11]
	v_mul_lo_u32 v132, s14, v9
	v_mul_lo_u32 v133, s15, v8
	v_add3_u32 v3, v133, v3, v132
	v_accvgpr_write_b32 a65, v3
	v_accvgpr_write_b32 a64, v2
	v_lshl_add_u64 v[2:3], v[0:1], 0, 62
	v_mad_u64_u32 v[0:1], s[26:27], s14, v2, v[10:11]
	v_mul_lo_u32 v134, s14, v3
	v_mul_lo_u32 v135, s15, v2
	v_add3_u32 v1, v135, v1, v134
	v_mov_b32_e32 v5, v73
	v_accvgpr_write_b32 a67, v1
	v_accvgpr_write_b32 a66, v0
	v_lshl_add_u64 v[0:1], v[4:5], 0, s[10:11]
	v_mul_lo_u32 v3, s15, v0
	v_mul_lo_u32 v9, s14, v1
	v_mad_u64_u32 v[10:11], s[26:27], s14, v0, 0
	v_add3_u32 v11, v11, v9, v3
	v_lshlrev_b64 v[10:11], 1, v[10:11]
	v_lshl_add_u64 v[70:71], s[16:17], 0, v[10:11]
	v_accvgpr_write_b32 a68, v70
	v_accvgpr_write_b32 a69, v71
	v_mov_b64_e32 v[70:71], s[18:19]
	v_mad_u64_u32 v[88:89], s[26:27], s14, v66, v[70:71]
	v_add3_u32 v89, v90, v89, v67
	v_mad_u64_u32 v[90:91], s[26:27], s14, v60, v[70:71]
	v_add3_u32 v91, v92, v91, v61
	;; [unrolled: 2-line block ×23, first 2 shown]
	v_lshl_add_u64 v[134:135], s[18:19], 0, v[10:11]
	v_lshl_add_u64 v[10:11], v[0:1], 0, 31
	v_mul_lo_u32 v2, s15, v10
	v_mul_lo_u32 v8, s14, v11
	v_mad_u64_u32 v[10:11], s[28:29], s14, v10, 0
	v_add3_u32 v11, v11, v8, v2
	v_lshlrev_b64 v[10:11], 1, v[10:11]
	v_lshl_add_u64 v[136:137], s[16:17], 0, v[10:11]
	v_lshl_add_u64 v[138:139], s[18:19], 0, v[10:11]
	v_lshl_add_u64 v[10:11], v[0:1], 0, 30
	v_mul_lo_u32 v2, s15, v10
	v_mul_lo_u32 v8, s14, v11
	v_mad_u64_u32 v[10:11], s[28:29], s14, v10, 0
	v_add3_u32 v11, v11, v8, v2
	v_lshlrev_b64 v[10:11], 1, v[10:11]
	v_lshl_add_u64 v[140:141], s[16:17], 0, v[10:11]
	;; [unrolled: 8-line block ×19, first 2 shown]
	v_lshl_add_u64 v[210:211], s[18:19], 0, v[10:11]
	v_lshl_add_u64 v[10:11], v[0:1], 0, 12
	v_mul_lo_u32 v2, s15, v10
	v_mul_lo_u32 v8, s14, v11
	v_mad_u64_u32 v[10:11], s[28:29], s14, v10, 0
	v_add3_u32 v11, v11, v8, v2
	v_lshlrev_b64 v[10:11], 1, v[10:11]
	v_accvgpr_write_b32 a0, v212
	v_lshl_add_u64 v[212:213], s[16:17], 0, v[10:11]
	v_lshl_add_u64 v[214:215], s[18:19], 0, v[10:11]
	v_lshl_add_u64 v[10:11], v[0:1], 0, 11
	v_mul_lo_u32 v2, s15, v10
	v_mul_lo_u32 v8, s14, v11
	v_mad_u64_u32 v[10:11], s[28:29], s14, v10, 0
	v_add3_u32 v11, v11, v8, v2
	v_lshlrev_b64 v[10:11], 1, v[10:11]
	v_lshl_add_u64 v[216:217], s[16:17], 0, v[10:11]
	v_lshl_add_u64 v[218:219], s[18:19], 0, v[10:11]
	v_lshl_add_u64 v[10:11], v[0:1], 0, 10
	v_mul_lo_u32 v2, s15, v10
	v_mul_lo_u32 v8, s14, v11
	v_mad_u64_u32 v[10:11], s[28:29], s14, v10, 0
	v_add3_u32 v11, v11, v8, v2
	v_lshlrev_b64 v[10:11], 1, v[10:11]
	;; [unrolled: 8-line block ×4, first 2 shown]
	v_lshl_add_u64 v[228:229], s[16:17], 0, v[10:11]
	v_lshl_add_u64 v[230:231], s[18:19], 0, v[10:11]
	;; [unrolled: 1-line block ×3, first 2 shown]
	v_mul_lo_u32 v2, s15, v10
	v_mul_lo_u32 v8, s14, v11
	v_mad_u64_u32 v[10:11], s[28:29], s14, v10, 0
	v_lshl_add_u64 v[12:13], v[0:1], 0, 6
	v_add3_u32 v11, v11, v8, v2
	v_mul_lo_u32 v2, s15, v12
	v_mul_lo_u32 v8, s14, v13
	v_mad_u64_u32 v[12:13], s[28:29], s14, v12, 0
	v_lshl_add_u64 v[14:15], v[0:1], 0, 5
	v_add3_u32 v13, v13, v8, v2
	;; [unrolled: 5-line block ×3, first 2 shown]
	v_mul_lo_u32 v2, s15, v16
	v_mul_lo_u32 v8, s14, v17
	v_mad_u64_u32 v[16:17], s[28:29], s14, v16, 0
	v_lshl_add_u64 v[18:19], v[0:1], 0, 3
	v_mad_u64_u32 v[82:83], s[26:27], s14, v42, v[70:71]
	v_add3_u32 v17, v17, v8, v2
	v_mul_lo_u32 v2, s15, v18
	v_mul_lo_u32 v8, s14, v19
	v_mad_u64_u32 v[18:19], s[28:29], s14, v18, 0
	v_lshl_add_u64 v[20:21], v[0:1], 0, 2
	v_add3_u32 v83, v72, v83, v43
	v_mad_u64_u32 v[42:43], s[26:27], s14, v50, v[70:71]
	v_add3_u32 v19, v19, v8, v2
	v_mul_lo_u32 v1, s15, v20
	v_mul_lo_u32 v2, s14, v21
	v_mad_u64_u32 v[20:21], s[28:29], s14, v20, 0
	v_mov_b64_e32 v[22:23], s[14:15]
	s_load_dword s3, s[0:1], 0x44
	v_add3_u32 v43, v80, v43, v51
	v_add3_u32 v21, v21, v2, v1
	v_mad_u64_u32 v[0:1], s[28:29], s14, v0, v[22:23]
	v_accvgpr_write_b32 a73, v43
	v_add3_u32 v1, v3, v1, v9
	v_lshlrev_b64 v[2:3], 1, v[14:15]
	v_accvgpr_write_b32 a72, v42
	v_mad_u64_u32 v[42:43], s[26:27], s14, v52, v[70:71]
	v_lshl_add_u64 v[240:241], s[16:17], 0, v[2:3]
	v_lshl_add_u64 v[242:243], s[18:19], 0, v[2:3]
	v_lshlrev_b64 v[2:3], 1, v[16:17]
	v_add3_u32 v43, v74, v43, v53
	v_lshl_add_u64 v[244:245], s[16:17], 0, v[2:3]
	v_lshl_add_u64 v[246:247], s[18:19], 0, v[2:3]
	v_lshlrev_b64 v[2:3], 1, v[18:19]
	s_add_u32 s4, s0, 64
	v_accvgpr_write_b32 a75, v43
	v_lshl_add_u64 v[248:249], s[16:17], 0, v[2:3]
	v_lshl_add_u64 v[250:251], s[18:19], 0, v[2:3]
	v_lshlrev_b64 v[2:3], 1, v[20:21]
	v_lshlrev_b64 v[0:1], 1, v[0:1]
	s_addc_u32 s5, s1, 0
	s_waitcnt lgkmcnt(0)
	s_lshl_b32 s6, s3, 5
	v_accvgpr_write_b32 a74, v42
	v_mad_u64_u32 v[42:43], s[26:27], s14, v54, v[70:71]
	v_lshl_add_u64 v[252:253], s[16:17], 0, v[2:3]
	v_lshl_add_u64 v[254:255], s[18:19], 0, v[2:3]
	;; [unrolled: 1-line block ×4, first 2 shown]
	v_mbcnt_lo_u32_b32 v0, -1, 0
	s_mul_i32 s3, s15, s6
	s_mul_hi_u32 s9, s14, s6
	v_accvgpr_write_b32 a70, v82
	v_add3_u32 v43, v75, v43, v55
	v_lshlrev_b64 v[10:11], 1, v[10:11]
	v_mbcnt_hi_u32_b32 v0, -1, v0
	s_add_i32 s25, s9, s3
	s_mul_i32 s24, s14, s6
	v_accvgpr_write_b32 a71, v83
	v_accvgpr_write_b32 a77, v43
	v_mad_u64_u32 v[80:81], s[26:27], s14, v58, v[70:71]
	v_mad_u64_u32 v[82:83], s[26:27], s14, v62, v[70:71]
	;; [unrolled: 1-line block ×4, first 2 shown]
	v_lshl_add_u64 v[232:233], s[16:17], 0, v[10:11]
	v_lshl_add_u64 v[234:235], s[18:19], 0, v[10:11]
	v_lshlrev_b64 v[10:11], 1, v[12:13]
	v_lshlrev_b32_e32 v0, 2, v0
	s_lshl_b64 s[24:25], s[24:25], 1
	v_accvgpr_write_b32 a76, v42
	v_add3_u32 v81, v76, v81, v59
	v_add3_u32 v83, v77, v83, v63
	;; [unrolled: 1-line block ×4, first 2 shown]
	s_mov_b64 s[26:27], 31
	v_lshl_add_u64 v[236:237], s[16:17], 0, v[10:11]
	v_lshl_add_u64 v[238:239], s[18:19], 0, v[10:11]
	v_and_b32_e32 v76, 0x100, v0
	v_mov_b32_e32 v0, v73
	v_accvgpr_write_b32 a3, v73
	v_mov_b32_e32 v1, v73
	s_mov_b64 s[16:17], s[10:11]
	s_branch .LBB84_151
.LBB84_148:                             ;   in Loop: Header=BB84_151 Depth=1
	s_or_b64 exec, exec, s[28:29]
.LBB84_149:                             ;   in Loop: Header=BB84_151 Depth=1
	s_or_b64 exec, exec, s[18:19]
	v_accvgpr_read_b32 v10, a68
	v_accvgpr_read_b32 v11, a69
	v_lshl_add_u64 v[10:11], v[10:11], 0, v[6:7]
	v_lshl_add_u64 v[12:13], v[134:135], 0, v[6:7]
	global_load_ushort v10, v[10:11], off
	v_lshl_add_u64 v[68:69], v[130:131], 0, v[6:7]
	global_load_ushort v11, v[12:13], off
	v_accvgpr_read_b32 v13, a7
	v_accvgpr_read_b32 v12, a6
	v_lshl_add_u64 v[12:13], v[12:13], 0, v[6:7]
	global_load_ushort v12, v[12:13], off
	s_waitcnt vmcnt(3)
	ds_bpermute_b32 v67, v76, v57
	s_waitcnt vmcnt(2)
	v_cvt_f32_f16_e32 v10, v10
	s_waitcnt vmcnt(1)
	v_cvt_f32_f16_e32 v11, v11
	;; [unrolled: 2-line block ×3, first 2 shown]
	v_accvgpr_read_b32 v12, a70
	v_accvgpr_read_b32 v13, a71
	v_lshl_add_u64 v[12:13], v[12:13], 0, v[6:7]
	global_load_ushort v12, v[12:13], off
	s_waitcnt vmcnt(0)
	v_cvt_f32_f16_e32 v37, v12
	v_accvgpr_read_b32 v13, a9
	v_accvgpr_read_b32 v12, a8
	v_lshl_add_u64 v[12:13], v[12:13], 0, v[6:7]
	global_load_ushort v12, v[12:13], off
	s_waitcnt vmcnt(0)
	v_cvt_f32_f16_e32 v38, v12
	;; [unrolled: 6-line block ×8, first 2 shown]
	v_lshl_add_u64 v[12:13], v[80:81], 0, v[6:7]
	global_load_ushort v12, v[12:13], off
	s_waitcnt vmcnt(0)
	v_cvt_f32_f16_e32 v45, v12
	v_accvgpr_read_b32 v12, a16
	v_accvgpr_read_b32 v13, a17
	v_lshl_add_u64 v[12:13], v[12:13], 0, v[6:7]
	global_load_ushort v12, v[12:13], off
	s_waitcnt vmcnt(0)
	v_cvt_f32_f16_e32 v46, v12
	v_lshl_add_u64 v[12:13], v[82:83], 0, v[6:7]
	global_load_ushort v12, v[12:13], off
	s_waitcnt vmcnt(0)
	v_cvt_f32_f16_e32 v47, v12
	v_accvgpr_read_b32 v12, a18
	v_accvgpr_read_b32 v13, a19
	v_lshl_add_u64 v[12:13], v[12:13], 0, v[6:7]
	global_load_ushort v12, v[12:13], off
	s_waitcnt vmcnt(0)
	v_cvt_f32_f16_e32 v48, v12
	;; [unrolled: 10-line block ×21, first 2 shown]
	v_accvgpr_write_b32 a82, v12
	v_lshl_add_u64 v[12:13], v[122:123], 0, v[6:7]
	global_load_ushort v12, v[12:13], off
	s_waitcnt vmcnt(0)
	v_cvt_f32_f16_e32 v62, v12
	v_accvgpr_read_b32 v12, a58
	v_accvgpr_read_b32 v13, a59
	v_lshl_add_u64 v[12:13], v[12:13], 0, v[6:7]
	global_load_ushort v12, v[12:13], off
	s_waitcnt vmcnt(0)
	v_cvt_f32_f16_e32 v12, v12
	v_accvgpr_write_b32 a80, v12
	v_lshl_add_u64 v[12:13], v[124:125], 0, v[6:7]
	global_load_ushort v12, v[12:13], off
	s_waitcnt vmcnt(0)
	v_cvt_f32_f16_e32 v77, v12
	v_accvgpr_read_b32 v12, a60
	v_accvgpr_read_b32 v13, a61
	v_lshl_add_u64 v[12:13], v[12:13], 0, v[6:7]
	global_load_ushort v12, v[12:13], off
	s_waitcnt vmcnt(0)
	v_cvt_f32_f16_e32 v12, v12
	;; [unrolled: 11-line block ×3, first 2 shown]
	v_lshl_add_u64 v[12:13], v[128:129], 0, v[6:7]
	global_load_ushort v12, v[12:13], off
	s_waitcnt vmcnt(0)
	v_cvt_f32_f16_e32 v59, v12
	v_accvgpr_read_b32 v12, a64
	v_accvgpr_read_b32 v13, a65
	v_lshl_add_u64 v[12:13], v[12:13], 0, v[6:7]
	global_load_ushort v12, v[12:13], off
	s_waitcnt vmcnt(0)
	v_cvt_f32_f16_e32 v12, v12
	global_load_ushort v13, v[68:69], off
	v_accvgpr_read_b32 v69, a67
	v_accvgpr_read_b32 v68, a66
	v_lshl_add_u64 v[68:69], v[68:69], 0, v[6:7]
	global_load_ushort v58, v[68:69], off
	v_lshl_add_u64 v[68:69], v[132:133], 0, v[6:7]
	s_waitcnt vmcnt(1)
	v_cvt_f32_f16_e32 v13, v13
	s_waitcnt vmcnt(0)
	v_cvt_f32_f16_e32 v58, v58
	v_accvgpr_write_b32 a2, v58
	global_load_ushort v58, v[68:69], off
	ds_bpermute_b32 v68, v76, v56
	s_waitcnt lgkmcnt(0)
	v_sub_f32_e32 v11, v11, v68
	v_mul_f32_e32 v11, v11, v10
	v_mul_f32_e32 v11, v11, v67
	v_pk_add_f32 v[0:1], v[0:1], v[10:11]
	ds_bpermute_b32 v11, v76, v56 offset:44
	ds_bpermute_b32 v10, v76, v57 offset:44
	;; [unrolled: 1-line block ×4, first 2 shown]
	s_waitcnt lgkmcnt(3)
	v_sub_f32_e32 v11, v15, v11
	v_mul_f32_e32 v11, v11, v14
	s_waitcnt lgkmcnt(2)
	v_mul_f32_e32 v15, v11, v10
	ds_bpermute_b32 v11, v76, v56 offset:48
	ds_bpermute_b32 v10, v76, v57 offset:48
	s_waitcnt lgkmcnt(3)
	v_sub_f32_e32 v37, v37, v68
	ds_bpermute_b32 v68, v76, v56 offset:8
	v_mul_f32_e32 v37, v37, v36
	s_waitcnt lgkmcnt(2)
	v_sub_f32_e32 v11, v17, v11
	v_mul_f32_e32 v11, v11, v16
	s_waitcnt lgkmcnt(1)
	v_mul_f32_e32 v17, v11, v10
	ds_bpermute_b32 v11, v76, v56 offset:52
	ds_bpermute_b32 v10, v76, v57 offset:52
	v_mul_f32_e32 v37, v37, v67
	ds_bpermute_b32 v67, v76, v57 offset:8
	s_waitcnt lgkmcnt(3)
	v_sub_f32_e32 v39, v39, v68
	s_waitcnt lgkmcnt(2)
	v_sub_f32_e32 v11, v19, v11
	v_mul_f32_e32 v11, v11, v18
	s_waitcnt lgkmcnt(1)
	v_mul_f32_e32 v19, v11, v10
	ds_bpermute_b32 v11, v76, v56 offset:56
	ds_bpermute_b32 v10, v76, v57 offset:56
	;; [unrolled: 1-line block ×3, first 2 shown]
	v_mul_f32_e32 v39, v39, v38
	s_waitcnt lgkmcnt(3)
	v_mul_f32_e32 v39, v39, v67
	s_waitcnt lgkmcnt(2)
	v_sub_f32_e32 v11, v21, v11
	v_mul_f32_e32 v11, v11, v20
	s_waitcnt lgkmcnt(1)
	v_mul_f32_e32 v21, v11, v10
	ds_bpermute_b32 v11, v76, v56 offset:60
	ds_bpermute_b32 v10, v76, v57 offset:60
	;; [unrolled: 1-line block ×3, first 2 shown]
	s_waitcnt lgkmcnt(3)
	v_sub_f32_e32 v41, v41, v68
	ds_bpermute_b32 v68, v76, v56 offset:16
	s_waitcnt lgkmcnt(3)
	v_sub_f32_e32 v11, v23, v11
	v_mul_f32_e32 v11, v11, v22
	s_waitcnt lgkmcnt(2)
	v_mul_f32_e32 v23, v11, v10
	ds_bpermute_b32 v11, v76, v56 offset:64
	ds_bpermute_b32 v10, v76, v57 offset:64
	v_mul_f32_e32 v41, v41, v40
	s_waitcnt lgkmcnt(3)
	v_mul_f32_e32 v41, v41, v67
	ds_bpermute_b32 v67, v76, v57 offset:16
	s_waitcnt lgkmcnt(2)
	v_sub_f32_e32 v11, v25, v11
	v_mul_f32_e32 v11, v11, v24
	s_waitcnt lgkmcnt(1)
	v_mul_f32_e32 v25, v11, v10
	ds_bpermute_b32 v11, v76, v56 offset:68
	ds_bpermute_b32 v10, v76, v57 offset:68
	v_sub_f32_e32 v43, v43, v68
	ds_bpermute_b32 v68, v76, v56 offset:20
	v_mul_f32_e32 v43, v43, v42
	s_waitcnt lgkmcnt(2)
	v_sub_f32_e32 v11, v27, v11
	v_mul_f32_e32 v11, v11, v26
	s_waitcnt lgkmcnt(1)
	v_mul_f32_e32 v27, v11, v10
	ds_bpermute_b32 v11, v76, v56 offset:72
	ds_bpermute_b32 v10, v76, v57 offset:72
	v_mul_f32_e32 v43, v43, v67
	ds_bpermute_b32 v67, v76, v57 offset:20
	s_waitcnt lgkmcnt(3)
	v_sub_f32_e32 v45, v45, v68
	s_waitcnt lgkmcnt(2)
	v_sub_f32_e32 v11, v29, v11
	v_mul_f32_e32 v11, v11, v28
	s_waitcnt lgkmcnt(1)
	v_mul_f32_e32 v29, v11, v10
	ds_bpermute_b32 v11, v76, v56 offset:76
	ds_bpermute_b32 v10, v76, v57 offset:76
	;; [unrolled: 1-line block ×3, first 2 shown]
	v_mul_f32_e32 v45, v45, v44
	s_waitcnt lgkmcnt(3)
	v_mul_f32_e32 v45, v45, v67
	s_waitcnt lgkmcnt(2)
	v_sub_f32_e32 v11, v31, v11
	v_mul_f32_e32 v11, v11, v30
	s_waitcnt lgkmcnt(1)
	v_mul_f32_e32 v31, v11, v10
	ds_bpermute_b32 v11, v76, v56 offset:80
	ds_bpermute_b32 v10, v76, v57 offset:80
	;; [unrolled: 1-line block ×3, first 2 shown]
	s_waitcnt lgkmcnt(3)
	v_sub_f32_e32 v47, v47, v68
	ds_bpermute_b32 v68, v76, v56 offset:28
	s_waitcnt lgkmcnt(3)
	v_sub_f32_e32 v11, v33, v11
	v_mul_f32_e32 v11, v11, v32
	s_waitcnt lgkmcnt(2)
	v_mul_f32_e32 v33, v11, v10
	ds_bpermute_b32 v11, v76, v56 offset:84
	ds_bpermute_b32 v10, v76, v57 offset:84
	v_mul_f32_e32 v47, v47, v46
	s_waitcnt lgkmcnt(3)
	v_mul_f32_e32 v47, v47, v67
	ds_bpermute_b32 v67, v76, v57 offset:28
	s_waitcnt lgkmcnt(2)
	v_sub_f32_e32 v11, v35, v11
	v_mul_f32_e32 v11, v11, v34
	s_waitcnt lgkmcnt(1)
	v_mul_f32_e32 v35, v11, v10
	ds_bpermute_b32 v11, v76, v56 offset:88
	ds_bpermute_b32 v10, v76, v57 offset:88
	v_sub_f32_e32 v49, v49, v68
	ds_bpermute_b32 v68, v76, v56 offset:32
	v_mul_f32_e32 v49, v49, v48
	s_waitcnt lgkmcnt(2)
	v_sub_f32_e32 v11, v66, v11
	v_mul_f32_e32 v11, v11, v72
	s_waitcnt lgkmcnt(1)
	v_mul_f32_e32 v73, v11, v10
	ds_bpermute_b32 v11, v76, v56 offset:92
	ds_bpermute_b32 v10, v76, v57 offset:92
	v_mul_f32_e32 v49, v49, v67
	ds_bpermute_b32 v67, v76, v57 offset:32
	s_waitcnt lgkmcnt(3)
	v_sub_f32_e32 v51, v51, v68
	s_waitcnt lgkmcnt(2)
	v_sub_f32_e32 v11, v65, v11
	v_mul_f32_e32 v11, v11, v74
	s_waitcnt lgkmcnt(1)
	v_mul_f32_e32 v75, v11, v10
	ds_bpermute_b32 v11, v76, v56 offset:96
	ds_bpermute_b32 v10, v76, v57 offset:96
	ds_bpermute_b32 v68, v76, v56 offset:36
	v_mul_f32_e32 v51, v51, v50
	s_waitcnt lgkmcnt(3)
	v_mul_f32_e32 v51, v51, v67
	s_waitcnt lgkmcnt(2)
	v_sub_f32_e32 v11, v64, v11
	v_mul_f32_e32 v11, v11, v78
	ds_bpermute_b32 v67, v76, v57 offset:36
	s_waitcnt lgkmcnt(2)
	v_mul_f32_e32 v79, v11, v10
	ds_bpermute_b32 v11, v76, v56 offset:100
	v_pk_add_f32 v[0:1], v[0:1], v[36:37]
	ds_bpermute_b32 v10, v76, v57 offset:100
	s_waitcnt lgkmcnt(3)
	v_sub_f32_e32 v53, v53, v68
	ds_bpermute_b32 v68, v76, v56 offset:40
	v_pk_add_f32 v[0:1], v[0:1], v[38:39]
	v_mul_f32_e32 v53, v53, v52
	v_pk_add_f32 v[0:1], v[0:1], v[40:41]
	s_waitcnt lgkmcnt(3)
	v_mul_f32_e32 v53, v53, v67
	ds_bpermute_b32 v67, v76, v57 offset:40
	v_pk_add_f32 v[0:1], v[0:1], v[42:43]
	s_waitcnt lgkmcnt(3)
	v_sub_f32_e32 v11, v63, v11
	v_pk_add_f32 v[0:1], v[0:1], v[44:45]
	v_mul_f32_e32 v11, v11, v60
	v_pk_add_f32 v[0:1], v[0:1], v[46:47]
	s_waitcnt lgkmcnt(2)
	v_mul_f32_e32 v61, v11, v10
	ds_bpermute_b32 v11, v76, v56 offset:104
	s_waitcnt lgkmcnt(2)
	v_sub_f32_e32 v55, v55, v68
	v_pk_add_f32 v[0:1], v[0:1], v[48:49]
	v_mul_f32_e32 v55, v55, v54
	v_pk_add_f32 v[0:1], v[0:1], v[50:51]
	ds_bpermute_b32 v10, v76, v57 offset:104
	s_waitcnt lgkmcnt(2)
	v_mul_f32_e32 v55, v55, v67
	v_pk_add_f32 v[0:1], v[0:1], v[52:53]
	s_waitcnt lgkmcnt(1)
	v_sub_f32_e32 v11, v62, v11
	v_pk_add_f32 v[0:1], v[0:1], v[54:55]
	s_waitcnt vmcnt(0)
	v_cvt_f32_f16_e32 v58, v58
	v_pk_add_f32 v[0:1], v[0:1], v[14:15]
	v_accvgpr_read_b32 v14, a82
	v_mul_f32_e32 v11, v11, v14
	s_waitcnt lgkmcnt(0)
	v_mul_f32_e32 v15, v11, v10
	ds_bpermute_b32 v11, v76, v56 offset:108
	ds_bpermute_b32 v10, v76, v57 offset:108
	v_pk_add_f32 v[0:1], v[0:1], v[16:17]
	v_accvgpr_read_b32 v16, a80
	v_pk_add_f32 v[0:1], v[0:1], v[18:19]
	s_waitcnt lgkmcnt(1)
	v_sub_f32_e32 v11, v77, v11
	v_mul_f32_e32 v11, v11, v16
	s_waitcnt lgkmcnt(0)
	v_mul_f32_e32 v17, v11, v10
	ds_bpermute_b32 v11, v76, v56 offset:112
	ds_bpermute_b32 v10, v76, v57 offset:112
	v_accvgpr_read_b32 v18, a78
	v_pk_add_f32 v[0:1], v[0:1], v[20:21]
	s_waitcnt lgkmcnt(1)
	v_sub_f32_e32 v11, v71, v11
	v_mul_f32_e32 v11, v11, v18
	s_waitcnt lgkmcnt(0)
	v_mul_f32_e32 v19, v11, v10
	ds_bpermute_b32 v11, v76, v56 offset:116
	ds_bpermute_b32 v10, v76, v57 offset:116
	v_pk_add_f32 v[0:1], v[0:1], v[22:23]
	s_waitcnt lgkmcnt(1)
	v_sub_f32_e32 v11, v59, v11
	v_pk_add_f32 v[0:1], v[0:1], v[24:25]
	v_mul_f32_e32 v11, v11, v70
	v_pk_add_f32 v[0:1], v[0:1], v[26:27]
	s_waitcnt lgkmcnt(0)
	v_mul_f32_e32 v71, v11, v10
	v_pk_add_f32 v[0:1], v[0:1], v[28:29]
	ds_bpermute_b32 v11, v76, v56 offset:120
	v_pk_add_f32 v[0:1], v[0:1], v[30:31]
	ds_bpermute_b32 v10, v76, v57 offset:120
	v_pk_add_f32 v[0:1], v[0:1], v[32:33]
	s_waitcnt lgkmcnt(1)
	v_sub_f32_e32 v11, v13, v11
	v_pk_add_f32 v[0:1], v[0:1], v[34:35]
	v_mul_f32_e32 v11, v11, v12
	v_pk_add_f32 v[0:1], v[0:1], v[72:73]
	s_waitcnt lgkmcnt(0)
	v_mul_f32_e32 v13, v11, v10
	v_pk_add_f32 v[0:1], v[0:1], v[74:75]
	ds_bpermute_b32 v11, v76, v56 offset:124
	v_pk_add_f32 v[0:1], v[0:1], v[78:79]
	ds_bpermute_b32 v10, v76, v57 offset:124
	v_pk_add_f32 v[0:1], v[0:1], v[60:61]
	s_waitcnt lgkmcnt(1)
	v_sub_f32_e32 v11, v58, v11
	v_pk_add_f32 v[0:1], v[0:1], v[14:15]
	s_nop 0
	v_pk_add_f32 v[0:1], v[0:1], v[16:17]
	s_nop 0
	v_pk_add_f32 v[0:1], v[0:1], v[18:19]
	s_nop 0
	v_pk_add_f32 v[0:1], v[0:1], v[70:71]
	s_nop 0
	v_pk_add_f32 v[0:1], v[0:1], v[12:13]
	v_accvgpr_read_b32 v12, a2
	v_mul_f32_e32 v11, v11, v12
	s_waitcnt lgkmcnt(0)
	v_mul_f32_e32 v13, v11, v10
	v_pk_add_f32 v[70:71], v[0:1], v[12:13]
.LBB84_150:                             ;   in Loop: Header=BB84_151 Depth=1
	s_add_u32 s16, s16, s6
	s_addc_u32 s17, s17, 0
	v_mov_b64_e32 v[0:1], s[12:13]
	v_cmp_ge_i64_e32 vcc, s[16:17], v[0:1]
	v_accvgpr_read_b32 v0, a6
	v_accvgpr_read_b32 v1, a7
	v_lshl_add_u64 v[0:1], v[0:1], 0, s[24:25]
	v_accvgpr_write_b32 a7, v1
	v_accvgpr_write_b32 a6, v0
	v_accvgpr_read_b32 v0, a8
	v_accvgpr_read_b32 v1, a9
	v_lshl_add_u64 v[0:1], v[0:1], 0, s[24:25]
	v_accvgpr_write_b32 a9, v1
	v_accvgpr_write_b32 a8, v0
	;; [unrolled: 5-line block ×35, first 2 shown]
	v_accvgpr_read_b32 v0, a76
	v_accvgpr_read_b32 v1, a77
	v_lshl_add_u64 v[0:1], v[0:1], 0, s[24:25]
	v_accvgpr_write_b32 a77, v1
	s_add_u32 s26, s26, s6
	v_lshl_add_u64 v[4:5], v[4:5], 0, s[6:7]
	v_accvgpr_write_b32 a76, v0
	v_lshl_add_u64 v[80:81], v[80:81], 0, s[24:25]
	v_lshl_add_u64 v[82:83], v[82:83], 0, s[24:25]
	;; [unrolled: 1-line block ×90, first 2 shown]
	s_addc_u32 s27, s27, 0
	v_mov_b32_e32 v0, v70
	v_mov_b32_e32 v1, v71
	s_cbranch_vccnz .LBB84_225
.LBB84_151:                             ; =>This Inner Loop Header: Depth=1
	s_add_u32 s18, s10, s26
	s_addc_u32 s19, 0, s27
	v_mov_b64_e32 v[10:11], s[12:13]
	v_cmp_ge_i64_e32 vcc, s[18:19], v[10:11]
	v_lshl_add_u64 v[12:13], s[10:11], 0, v[4:5]
	s_cbranch_vccz .LBB84_221
; %bb.152:                              ;   in Loop: Header=BB84_151 Depth=1
	s_load_dword s3, s[4:5], 0xc
	v_accvgpr_read_b32 v10, a1
	v_accvgpr_read_b32 v11, a4
	v_mov_b32_e32 v22, 0
	v_mov_b32_e32 v77, 0
	s_waitcnt lgkmcnt(0)
	s_and_b32 s3, s3, 0xffff
	v_mad_u32_u24 v10, v11, s3, v10
	v_and_b32_e32 v10, 63, v10
	v_accvgpr_read_b32 v11, a3
	v_accvgpr_write_b32 a2, v10
	v_accvgpr_write_b32 a3, v11
	v_cmp_gt_u32_e32 vcc, 32, v10
	v_mov_b32_e32 v57, 0
	s_and_saveexec_b64 s[18:19], vcc
	s_cbranch_execz .LBB84_156
; %bb.153:                              ;   in Loop: Header=BB84_151 Depth=1
	v_accvgpr_read_b32 v11, a3
	v_accvgpr_read_b32 v10, a2
	v_lshl_add_u64 v[10:11], v[12:13], 0, v[10:11]
	v_cmp_gt_i64_e32 vcc, s[12:13], v[10:11]
	v_mov_b32_e32 v57, 0
	v_mov_b32_e32 v77, 0
	s_and_saveexec_b64 s[28:29], vcc
	s_cbranch_execz .LBB84_155
; %bb.154:                              ;   in Loop: Header=BB84_151 Depth=1
	v_lshlrev_b64 v[10:11], 2, v[10:11]
	v_lshl_add_u64 v[14:15], s[22:23], 0, v[10:11]
	v_lshl_add_u64 v[10:11], s[20:21], 0, v[10:11]
	global_load_dword v57, v[10:11], off
	global_load_dword v77, v[14:15], off
.LBB84_155:                             ;   in Loop: Header=BB84_151 Depth=1
	s_or_b64 exec, exec, s[28:29]
.LBB84_156:                             ;   in Loop: Header=BB84_151 Depth=1
	s_or_b64 exec, exec, s[18:19]
	v_cmp_gt_i64_e32 vcc, s[12:13], v[12:13]
	v_mov_b32_e32 v23, 0
	s_and_saveexec_b64 s[18:19], vcc
	s_cbranch_execz .LBB84_158
; %bb.157:                              ;   in Loop: Header=BB84_151 Depth=1
	v_accvgpr_read_b32 v10, a68
	v_accvgpr_read_b32 v11, a69
	v_lshl_add_u64 v[10:11], v[10:11], 0, v[6:7]
	global_load_ushort v14, v[10:11], off
	v_lshl_add_u64 v[10:11], v[134:135], 0, v[6:7]
	global_load_ushort v10, v[10:11], off
	s_waitcnt vmcnt(1)
	v_cvt_f32_f16_e32 v22, v14
	s_waitcnt vmcnt(0)
	v_cvt_f32_f16_e32 v23, v10
.LBB84_158:                             ;   in Loop: Header=BB84_151 Depth=1
	s_or_b64 exec, exec, s[18:19]
	v_lshl_add_u64 v[10:11], v[12:13], 0, 1
	v_cmp_gt_i64_e32 vcc, s[12:13], v[10:11]
	v_mov_b32_e32 v34, 0
	v_mov_b32_e32 v38, 0
	v_mov_b32_e32 v39, 0
	s_and_saveexec_b64 s[18:19], vcc
	s_cbranch_execz .LBB84_160
; %bb.159:                              ;   in Loop: Header=BB84_151 Depth=1
	v_lshl_add_u64 v[10:11], v[2:3], 0, v[6:7]
	global_load_ushort v14, v[10:11], off
	v_lshl_add_u64 v[10:11], v[8:9], 0, v[6:7]
	global_load_ushort v10, v[10:11], off
	s_waitcnt vmcnt(1)
	v_cvt_f32_f16_e32 v38, v14
	s_waitcnt vmcnt(0)
	v_cvt_f32_f16_e32 v39, v10
.LBB84_160:                             ;   in Loop: Header=BB84_151 Depth=1
	s_or_b64 exec, exec, s[18:19]
	v_lshl_add_u64 v[10:11], v[12:13], 0, 2
	v_cmp_gt_i64_e32 vcc, s[12:13], v[10:11]
	v_mov_b32_e32 v35, 0
	s_and_saveexec_b64 s[18:19], vcc
	s_cbranch_execz .LBB84_162
; %bb.161:                              ;   in Loop: Header=BB84_151 Depth=1
	v_lshl_add_u64 v[10:11], v[252:253], 0, v[6:7]
	global_load_ushort v14, v[10:11], off
	v_lshl_add_u64 v[10:11], v[254:255], 0, v[6:7]
	global_load_ushort v10, v[10:11], off
	s_waitcnt vmcnt(1)
	v_cvt_f32_f16_e32 v34, v14
	s_waitcnt vmcnt(0)
	v_cvt_f32_f16_e32 v35, v10
.LBB84_162:                             ;   in Loop: Header=BB84_151 Depth=1
	s_or_b64 exec, exec, s[18:19]
	v_lshl_add_u64 v[10:11], v[12:13], 0, 3
	v_cmp_gt_i64_e32 vcc, s[12:13], v[10:11]
	v_mov_b32_e32 v46, 0
	v_mov_b32_e32 v50, 0
	v_mov_b32_e32 v51, 0
	s_and_saveexec_b64 s[18:19], vcc
	s_cbranch_execz .LBB84_164
; %bb.163:                              ;   in Loop: Header=BB84_151 Depth=1
	v_lshl_add_u64 v[10:11], v[248:249], 0, v[6:7]
	global_load_ushort v14, v[10:11], off
	v_lshl_add_u64 v[10:11], v[250:251], 0, v[6:7]
	global_load_ushort v10, v[10:11], off
	s_waitcnt vmcnt(1)
	v_cvt_f32_f16_e32 v50, v14
	s_waitcnt vmcnt(0)
	v_cvt_f32_f16_e32 v51, v10
.LBB84_164:                             ;   in Loop: Header=BB84_151 Depth=1
	s_or_b64 exec, exec, s[18:19]
	v_lshl_add_u64 v[10:11], v[12:13], 0, 4
	v_cmp_gt_i64_e32 vcc, s[12:13], v[10:11]
	v_mov_b32_e32 v47, 0
	s_and_saveexec_b64 s[18:19], vcc
	s_cbranch_execz .LBB84_166
; %bb.165:                              ;   in Loop: Header=BB84_151 Depth=1
	v_lshl_add_u64 v[10:11], v[244:245], 0, v[6:7]
	global_load_ushort v14, v[10:11], off
	v_lshl_add_u64 v[10:11], v[246:247], 0, v[6:7]
	global_load_ushort v10, v[10:11], off
	s_waitcnt vmcnt(1)
	v_cvt_f32_f16_e32 v46, v14
	s_waitcnt vmcnt(0)
	v_cvt_f32_f16_e32 v47, v10
.LBB84_166:                             ;   in Loop: Header=BB84_151 Depth=1
	;; [unrolled: 34-line block ×15, first 2 shown]
	s_or_b64 exec, exec, s[18:19]
	v_lshl_add_u64 v[78:79], v[12:13], 0, 31
	v_accvgpr_write_b32 a2, v56
	v_cmp_gt_i64_e32 vcc, s[12:13], v[78:79]
	v_mov_b32_e32 v56, 0
	v_mov_b32_e32 v79, 0
	s_and_saveexec_b64 s[18:19], vcc
	s_cbranch_execz .LBB84_220
; %bb.219:                              ;   in Loop: Header=BB84_151 Depth=1
	v_lshl_add_u64 v[78:79], v[136:137], 0, v[6:7]
	global_load_ushort v56, v[78:79], off
	v_lshl_add_u64 v[78:79], v[138:139], 0, v[6:7]
	global_load_ushort v75, v[78:79], off
	s_waitcnt vmcnt(1)
	v_cvt_f32_f16_e32 v56, v56
	s_waitcnt vmcnt(0)
	v_cvt_f32_f16_e32 v79, v75
.LBB84_220:                             ;   in Loop: Header=BB84_151 Depth=1
	s_or_b64 exec, exec, s[18:19]
	s_waitcnt vmcnt(1)
	ds_bpermute_b32 v78, v76, v57
	s_waitcnt vmcnt(0)
	ds_bpermute_b32 v75, v76, v77
	s_waitcnt lgkmcnt(1)
	v_sub_f32_e32 v23, v23, v78
	ds_bpermute_b32 v78, v76, v57 offset:4
	v_mul_f32_e32 v23, v22, v23
	s_waitcnt lgkmcnt(1)
	v_mul_f32_e32 v23, v23, v75
	ds_bpermute_b32 v75, v76, v77 offset:4
	v_pk_add_f32 v[22:23], v[0:1], v[22:23]
	s_waitcnt lgkmcnt(1)
	v_sub_f32_e32 v39, v39, v78
	ds_bpermute_b32 v78, v76, v57 offset:8
	v_mul_f32_e32 v39, v38, v39
	s_waitcnt lgkmcnt(1)
	v_mul_f32_e32 v39, v39, v75
	ds_bpermute_b32 v75, v76, v77 offset:8
	v_pk_add_f32 v[22:23], v[22:23], v[38:39]
	;; [unrolled: 8-line block ×3, first 2 shown]
	s_waitcnt lgkmcnt(1)
	v_sub_f32_e32 v51, v51, v78
	ds_bpermute_b32 v78, v76, v57 offset:16
	v_mul_f32_e32 v51, v50, v51
	s_waitcnt lgkmcnt(1)
	v_mul_f32_e32 v51, v51, v75
	ds_bpermute_b32 v75, v76, v77 offset:16
	ds_bpermute_b32 v34, v76, v57 offset:44
	s_waitcnt lgkmcnt(2)
	v_sub_f32_e32 v47, v47, v78
	ds_bpermute_b32 v78, v76, v57 offset:20
	v_mul_f32_e32 v47, v46, v47
	s_waitcnt lgkmcnt(2)
	v_mul_f32_e32 v47, v47, v75
	ds_bpermute_b32 v75, v76, v77 offset:20
	s_waitcnt lgkmcnt(2)
	v_sub_f32_e32 v15, v15, v34
	s_waitcnt lgkmcnt(1)
	v_sub_f32_e32 v65, v65, v78
	ds_bpermute_b32 v78, v76, v57 offset:24
	v_mul_f32_e32 v65, v64, v65
	s_waitcnt lgkmcnt(1)
	v_mul_f32_e32 v65, v65, v75
	ds_bpermute_b32 v75, v76, v77 offset:24
	ds_bpermute_b32 v34, v76, v57 offset:48
	s_waitcnt lgkmcnt(2)
	v_sub_f32_e32 v59, v59, v78
	ds_bpermute_b32 v78, v76, v57 offset:28
	v_mul_f32_e32 v59, v58, v59
	s_waitcnt lgkmcnt(2)
	v_mul_f32_e32 v59, v59, v75
	ds_bpermute_b32 v75, v76, v77 offset:28
	v_mul_f32_e32 v15, v16, v15
	s_waitcnt lgkmcnt(1)
	v_sub_f32_e32 v69, v69, v78
	ds_bpermute_b32 v78, v76, v57 offset:32
	v_mul_f32_e32 v69, v68, v69
	s_waitcnt lgkmcnt(1)
	v_mul_f32_e32 v69, v69, v75
	ds_bpermute_b32 v75, v76, v77 offset:32
	v_sub_f32_e32 v27, v27, v34
	s_waitcnt lgkmcnt(1)
	v_sub_f32_e32 v67, v67, v78
	ds_bpermute_b32 v78, v76, v57 offset:36
	v_mul_f32_e32 v67, v66, v67
	s_waitcnt lgkmcnt(1)
	v_mul_f32_e32 v67, v67, v75
	ds_bpermute_b32 v75, v76, v77 offset:36
	ds_bpermute_b32 v34, v76, v57 offset:52
	s_waitcnt lgkmcnt(2)
	v_sub_f32_e32 v73, v73, v78
	ds_bpermute_b32 v78, v76, v57 offset:40
	v_mul_f32_e32 v73, v74, v73
	s_waitcnt lgkmcnt(2)
	v_mul_f32_e32 v75, v73, v75
	ds_bpermute_b32 v73, v76, v77 offset:40
	v_mul_f32_e32 v27, v14, v27
	s_waitcnt lgkmcnt(1)
	v_sub_f32_e32 v17, v17, v78
	v_mul_f32_e32 v17, v72, v17
	v_sub_f32_e32 v25, v25, v34
	s_waitcnt lgkmcnt(0)
	v_mul_f32_e32 v73, v17, v73
	ds_bpermute_b32 v17, v76, v77 offset:44
	ds_bpermute_b32 v34, v76, v57 offset:56
	v_mul_f32_e32 v25, v26, v25
	ds_bpermute_b32 v35, v76, v57 offset:60
	v_pk_add_f32 v[22:23], v[22:23], v[50:51]
	s_waitcnt lgkmcnt(2)
	v_mul_f32_e32 v17, v15, v17
	ds_bpermute_b32 v15, v76, v77 offset:48
	s_waitcnt lgkmcnt(2)
	v_sub_f32_e32 v34, v37, v34
	v_mul_f32_e32 v34, v24, v34
	s_waitcnt lgkmcnt(1)
	v_sub_f32_e32 v33, v33, v35
	v_mul_f32_e32 v33, v36, v33
	s_waitcnt lgkmcnt(0)
	v_mul_f32_e32 v15, v27, v15
	ds_bpermute_b32 v27, v76, v77 offset:52
	ds_bpermute_b32 v35, v76, v57 offset:68
	v_pk_add_f32 v[22:23], v[22:23], v[46:47]
	s_waitcnt lgkmcnt(1)
	v_mul_f32_e32 v27, v25, v27
	ds_bpermute_b32 v25, v76, v77 offset:56
	s_waitcnt lgkmcnt(1)
	v_sub_f32_e32 v35, v45, v35
	v_mul_f32_e32 v35, v48, v35
	v_pk_add_f32 v[22:23], v[22:23], v[64:65]
	s_waitcnt lgkmcnt(0)
	v_mul_f32_e32 v25, v34, v25
	ds_bpermute_b32 v34, v76, v77 offset:60
	v_pk_add_f32 v[22:23], v[22:23], v[58:59]
	s_waitcnt lgkmcnt(0)
	v_mul_f32_e32 v37, v33, v34
	ds_bpermute_b32 v34, v76, v57 offset:64
	ds_bpermute_b32 v33, v76, v77 offset:64
	v_pk_add_f32 v[22:23], v[22:23], v[68:69]
	s_waitcnt lgkmcnt(1)
	v_sub_f32_e32 v34, v49, v34
	v_mul_f32_e32 v34, v32, v34
	s_waitcnt lgkmcnt(0)
	v_mul_f32_e32 v33, v34, v33
	ds_bpermute_b32 v34, v76, v77 offset:68
	v_pk_add_f32 v[22:23], v[22:23], v[66:67]
	s_waitcnt lgkmcnt(0)
	v_mul_f32_e32 v49, v35, v34
	ds_bpermute_b32 v35, v76, v57 offset:72
	ds_bpermute_b32 v34, v76, v77 offset:72
	v_pk_add_f32 v[22:23], v[22:23], v[74:75]
	s_waitcnt lgkmcnt(1)
	v_sub_f32_e32 v35, v63, v35
	v_mul_f32_e32 v35, v44, v35
	s_waitcnt lgkmcnt(0)
	v_mul_f32_e32 v45, v35, v34
	ds_bpermute_b32 v35, v76, v57 offset:76
	ds_bpermute_b32 v34, v76, v77 offset:76
	v_pk_add_f32 v[22:23], v[22:23], v[72:73]
	s_waitcnt lgkmcnt(1)
	v_sub_f32_e32 v35, v61, v35
	v_mul_f32_e32 v35, v62, v35
	s_waitcnt lgkmcnt(0)
	v_mul_f32_e32 v63, v35, v34
	ds_bpermute_b32 v35, v76, v57 offset:80
	ds_bpermute_b32 v34, v76, v77 offset:80
	v_pk_add_f32 v[16:17], v[22:23], v[16:17]
	s_waitcnt lgkmcnt(1)
	v_sub_f32_e32 v35, v71, v35
	v_mul_f32_e32 v35, v60, v35
	v_pk_add_f32 v[14:15], v[16:17], v[14:15]
	s_waitcnt lgkmcnt(0)
	v_mul_f32_e32 v61, v35, v34
	ds_bpermute_b32 v35, v76, v57 offset:84
	v_pk_add_f32 v[14:15], v[14:15], v[26:27]
	ds_bpermute_b32 v34, v76, v77 offset:84
	v_pk_add_f32 v[14:15], v[14:15], v[24:25]
	v_accvgpr_read_b32 v16, a2
	v_pk_add_f32 v[14:15], v[14:15], v[36:37]
	s_waitcnt lgkmcnt(1)
	v_sub_f32_e32 v11, v11, v35
	v_pk_add_f32 v[14:15], v[14:15], v[32:33]
	v_mul_f32_e32 v11, v10, v11
	v_pk_add_f32 v[14:15], v[14:15], v[48:49]
	s_waitcnt lgkmcnt(0)
	v_mul_f32_e32 v11, v11, v34
	v_pk_add_f32 v[14:15], v[14:15], v[44:45]
	s_nop 0
	v_pk_add_f32 v[14:15], v[14:15], v[62:63]
	s_nop 0
	;; [unrolled: 2-line block ×3, first 2 shown]
	v_pk_add_f32 v[10:11], v[14:15], v[10:11]
	ds_bpermute_b32 v15, v76, v57 offset:88
	ds_bpermute_b32 v14, v76, v77 offset:88
	s_waitcnt lgkmcnt(1)
	v_sub_f32_e32 v15, v21, v15
	v_mul_f32_e32 v15, v70, v15
	s_waitcnt lgkmcnt(0)
	v_mul_f32_e32 v71, v15, v14
	ds_bpermute_b32 v15, v76, v57 offset:92
	ds_bpermute_b32 v14, v76, v77 offset:92
	v_pk_add_f32 v[10:11], v[10:11], v[70:71]
	s_waitcnt lgkmcnt(1)
	v_sub_f32_e32 v15, v53, v15
	v_mul_f32_e32 v15, v20, v15
	s_waitcnt lgkmcnt(0)
	v_mul_f32_e32 v21, v15, v14
	ds_bpermute_b32 v15, v76, v57 offset:96
	ds_bpermute_b32 v14, v76, v77 offset:96
	v_pk_add_f32 v[10:11], v[10:11], v[20:21]
	;; [unrolled: 8-line block ×9, first 2 shown]
	s_waitcnt lgkmcnt(1)
	v_sub_f32_e32 v15, v79, v15
	v_mul_f32_e32 v15, v56, v15
	s_waitcnt lgkmcnt(0)
	v_mul_f32_e32 v57, v15, v14
	v_pk_add_f32 v[70:71], v[10:11], v[56:57]
	s_branch .LBB84_150
.LBB84_221:                             ;   in Loop: Header=BB84_151 Depth=1
                                        ; implicit-def: $vgpr70_vgpr71
	s_cbranch_execz .LBB84_150
; %bb.222:                              ;   in Loop: Header=BB84_151 Depth=1
	s_load_dword s3, s[4:5], 0x0
	v_accvgpr_read_b32 v15, a3
	v_accvgpr_read_b32 v11, a1
	;; [unrolled: 1-line block ×3, first 2 shown]
	v_mov_b32_e32 v57, 0
	s_waitcnt lgkmcnt(0)
	s_cmp_lt_u32 s2, s3
	s_cselect_b32 s3, 12, 18
	s_add_u32 s18, s4, s3
	s_addc_u32 s19, s5, 0
	global_load_ushort v10, v15, s[18:19]
	v_mov_b32_e32 v56, 0
	s_waitcnt vmcnt(0)
	v_mad_u32_u24 v10, v14, v10, v11
	v_and_b32_e32 v14, 63, v10
	v_accvgpr_write_b32 a2, v14
	v_accvgpr_write_b32 a3, v15
	v_cmp_gt_u32_e32 vcc, 32, v14
	s_and_saveexec_b64 s[18:19], vcc
	s_cbranch_execz .LBB84_149
; %bb.223:                              ;   in Loop: Header=BB84_151 Depth=1
	v_accvgpr_read_b32 v11, a3
	v_accvgpr_read_b32 v10, a2
	v_lshl_add_u64 v[10:11], v[12:13], 0, v[10:11]
	v_cmp_gt_i64_e32 vcc, s[12:13], v[10:11]
	v_mov_b32_e32 v56, 0
	v_mov_b32_e32 v57, 0
	s_and_saveexec_b64 s[28:29], vcc
	s_cbranch_execz .LBB84_148
; %bb.224:                              ;   in Loop: Header=BB84_151 Depth=1
	v_lshlrev_b64 v[10:11], 2, v[10:11]
	v_lshl_add_u64 v[12:13], s[22:23], 0, v[10:11]
	v_lshl_add_u64 v[10:11], s[20:21], 0, v[10:11]
	global_load_dword v56, v[10:11], off
	global_load_dword v57, v[12:13], off
	s_branch .LBB84_148
.LBB84_225:
	v_accvgpr_read_b32 v212, a0
.LBB84_226:
	s_mov_b32 s3, 0
	s_lshl_b64 s[2:3], s[2:3], 5
	v_and_b32_e32 v0, 0x3ff, v212
	v_or_b32_e32 v0, s2, v0
	v_mov_b32_e32 v1, s3
	v_cmp_gt_i64_e32 vcc, s[14:15], v[0:1]
	s_and_saveexec_b64 s[2:3], vcc
	s_cbranch_execz .LBB84_231
; %bb.227:
	s_load_dword s2, s[0:1], 0x4c
	s_load_dwordx4 s[4:7], s[0:1], 0x30
	v_bfe_u32 v2, v212, 10, 10
	v_mov_b32_e32 v3, 0
	v_mov_b32_e32 v4, s8
	s_waitcnt lgkmcnt(0)
	s_lshr_b32 s0, s2, 16
	v_mad_u64_u32 v[2:3], s[0:1], s0, v4, v[2:3]
	s_cmp_eq_u64 s[4:5], 0
	v_mul_lo_u32 v3, v3, s14
	v_mul_lo_u32 v4, v2, s15
	s_cbranch_scc1 .LBB84_229
; %bb.228:
	v_cvt_f16_f32_e32 v5, v71
	v_mad_u64_u32 v[6:7], s[0:1], v2, s14, 0
	v_add3_u32 v7, v7, v4, v3
	v_lshl_add_u64 v[6:7], v[6:7], 1, s[4:5]
	v_lshl_add_u64 v[6:7], v[0:1], 1, v[6:7]
	global_store_short v[6:7], v5, off
.LBB84_229:
	s_cmp_eq_u64 s[6:7], 0
	s_cbranch_scc1 .LBB84_231
; %bb.230:
	v_cvt_f16_f32_e32 v5, v70
	v_mad_u64_u32 v[6:7], s[0:1], v2, s14, 0
	v_add3_u32 v7, v7, v4, v3
	v_lshl_add_u64 v[2:3], v[6:7], 1, s[6:7]
	v_lshl_add_u64 v[0:1], v[0:1], 1, v[2:3]
	global_store_short v[0:1], v5, off
.LBB84_231:
	s_endpgm
	.section	.rodata,"a",@progbits
	.p2align	6, 0x0
	.amdhsa_kernel _ZN2at6native12_GLOBAL__N_135GammaBetaBackwardCUDAKernelTemplateIN3c104HalfEfLj32ELj1ELj32ELb1ELb0ELb0EEEvllPKT_S7_PKT0_SA_PS5_SB_
		.amdhsa_group_segment_fixed_size 0
		.amdhsa_private_segment_fixed_size 0
		.amdhsa_kernarg_size 320
		.amdhsa_user_sgpr_count 2
		.amdhsa_user_sgpr_dispatch_ptr 0
		.amdhsa_user_sgpr_queue_ptr 0
		.amdhsa_user_sgpr_kernarg_segment_ptr 1
		.amdhsa_user_sgpr_dispatch_id 0
		.amdhsa_user_sgpr_kernarg_preload_length 0
		.amdhsa_user_sgpr_kernarg_preload_offset 0
		.amdhsa_user_sgpr_private_segment_size 0
		.amdhsa_uses_dynamic_stack 0
		.amdhsa_enable_private_segment 0
		.amdhsa_system_sgpr_workgroup_id_x 1
		.amdhsa_system_sgpr_workgroup_id_y 1
		.amdhsa_system_sgpr_workgroup_id_z 0
		.amdhsa_system_sgpr_workgroup_info 0
		.amdhsa_system_vgpr_workitem_id 1
		.amdhsa_next_free_vgpr 339
		.amdhsa_next_free_sgpr 40
		.amdhsa_accum_offset 256
		.amdhsa_reserve_vcc 1
		.amdhsa_float_round_mode_32 0
		.amdhsa_float_round_mode_16_64 0
		.amdhsa_float_denorm_mode_32 3
		.amdhsa_float_denorm_mode_16_64 3
		.amdhsa_dx10_clamp 1
		.amdhsa_ieee_mode 1
		.amdhsa_fp16_overflow 0
		.amdhsa_tg_split 0
		.amdhsa_exception_fp_ieee_invalid_op 0
		.amdhsa_exception_fp_denorm_src 0
		.amdhsa_exception_fp_ieee_div_zero 0
		.amdhsa_exception_fp_ieee_overflow 0
		.amdhsa_exception_fp_ieee_underflow 0
		.amdhsa_exception_fp_ieee_inexact 0
		.amdhsa_exception_int_div_zero 0
	.end_amdhsa_kernel
	.section	.text._ZN2at6native12_GLOBAL__N_135GammaBetaBackwardCUDAKernelTemplateIN3c104HalfEfLj32ELj1ELj32ELb1ELb0ELb0EEEvllPKT_S7_PKT0_SA_PS5_SB_,"axG",@progbits,_ZN2at6native12_GLOBAL__N_135GammaBetaBackwardCUDAKernelTemplateIN3c104HalfEfLj32ELj1ELj32ELb1ELb0ELb0EEEvllPKT_S7_PKT0_SA_PS5_SB_,comdat
.Lfunc_end84:
	.size	_ZN2at6native12_GLOBAL__N_135GammaBetaBackwardCUDAKernelTemplateIN3c104HalfEfLj32ELj1ELj32ELb1ELb0ELb0EEEvllPKT_S7_PKT0_SA_PS5_SB_, .Lfunc_end84-_ZN2at6native12_GLOBAL__N_135GammaBetaBackwardCUDAKernelTemplateIN3c104HalfEfLj32ELj1ELj32ELb1ELb0ELb0EEEvllPKT_S7_PKT0_SA_PS5_SB_
                                        ; -- End function
	.section	.AMDGPU.csdata,"",@progbits
; Kernel info:
; codeLenInByte = 25792
; NumSgprs: 46
; NumVgprs: 256
; NumAgprs: 83
; TotalNumVgprs: 339
; ScratchSize: 0
; MemoryBound: 0
; FloatMode: 240
; IeeeMode: 1
; LDSByteSize: 0 bytes/workgroup (compile time only)
; SGPRBlocks: 5
; VGPRBlocks: 42
; NumSGPRsForWavesPerEU: 46
; NumVGPRsForWavesPerEU: 339
; AccumOffset: 256
; Occupancy: 1
; WaveLimiterHint : 0
; COMPUTE_PGM_RSRC2:SCRATCH_EN: 0
; COMPUTE_PGM_RSRC2:USER_SGPR: 2
; COMPUTE_PGM_RSRC2:TRAP_HANDLER: 0
; COMPUTE_PGM_RSRC2:TGID_X_EN: 1
; COMPUTE_PGM_RSRC2:TGID_Y_EN: 1
; COMPUTE_PGM_RSRC2:TGID_Z_EN: 0
; COMPUTE_PGM_RSRC2:TIDIG_COMP_CNT: 1
; COMPUTE_PGM_RSRC3_GFX90A:ACCUM_OFFSET: 63
; COMPUTE_PGM_RSRC3_GFX90A:TG_SPLIT: 0
	.section	.text._ZN2at6native12_GLOBAL__N_135GammaBetaBackwardCUDAKernelTemplateIN3c104HalfEfLj32ELj1ELj8ELb1ELb1ELb0EEEvllPKT_S7_PKT0_SA_PS5_SB_,"axG",@progbits,_ZN2at6native12_GLOBAL__N_135GammaBetaBackwardCUDAKernelTemplateIN3c104HalfEfLj32ELj1ELj8ELb1ELb1ELb0EEEvllPKT_S7_PKT0_SA_PS5_SB_,comdat
	.globl	_ZN2at6native12_GLOBAL__N_135GammaBetaBackwardCUDAKernelTemplateIN3c104HalfEfLj32ELj1ELj8ELb1ELb1ELb0EEEvllPKT_S7_PKT0_SA_PS5_SB_ ; -- Begin function _ZN2at6native12_GLOBAL__N_135GammaBetaBackwardCUDAKernelTemplateIN3c104HalfEfLj32ELj1ELj8ELb1ELb1ELb0EEEvllPKT_S7_PKT0_SA_PS5_SB_
	.p2align	8
	.type	_ZN2at6native12_GLOBAL__N_135GammaBetaBackwardCUDAKernelTemplateIN3c104HalfEfLj32ELj1ELj8ELb1ELb1ELb0EEEvllPKT_S7_PKT0_SA_PS5_SB_,@function
_ZN2at6native12_GLOBAL__N_135GammaBetaBackwardCUDAKernelTemplateIN3c104HalfEfLj32ELj1ELj8ELb1ELb1ELb0EEEvllPKT_S7_PKT0_SA_PS5_SB_: ; @_ZN2at6native12_GLOBAL__N_135GammaBetaBackwardCUDAKernelTemplateIN3c104HalfEfLj32ELj1ELj8ELb1ELb1ELb0EEEvllPKT_S7_PKT0_SA_PS5_SB_
; %bb.0:
	s_load_dwordx4 s[16:19], s[0:1], 0x0
	s_lshl_b32 s6, s3, 3
	s_mov_b32 s7, 0
	s_mov_b32 s4, s3
	v_bfe_u32 v1, v0, 10, 10
	s_waitcnt lgkmcnt(0)
	v_mov_b64_e32 v[2:3], s[16:17]
	v_cmp_lt_i64_e32 vcc, s[6:7], v[2:3]
	s_cbranch_vccnz .LBB85_2
; %bb.1:
	s_add_u32 s24, s0, 64
	s_addc_u32 s25, s1, 0
	s_mov_b64 s[8:9], 0
	v_bfe_u32 v2, v0, 10, 10
	s_branch .LBB85_3
.LBB85_2:
	s_mov_b64 s[8:9], -1
                                        ; implicit-def: $sgpr24_sgpr25
                                        ; implicit-def: $vgpr2
.LBB85_3:
	s_load_dwordx4 s[20:23], s[0:1], 0x30
	v_and_b32_e32 v0, 0x3ff, v0
	s_andn2_b64 vcc, exec, s[8:9]
	v_mov_b32_e32 v6, s7
	s_cbranch_vccnz .LBB85_11
; %bb.4:
	s_load_dword s3, s[0:1], 0x4c
	s_load_dword s5, s[0:1], 0x44
	s_load_dwordx8 s[8:15], s[0:1], 0x10
	s_add_u32 s24, s0, 64
	s_addc_u32 s25, s1, 0
	s_waitcnt lgkmcnt(0)
	s_and_b32 s0, s3, 0xffff
	v_mad_u32_u24 v2, v1, s0, v0
	v_and_b32_e32 v4, 63, v2
	v_lshlrev_b32_e32 v2, 3, v1
	v_mov_b32_e32 v3, 0
	v_mbcnt_lo_u32_b32 v6, -1, 0
	v_mov_b32_e32 v5, v3
	v_mbcnt_hi_u32_b32 v6, -1, v6
	s_lshl_b32 s26, s5, 3
	v_lshl_add_u64 v[10:11], v[2:3], 0, s[6:7]
	v_cmp_gt_u32_e64 s[0:1], 8, v4
	v_lshl_add_u32 v8, s2, 5, v0
	v_mov_b32_e32 v9, v3
	v_lshlrev_b32_e32 v6, 2, v6
	v_lshl_add_u64 v[4:5], v[10:11], 0, v[4:5]
	v_mul_lo_u32 v2, s19, v10
	v_mul_lo_u32 v20, s18, v11
	v_mad_u64_u32 v[10:11], s[30:31], s18, v10, 0
	s_mul_i32 s3, s19, s26
	s_mul_hi_u32 s5, s18, s26
	s_mov_b32 s27, 0
	v_and_b32_e32 v12, 0x100, v6
	v_add3_u32 v11, v11, v20, v2
	v_lshlrev_b64 v[8:9], 1, v[8:9]
	s_add_i32 s31, s5, s3
	s_mul_i32 s30, s18, s26
	v_or_b32_e32 v13, 4, v12
	v_or_b32_e32 v14, 8, v12
	v_or_b32_e32 v15, 12, v12
	v_or_b32_e32 v16, 16, v12
	v_or_b32_e32 v17, 20, v12
	v_or_b32_e32 v18, 24, v12
	v_or_b32_e32 v19, 28, v12
	v_lshlrev_b64 v[6:7], 2, v[4:5]
	s_lshl_b64 s[28:29], s[26:27], 2
	v_lshl_add_u64 v[8:9], v[10:11], 1, v[8:9]
	s_lshl_b64 s[30:31], s[30:31], 1
	s_lshl_b64 s[34:35], s[18:19], 1
	v_mov_b64_e32 v[10:11], s[16:17]
	v_mov_b32_e32 v2, v3
	s_branch .LBB85_7
.LBB85_5:                               ;   in Loop: Header=BB85_7 Depth=1
	s_or_b64 exec, exec, s[38:39]
.LBB85_6:                               ;   in Loop: Header=BB85_7 Depth=1
	s_or_b64 exec, exec, s[36:37]
	v_lshl_add_u64 v[22:23], s[8:9], 0, v[8:9]
	global_load_ushort v26, v[22:23], off
	v_lshl_add_u64 v[24:25], s[10:11], 0, v[8:9]
	v_lshl_add_u64 v[22:23], v[22:23], 0, s[34:35]
	global_load_ushort v27, v[24:25], off
	global_load_ushort v28, v[22:23], off
	v_lshl_add_u64 v[24:25], v[24:25], 0, s[34:35]
	v_lshl_add_u64 v[22:23], v[22:23], 0, s[34:35]
	global_load_ushort v29, v[24:25], off
	;; [unrolled: 4-line block ×7, first 2 shown]
	global_load_ushort v40, v[22:23], off
	v_lshl_add_u64 v[22:23], v[24:25], 0, s[34:35]
	global_load_ushort v23, v[22:23], off
	s_waitcnt vmcnt(17)
	ds_bpermute_b32 v41, v12, v20
	s_waitcnt vmcnt(16)
	ds_bpermute_b32 v25, v12, v21
	ds_bpermute_b32 v42, v13, v21
	;; [unrolled: 1-line block ×15, first 2 shown]
	s_add_u32 s6, s6, s26
	s_addc_u32 s7, s7, 0
	v_cmp_lt_i64_e32 vcc, s[6:7], v[10:11]
	v_lshl_add_u64 v[6:7], v[6:7], 0, s[28:29]
	v_lshl_add_u64 v[4:5], v[4:5], 0, s[26:27]
	;; [unrolled: 1-line block ×3, first 2 shown]
	s_and_b64 vcc, exec, vcc
	s_waitcnt vmcnt(15)
	v_cvt_f32_f16_e32 v20, v26
	s_waitcnt vmcnt(14)
	v_cvt_f32_f16_e32 v21, v27
	;; [unrolled: 2-line block ×5, first 2 shown]
	s_waitcnt lgkmcnt(14)
	v_sub_f32_e32 v21, v21, v41
	v_mul_f32_e32 v21, v21, v20
	s_waitcnt vmcnt(10)
	v_cvt_f32_f16_e32 v29, v31
	s_waitcnt vmcnt(9)
	v_cvt_f32_f16_e32 v26, v32
	s_waitcnt lgkmcnt(12)
	v_sub_f32_e32 v27, v27, v43
	v_mul_f32_e32 v21, v21, v25
	s_waitcnt vmcnt(8)
	v_cvt_f32_f16_e32 v31, v33
	s_waitcnt vmcnt(7)
	v_cvt_f32_f16_e32 v28, v34
	v_mul_f32_e32 v25, v27, v22
	s_waitcnt lgkmcnt(5)
	v_sub_f32_e32 v27, v29, v45
	s_waitcnt vmcnt(6)
	v_cvt_f32_f16_e32 v33, v35
	s_waitcnt vmcnt(5)
	v_cvt_f32_f16_e32 v30, v36
	v_pk_add_f32 v[2:3], v[2:3], v[20:21]
	s_waitcnt vmcnt(4)
	v_cvt_f32_f16_e32 v35, v37
	s_waitcnt vmcnt(3)
	v_cvt_f32_f16_e32 v32, v38
	s_waitcnt lgkmcnt(3)
	v_sub_f32_e32 v21, v33, v49
	s_waitcnt vmcnt(2)
	v_cvt_f32_f16_e32 v36, v39
	s_waitcnt vmcnt(1)
	v_cvt_f32_f16_e32 v34, v40
	;; [unrolled: 2-line block ×3, first 2 shown]
	v_mul_f32_e32 v23, v25, v42
	v_mul_f32_e32 v25, v27, v24
	v_sub_f32_e32 v27, v31, v47
	v_mul_f32_e32 v25, v25, v44
	v_mul_f32_e32 v20, v27, v26
	v_pk_add_f32 v[2:3], v[2:3], v[22:23]
	v_mul_f32_e32 v27, v20, v46
	v_mul_f32_e32 v20, v21, v28
	s_waitcnt lgkmcnt(2)
	v_sub_f32_e32 v21, v35, v51
	v_pk_add_f32 v[2:3], v[2:3], v[24:25]
	v_mul_f32_e32 v29, v20, v48
	v_mul_f32_e32 v20, v21, v30
	s_waitcnt lgkmcnt(1)
	v_sub_f32_e32 v21, v36, v53
	v_pk_add_f32 v[2:3], v[2:3], v[26:27]
	v_mul_f32_e32 v31, v20, v50
	v_mul_f32_e32 v20, v21, v32
	v_pk_add_f32 v[2:3], v[2:3], v[28:29]
	s_waitcnt lgkmcnt(0)
	v_sub_f32_e32 v21, v37, v55
	v_mul_f32_e32 v33, v20, v52
	v_pk_add_f32 v[2:3], v[2:3], v[30:31]
	v_mul_f32_e32 v20, v21, v34
	v_pk_add_f32 v[2:3], v[2:3], v[32:33]
	;; [unrolled: 2-line block ×3, first 2 shown]
	s_cbranch_vccz .LBB85_10
.LBB85_7:                               ; =>This Inner Loop Header: Depth=1
	v_mov_b32_e32 v21, 0
	v_mov_b32_e32 v20, 0
	s_and_saveexec_b64 s[36:37], s[0:1]
	s_cbranch_execz .LBB85_6
; %bb.8:                                ;   in Loop: Header=BB85_7 Depth=1
	v_cmp_gt_i64_e32 vcc, s[16:17], v[4:5]
	v_mov_b32_e32 v20, 0
	v_mov_b32_e32 v21, 0
	s_and_saveexec_b64 s[38:39], vcc
	s_cbranch_execz .LBB85_5
; %bb.9:                                ;   in Loop: Header=BB85_7 Depth=1
	v_lshl_add_u64 v[24:25], s[12:13], 0, v[6:7]
	v_lshl_add_u64 v[22:23], s[14:15], 0, v[6:7]
	global_load_dword v20, v[24:25], off
	global_load_dword v21, v[22:23], off
	s_branch .LBB85_5
.LBB85_10:
	v_cvt_f16_f32_e32 v3, v3
	v_cvt_f16_f32_e32 v2, v2
	v_pack_b32_f16 v6, v2, v3
	v_mov_b32_e32 v2, v1
.LBB85_11:
	s_load_dword s5, s[24:25], 0xc
	s_mov_b32 s3, 0
	v_mov_b32_e32 v1, 0
	s_lshl_b64 s[0:1], s[2:3], 5
	v_lshl_add_u64 v[4:5], s[0:1], 0, v[0:1]
	s_waitcnt lgkmcnt(0)
	s_lshr_b32 s0, s5, 16
	v_mov_b32_e32 v3, v1
	v_mov_b32_e32 v0, s4
	v_mad_u64_u32 v[0:1], s[0:1], s0, v0, v[2:3]
	s_cmp_eq_u64 s[20:21], 0
	v_mul_lo_u32 v1, v1, s18
	v_mul_lo_u32 v2, v0, s19
	s_cbranch_scc1 .LBB85_13
; %bb.12:
	v_mad_u64_u32 v[8:9], s[0:1], v0, s18, 0
	v_add3_u32 v9, v9, v2, v1
	v_lshl_add_u64 v[8:9], v[8:9], 1, s[20:21]
	v_lshl_add_u64 v[8:9], v[4:5], 1, v[8:9]
	global_store_short_d16_hi v[8:9], v6, off
.LBB85_13:
	s_cmp_eq_u64 s[22:23], 0
	s_cbranch_scc1 .LBB85_15
; %bb.14:
	v_mad_u64_u32 v[8:9], s[0:1], v0, s18, 0
	v_add3_u32 v9, v9, v2, v1
	v_lshl_add_u64 v[0:1], v[8:9], 1, s[22:23]
	v_lshl_add_u64 v[0:1], v[4:5], 1, v[0:1]
	global_store_short v[0:1], v6, off
.LBB85_15:
	s_endpgm
	.section	.rodata,"a",@progbits
	.p2align	6, 0x0
	.amdhsa_kernel _ZN2at6native12_GLOBAL__N_135GammaBetaBackwardCUDAKernelTemplateIN3c104HalfEfLj32ELj1ELj8ELb1ELb1ELb0EEEvllPKT_S7_PKT0_SA_PS5_SB_
		.amdhsa_group_segment_fixed_size 0
		.amdhsa_private_segment_fixed_size 0
		.amdhsa_kernarg_size 320
		.amdhsa_user_sgpr_count 2
		.amdhsa_user_sgpr_dispatch_ptr 0
		.amdhsa_user_sgpr_queue_ptr 0
		.amdhsa_user_sgpr_kernarg_segment_ptr 1
		.amdhsa_user_sgpr_dispatch_id 0
		.amdhsa_user_sgpr_kernarg_preload_length 0
		.amdhsa_user_sgpr_kernarg_preload_offset 0
		.amdhsa_user_sgpr_private_segment_size 0
		.amdhsa_uses_dynamic_stack 0
		.amdhsa_enable_private_segment 0
		.amdhsa_system_sgpr_workgroup_id_x 1
		.amdhsa_system_sgpr_workgroup_id_y 1
		.amdhsa_system_sgpr_workgroup_id_z 0
		.amdhsa_system_sgpr_workgroup_info 0
		.amdhsa_system_vgpr_workitem_id 1
		.amdhsa_next_free_vgpr 56
		.amdhsa_next_free_sgpr 40
		.amdhsa_accum_offset 56
		.amdhsa_reserve_vcc 1
		.amdhsa_float_round_mode_32 0
		.amdhsa_float_round_mode_16_64 0
		.amdhsa_float_denorm_mode_32 3
		.amdhsa_float_denorm_mode_16_64 3
		.amdhsa_dx10_clamp 1
		.amdhsa_ieee_mode 1
		.amdhsa_fp16_overflow 0
		.amdhsa_tg_split 0
		.amdhsa_exception_fp_ieee_invalid_op 0
		.amdhsa_exception_fp_denorm_src 0
		.amdhsa_exception_fp_ieee_div_zero 0
		.amdhsa_exception_fp_ieee_overflow 0
		.amdhsa_exception_fp_ieee_underflow 0
		.amdhsa_exception_fp_ieee_inexact 0
		.amdhsa_exception_int_div_zero 0
	.end_amdhsa_kernel
	.section	.text._ZN2at6native12_GLOBAL__N_135GammaBetaBackwardCUDAKernelTemplateIN3c104HalfEfLj32ELj1ELj8ELb1ELb1ELb0EEEvllPKT_S7_PKT0_SA_PS5_SB_,"axG",@progbits,_ZN2at6native12_GLOBAL__N_135GammaBetaBackwardCUDAKernelTemplateIN3c104HalfEfLj32ELj1ELj8ELb1ELb1ELb0EEEvllPKT_S7_PKT0_SA_PS5_SB_,comdat
.Lfunc_end85:
	.size	_ZN2at6native12_GLOBAL__N_135GammaBetaBackwardCUDAKernelTemplateIN3c104HalfEfLj32ELj1ELj8ELb1ELb1ELb0EEEvllPKT_S7_PKT0_SA_PS5_SB_, .Lfunc_end85-_ZN2at6native12_GLOBAL__N_135GammaBetaBackwardCUDAKernelTemplateIN3c104HalfEfLj32ELj1ELj8ELb1ELb1ELb0EEEvllPKT_S7_PKT0_SA_PS5_SB_
                                        ; -- End function
	.section	.AMDGPU.csdata,"",@progbits
; Kernel info:
; codeLenInByte = 1384
; NumSgprs: 46
; NumVgprs: 56
; NumAgprs: 0
; TotalNumVgprs: 56
; ScratchSize: 0
; MemoryBound: 0
; FloatMode: 240
; IeeeMode: 1
; LDSByteSize: 0 bytes/workgroup (compile time only)
; SGPRBlocks: 5
; VGPRBlocks: 6
; NumSGPRsForWavesPerEU: 46
; NumVGPRsForWavesPerEU: 56
; AccumOffset: 56
; Occupancy: 8
; WaveLimiterHint : 0
; COMPUTE_PGM_RSRC2:SCRATCH_EN: 0
; COMPUTE_PGM_RSRC2:USER_SGPR: 2
; COMPUTE_PGM_RSRC2:TRAP_HANDLER: 0
; COMPUTE_PGM_RSRC2:TGID_X_EN: 1
; COMPUTE_PGM_RSRC2:TGID_Y_EN: 1
; COMPUTE_PGM_RSRC2:TGID_Z_EN: 0
; COMPUTE_PGM_RSRC2:TIDIG_COMP_CNT: 1
; COMPUTE_PGM_RSRC3_GFX90A:ACCUM_OFFSET: 13
; COMPUTE_PGM_RSRC3_GFX90A:TG_SPLIT: 0
	.section	.text._ZN2at6native12_GLOBAL__N_135GammaBetaBackwardCUDAKernelTemplateIN3c104HalfEfLj32ELj1ELj8ELb1ELb0ELb0EEEvllPKT_S7_PKT0_SA_PS5_SB_,"axG",@progbits,_ZN2at6native12_GLOBAL__N_135GammaBetaBackwardCUDAKernelTemplateIN3c104HalfEfLj32ELj1ELj8ELb1ELb0ELb0EEEvllPKT_S7_PKT0_SA_PS5_SB_,comdat
	.globl	_ZN2at6native12_GLOBAL__N_135GammaBetaBackwardCUDAKernelTemplateIN3c104HalfEfLj32ELj1ELj8ELb1ELb0ELb0EEEvllPKT_S7_PKT0_SA_PS5_SB_ ; -- Begin function _ZN2at6native12_GLOBAL__N_135GammaBetaBackwardCUDAKernelTemplateIN3c104HalfEfLj32ELj1ELj8ELb1ELb0ELb0EEEvllPKT_S7_PKT0_SA_PS5_SB_
	.p2align	8
	.type	_ZN2at6native12_GLOBAL__N_135GammaBetaBackwardCUDAKernelTemplateIN3c104HalfEfLj32ELj1ELj8ELb1ELb0ELb0EEEvllPKT_S7_PKT0_SA_PS5_SB_,@function
_ZN2at6native12_GLOBAL__N_135GammaBetaBackwardCUDAKernelTemplateIN3c104HalfEfLj32ELj1ELj8ELb1ELb0ELb0EEEvllPKT_S7_PKT0_SA_PS5_SB_: ; @_ZN2at6native12_GLOBAL__N_135GammaBetaBackwardCUDAKernelTemplateIN3c104HalfEfLj32ELj1ELj8ELb1ELb0ELb0EEEvllPKT_S7_PKT0_SA_PS5_SB_
; %bb.0:
	s_load_dwordx8 s[12:19], s[0:1], 0x0
	s_load_dwordx4 s[28:31], s[0:1], 0x20
	s_mov_b32 s8, s3
	s_lshl_b32 s3, s2, 5
	s_mov_b32 s20, 0
	s_or_b32 s4, s3, 31
	s_mov_b32 s5, s20
	s_waitcnt lgkmcnt(0)
	v_mov_b64_e32 v[2:3], s[14:15]
	v_cmp_ge_i64_e32 vcc, s[4:5], v[2:3]
	s_lshl_b32 s10, s8, 3
	s_mov_b32 s11, s20
	v_mov_b64_e32 v[2:3], s[12:13]
	v_cmp_lt_i64_e64 s[4:5], s[10:11], v[2:3]
	s_nop 1
	v_cndmask_b32_e64 v1, 0, 1, s[4:5]
	v_cmp_ne_u32_e64 s[4:5], 1, v1
	s_cbranch_vccz .LBB86_48
; %bb.1:
	v_mov_b32_e32 v31, 0
	s_and_b64 vcc, exec, s[4:5]
	v_mov_b32_e32 v30, v31
	s_cbranch_vccnz .LBB86_49
; %bb.2:
	v_mov_b32_e32 v3, 0
	v_bfe_u32 v66, v0, 10, 10
	s_load_dword s9, s[0:1], 0x44
	v_lshlrev_b32_e32 v26, 3, v66
	v_mov_b32_e32 v27, v3
	v_and_b32_e32 v1, 0x3ff, v0
	v_lshl_add_u64 v[4:5], v[26:27], 0, s[10:11]
	v_add_u32_e32 v2, s3, v1
	v_lshl_add_u64 v[6:7], v[4:5], 0, 7
	s_add_u32 s34, s0, 64
	v_cmp_gt_i64_e64 s[6:7], s[14:15], v[2:3]
	v_lshlrev_b64 v[28:29], 1, v[2:3]
	v_mul_lo_u32 v2, s15, v6
	v_mul_lo_u32 v8, s14, v7
	v_mad_u64_u32 v[6:7], s[22:23], s14, v6, 0
	s_addc_u32 s35, s1, 0
	s_waitcnt lgkmcnt(0)
	s_lshl_b32 s36, s9, 3
	v_add3_u32 v7, v7, v8, v2
	v_lshlrev_b64 v[6:7], 1, v[6:7]
	s_mul_i32 s9, s15, s36
	s_mul_hi_u32 s21, s14, s36
	v_lshl_add_u64 v[32:33], s[16:17], 0, v[6:7]
	s_add_i32 s23, s21, s9
	s_mul_i32 s22, s14, s36
	v_lshl_add_u64 v[34:35], s[18:19], 0, v[6:7]
	v_lshl_add_u64 v[6:7], v[4:5], 0, 6
	s_lshl_b64 s[40:41], s[22:23], 1
	v_mul_lo_u32 v2, s15, v6
	v_mul_lo_u32 v8, s14, v7
	v_mad_u64_u32 v[6:7], s[22:23], s14, v6, 0
	v_add3_u32 v7, v7, v8, v2
	v_lshlrev_b64 v[6:7], 1, v[6:7]
	v_lshl_add_u64 v[36:37], s[16:17], 0, v[6:7]
	v_lshl_add_u64 v[38:39], s[18:19], 0, v[6:7]
	v_lshl_add_u64 v[6:7], v[4:5], 0, 5
	v_mul_lo_u32 v2, s15, v6
	v_mul_lo_u32 v8, s14, v7
	v_mad_u64_u32 v[6:7], s[22:23], s14, v6, 0
	v_add3_u32 v7, v7, v8, v2
	v_lshlrev_b64 v[6:7], 1, v[6:7]
	v_lshl_add_u64 v[40:41], s[16:17], 0, v[6:7]
	v_lshl_add_u64 v[42:43], s[18:19], 0, v[6:7]
	v_lshl_add_u64 v[6:7], v[4:5], 0, 4
	v_mul_lo_u32 v2, s15, v6
	v_mul_lo_u32 v8, s14, v7
	v_mad_u64_u32 v[6:7], s[22:23], s14, v6, 0
	v_add3_u32 v7, v7, v8, v2
	v_lshlrev_b64 v[6:7], 1, v[6:7]
	v_lshl_add_u64 v[44:45], s[16:17], 0, v[6:7]
	v_lshl_add_u64 v[46:47], s[18:19], 0, v[6:7]
	v_lshl_add_u64 v[6:7], v[4:5], 0, 3
	v_mul_lo_u32 v2, s15, v6
	v_mul_lo_u32 v8, s14, v7
	v_mad_u64_u32 v[6:7], s[22:23], s14, v6, 0
	v_add3_u32 v7, v7, v8, v2
	v_lshlrev_b64 v[6:7], 1, v[6:7]
	v_lshl_add_u64 v[48:49], s[16:17], 0, v[6:7]
	v_lshl_add_u64 v[50:51], s[18:19], 0, v[6:7]
	v_lshl_add_u64 v[6:7], v[4:5], 0, 2
	v_mul_lo_u32 v2, s15, v6
	v_mul_lo_u32 v8, s14, v7
	v_mad_u64_u32 v[6:7], s[22:23], s14, v6, 0
	v_add3_u32 v7, v7, v8, v2
	v_lshlrev_b64 v[6:7], 1, v[6:7]
	v_lshl_add_u64 v[52:53], s[16:17], 0, v[6:7]
	v_lshl_add_u64 v[54:55], s[18:19], 0, v[6:7]
	v_mov_b64_e32 v[6:7], s[14:15]
	v_mad_u64_u32 v[6:7], s[22:23], s14, v4, v[6:7]
	v_mul_lo_u32 v2, s14, v5
	v_mul_lo_u32 v8, s15, v4
	v_mad_u64_u32 v[4:5], s[22:23], s14, v4, 0
	v_add3_u32 v7, v8, v7, v2
	v_add3_u32 v5, v5, v2, v8
	v_mbcnt_lo_u32_b32 v2, -1, 0
	v_mbcnt_hi_u32_b32 v2, -1, v2
	v_lshlrev_b64 v[6:7], 1, v[6:7]
	v_lshlrev_b64 v[4:5], 1, v[4:5]
	v_lshlrev_b32_e32 v2, 2, v2
	s_mov_b32 s37, s20
	s_mov_b64 s[38:39], 7
	v_lshl_add_u64 v[56:57], s[16:17], 0, v[6:7]
	v_lshl_add_u64 v[58:59], s[18:19], 0, v[6:7]
	;; [unrolled: 1-line block ×4, first 2 shown]
	v_and_b32_e32 v67, 0x100, v2
	s_mov_b64 s[42:43], s[10:11]
	v_mov_b32_e32 v30, v3
	v_mov_b32_e32 v31, v3
	s_branch .LBB86_5
.LBB86_3:                               ;   in Loop: Header=BB86_5 Depth=1
	s_or_b64 exec, exec, s[22:23]
	s_waitcnt vmcnt(1)
	ds_bpermute_b32 v2, v67, v69
	ds_bpermute_b32 v4, v67, v69 offset:4
	s_waitcnt vmcnt(0)
	ds_bpermute_b32 v5, v67, v68
	ds_bpermute_b32 v6, v67, v68 offset:4
	ds_bpermute_b32 v8, v67, v68 offset:12
	s_waitcnt lgkmcnt(4)
	v_sub_f32_e32 v2, v10, v2
	v_mul_f32_e32 v2, v18, v2
	s_waitcnt lgkmcnt(3)
	v_sub_f32_e32 v4, v11, v4
	s_waitcnt lgkmcnt(2)
	v_mul_f32_e32 v5, v2, v5
	ds_bpermute_b32 v2, v67, v69 offset:8
	v_mul_f32_e32 v4, v19, v4
	s_waitcnt lgkmcnt(2)
	v_mul_f32_e32 v7, v4, v6
	ds_bpermute_b32 v4, v67, v68 offset:8
	ds_bpermute_b32 v6, v67, v69 offset:12
	s_waitcnt lgkmcnt(2)
	v_sub_f32_e32 v2, v12, v2
	v_mul_f32_e32 v2, v20, v2
	v_mov_b32_e32 v10, v21
	s_waitcnt lgkmcnt(1)
	v_mul_f32_e32 v9, v2, v4
	s_waitcnt lgkmcnt(0)
	v_sub_f32_e32 v2, v13, v6
	ds_bpermute_b32 v4, v67, v69 offset:16
	v_mul_f32_e32 v2, v21, v2
	v_mul_f32_e32 v11, v2, v8
	ds_bpermute_b32 v2, v67, v68 offset:16
	ds_bpermute_b32 v6, v67, v69 offset:20
	;; [unrolled: 1-line block ×3, first 2 shown]
	s_waitcnt lgkmcnt(3)
	v_sub_f32_e32 v4, v14, v4
	v_mul_f32_e32 v4, v22, v4
	s_waitcnt lgkmcnt(2)
	v_mul_f32_e32 v13, v4, v2
	s_waitcnt lgkmcnt(1)
	v_sub_f32_e32 v2, v15, v6
	v_mul_f32_e32 v2, v23, v2
	s_waitcnt lgkmcnt(0)
	v_mul_f32_e32 v15, v2, v8
	v_mov_b32_e32 v4, v18
	ds_bpermute_b32 v2, v67, v69 offset:24
	v_pk_add_f32 v[4:5], v[30:31], v[4:5]
	v_mov_b32_e32 v6, v19
	v_pk_add_f32 v[4:5], v[6:7], v[4:5]
	ds_bpermute_b32 v7, v67, v68 offset:24
	v_mov_b32_e32 v8, v20
	v_pk_add_f32 v[4:5], v[8:9], v[4:5]
	v_mov_b32_e32 v12, v22
	v_pk_add_f32 v[4:5], v[10:11], v[4:5]
	s_waitcnt lgkmcnt(1)
	v_sub_f32_e32 v8, v16, v2
	v_pk_add_f32 v[4:5], v[12:13], v[4:5]
	v_mov_b32_e32 v14, v23
	v_mul_f32_e32 v8, v24, v8
	v_pk_add_f32 v[4:5], v[14:15], v[4:5]
	s_waitcnt lgkmcnt(0)
	v_mul_f32_e32 v9, v8, v7
	v_mov_b32_e32 v8, v24
	ds_bpermute_b32 v2, v67, v68 offset:28
	ds_bpermute_b32 v6, v67, v69 offset:28
	v_pk_add_f32 v[4:5], v[8:9], v[4:5]
.LBB86_4:                               ;   in Loop: Header=BB86_5 Depth=1
	s_waitcnt lgkmcnt(0)
	v_sub_f32_e32 v6, v17, v6
	v_mul_f32_e32 v6, v25, v6
	v_mul_f32_e32 v7, v6, v2
	v_mov_b32_e32 v6, v25
	s_add_u32 s42, s42, s36
	v_pk_add_f32 v[30:31], v[4:5], v[6:7]
	s_addc_u32 s43, s43, 0
	v_mov_b64_e32 v[4:5], s[12:13]
	s_add_u32 s38, s38, s36
	v_cmp_lt_i64_e32 vcc, s[42:43], v[4:5]
	v_lshl_add_u64 v[32:33], v[32:33], 0, s[40:41]
	v_lshl_add_u64 v[34:35], v[34:35], 0, s[40:41]
	;; [unrolled: 1-line block ×17, first 2 shown]
	s_addc_u32 s39, s39, 0
	s_cbranch_vccz .LBB86_49
.LBB86_5:                               ; =>This Inner Loop Header: Depth=1
	s_add_u32 s22, s10, s38
	s_addc_u32 s23, 0, s39
	v_mov_b64_e32 v[4:5], s[12:13]
	v_cmp_ge_i64_e32 vcc, s[22:23], v[4:5]
	v_lshl_add_u64 v[64:65], s[10:11], 0, v[26:27]
	s_cbranch_vccz .LBB86_27
; %bb.6:                                ;   in Loop: Header=BB86_5 Depth=1
	s_load_dword s9, s[34:35], 0xc
	v_mov_b32_e32 v68, 0
	v_mov_b32_e32 v69, 0
	s_waitcnt lgkmcnt(0)
	s_and_b32 s9, s9, 0xffff
	v_mad_u32_u24 v2, v66, s9, v1
	v_and_b32_e32 v2, 63, v2
	v_cmp_gt_u32_e32 vcc, 8, v2
	s_and_saveexec_b64 s[22:23], vcc
	s_cbranch_execz .LBB86_10
; %bb.7:                                ;   in Loop: Header=BB86_5 Depth=1
	v_lshl_add_u64 v[4:5], v[64:65], 0, v[2:3]
	v_cmp_gt_i64_e32 vcc, s[12:13], v[4:5]
	v_mov_b32_e32 v69, 0
	v_mov_b32_e32 v68, 0
	s_and_saveexec_b64 s[24:25], vcc
	s_cbranch_execz .LBB86_9
; %bb.8:                                ;   in Loop: Header=BB86_5 Depth=1
	v_lshlrev_b64 v[4:5], 2, v[4:5]
	v_lshl_add_u64 v[6:7], s[30:31], 0, v[4:5]
	v_lshl_add_u64 v[4:5], s[28:29], 0, v[4:5]
	global_load_dword v69, v[4:5], off
	global_load_dword v68, v[6:7], off
.LBB86_9:                               ;   in Loop: Header=BB86_5 Depth=1
	s_or_b64 exec, exec, s[24:25]
.LBB86_10:                              ;   in Loop: Header=BB86_5 Depth=1
	s_or_b64 exec, exec, s[22:23]
	s_mov_b32 s21, s20
	s_mov_b32 s22, s20
	s_mov_b32 s23, s20
	s_mov_b32 s24, s20
	s_mov_b32 s25, s20
	s_mov_b32 s26, s20
	s_mov_b32 s27, s20
	v_mov_b64_e32 v[10:11], s[20:21]
	v_mov_b64_e32 v[16:17], s[26:27]
	v_cmp_gt_i64_e32 vcc, s[12:13], v[64:65]
	v_mov_b64_e32 v[12:13], s[22:23]
	v_mov_b64_e32 v[14:15], s[24:25]
	;; [unrolled: 1-line block ×3, first 2 shown]
	s_and_b64 s[44:45], s[6:7], vcc
	v_mov_b64_e32 v[22:23], v[14:15]
	v_mov_b64_e32 v[20:21], v[12:13]
	;; [unrolled: 1-line block ×3, first 2 shown]
	s_and_saveexec_b64 s[22:23], s[44:45]
	s_cbranch_execz .LBB86_12
; %bb.11:                               ;   in Loop: Header=BB86_5 Depth=1
	v_lshl_add_u64 v[4:5], v[60:61], 0, v[28:29]
	global_load_ushort v2, v[4:5], off
	v_lshl_add_u64 v[4:5], v[62:63], 0, v[28:29]
	global_load_ushort v10, v[4:5], off
	v_mov_b32_e32 v8, v3
	v_mov_b32_e32 v9, v3
	;; [unrolled: 1-line block ×13, first 2 shown]
	s_waitcnt vmcnt(1)
	v_cvt_f32_f16_e32 v2, v2
	v_mov_b64_e32 v[24:25], v[8:9]
	s_waitcnt vmcnt(0)
	v_cvt_f32_f16_e32 v10, v10
	v_mov_b64_e32 v[22:23], v[6:7]
	v_mov_b64_e32 v[20:21], v[4:5]
	;; [unrolled: 1-line block ×3, first 2 shown]
.LBB86_12:                              ;   in Loop: Header=BB86_5 Depth=1
	s_or_b64 exec, exec, s[22:23]
	v_lshl_add_u64 v[4:5], v[64:65], 0, 1
	v_cmp_gt_i64_e32 vcc, s[12:13], v[4:5]
	s_and_b64 s[24:25], s[6:7], vcc
	s_and_saveexec_b64 s[22:23], s[24:25]
	s_cbranch_execz .LBB86_14
; %bb.13:                               ;   in Loop: Header=BB86_5 Depth=1
	v_lshl_add_u64 v[4:5], v[56:57], 0, v[28:29]
	global_load_ushort v2, v[4:5], off
	v_lshl_add_u64 v[4:5], v[58:59], 0, v[28:29]
	global_load_ushort v4, v[4:5], off
	s_waitcnt vmcnt(1)
	v_cvt_f32_f16_e32 v19, v2
	s_waitcnt vmcnt(0)
	v_cvt_f32_f16_e32 v11, v4
.LBB86_14:                              ;   in Loop: Header=BB86_5 Depth=1
	s_or_b64 exec, exec, s[22:23]
	v_lshl_add_u64 v[4:5], v[64:65], 0, 2
	v_cmp_gt_i64_e32 vcc, s[12:13], v[4:5]
	s_and_b64 s[24:25], s[6:7], vcc
	s_and_saveexec_b64 s[22:23], s[24:25]
	s_cbranch_execz .LBB86_16
; %bb.15:                               ;   in Loop: Header=BB86_5 Depth=1
	v_lshl_add_u64 v[4:5], v[52:53], 0, v[28:29]
	global_load_ushort v2, v[4:5], off
	v_lshl_add_u64 v[4:5], v[54:55], 0, v[28:29]
	global_load_ushort v4, v[4:5], off
	s_waitcnt vmcnt(1)
	v_cvt_f32_f16_e32 v20, v2
	s_waitcnt vmcnt(0)
	v_cvt_f32_f16_e32 v12, v4
.LBB86_16:                              ;   in Loop: Header=BB86_5 Depth=1
	;; [unrolled: 16-line block ×7, first 2 shown]
	s_or_b64 exec, exec, s[22:23]
	s_waitcnt vmcnt(1)
	ds_bpermute_b32 v2, v67, v69
	ds_bpermute_b32 v4, v67, v69 offset:4
	s_waitcnt vmcnt(0)
	ds_bpermute_b32 v5, v67, v68
	ds_bpermute_b32 v6, v67, v68 offset:4
	ds_bpermute_b32 v8, v67, v68 offset:12
	s_waitcnt lgkmcnt(4)
	v_sub_f32_e32 v2, v10, v2
	v_mul_f32_e32 v2, v18, v2
	s_waitcnt lgkmcnt(3)
	v_sub_f32_e32 v4, v11, v4
	s_waitcnt lgkmcnt(2)
	v_mul_f32_e32 v5, v2, v5
	ds_bpermute_b32 v2, v67, v69 offset:8
	v_mul_f32_e32 v4, v19, v4
	s_waitcnt lgkmcnt(2)
	v_mul_f32_e32 v7, v4, v6
	ds_bpermute_b32 v4, v67, v68 offset:8
	ds_bpermute_b32 v6, v67, v69 offset:12
	s_waitcnt lgkmcnt(2)
	v_sub_f32_e32 v2, v12, v2
	v_mul_f32_e32 v2, v20, v2
	v_mov_b32_e32 v10, v21
	s_waitcnt lgkmcnt(1)
	v_mul_f32_e32 v9, v2, v4
	s_waitcnt lgkmcnt(0)
	v_sub_f32_e32 v2, v13, v6
	ds_bpermute_b32 v4, v67, v69 offset:16
	v_mul_f32_e32 v2, v21, v2
	v_mul_f32_e32 v11, v2, v8
	ds_bpermute_b32 v2, v67, v68 offset:16
	ds_bpermute_b32 v6, v67, v69 offset:20
	;; [unrolled: 1-line block ×3, first 2 shown]
	s_waitcnt lgkmcnt(3)
	v_sub_f32_e32 v4, v14, v4
	v_mul_f32_e32 v4, v22, v4
	s_waitcnt lgkmcnt(2)
	v_mul_f32_e32 v13, v4, v2
	s_waitcnt lgkmcnt(1)
	v_sub_f32_e32 v2, v15, v6
	v_mul_f32_e32 v2, v23, v2
	s_waitcnt lgkmcnt(0)
	v_mul_f32_e32 v15, v2, v8
	ds_bpermute_b32 v2, v67, v69 offset:24
	v_mov_b32_e32 v4, v18
	v_pk_add_f32 v[4:5], v[30:31], v[4:5]
	v_mov_b32_e32 v6, v19
	v_pk_add_f32 v[4:5], v[6:7], v[4:5]
	ds_bpermute_b32 v7, v67, v68 offset:24
	v_mov_b32_e32 v8, v20
	s_waitcnt lgkmcnt(1)
	v_sub_f32_e32 v2, v16, v2
	v_pk_add_f32 v[4:5], v[8:9], v[4:5]
	v_mul_f32_e32 v8, v24, v2
	ds_bpermute_b32 v2, v67, v68 offset:28
	ds_bpermute_b32 v6, v67, v69 offset:28
	v_pk_add_f32 v[4:5], v[10:11], v[4:5]
	v_mov_b32_e32 v12, v22
	v_pk_add_f32 v[4:5], v[12:13], v[4:5]
	v_mov_b32_e32 v14, v23
	v_pk_add_f32 v[4:5], v[14:15], v[4:5]
	s_waitcnt lgkmcnt(2)
	v_mul_f32_e32 v9, v8, v7
	v_mov_b32_e32 v8, v24
	v_pk_add_f32 v[4:5], v[8:9], v[4:5]
	s_branch .LBB86_4
.LBB86_27:                              ;   in Loop: Header=BB86_5 Depth=1
                                        ; implicit-def: $vgpr4_vgpr5
                                        ; implicit-def: $vgpr2
                                        ; implicit-def: $vgpr10_vgpr11_vgpr12_vgpr13_vgpr14_vgpr15_vgpr16_vgpr17
                                        ; implicit-def: $vgpr18_vgpr19_vgpr20_vgpr21_vgpr22_vgpr23_vgpr24_vgpr25
                                        ; implicit-def: $vgpr6
	s_cbranch_execz .LBB86_4
; %bb.28:                               ;   in Loop: Header=BB86_5 Depth=1
	s_load_dword s9, s[34:35], 0x0
	v_mov_b32_e32 v68, 0
	v_mov_b32_e32 v69, 0
	s_waitcnt lgkmcnt(0)
	s_cmp_lt_u32 s2, s9
	s_cselect_b32 s9, 12, 18
	s_add_u32 s22, s34, s9
	s_addc_u32 s23, s35, 0
	global_load_ushort v2, v3, s[22:23]
	s_waitcnt vmcnt(0)
	v_mad_u32_u24 v2, v66, v2, v1
	v_and_b32_e32 v2, 63, v2
	v_cmp_gt_u32_e32 vcc, 8, v2
	s_and_saveexec_b64 s[22:23], vcc
	s_cbranch_execz .LBB86_32
; %bb.29:                               ;   in Loop: Header=BB86_5 Depth=1
	v_lshl_add_u64 v[4:5], v[64:65], 0, v[2:3]
	v_cmp_gt_i64_e32 vcc, s[12:13], v[4:5]
	v_mov_b32_e32 v69, 0
	v_mov_b32_e32 v68, 0
	s_and_saveexec_b64 s[24:25], vcc
	s_cbranch_execz .LBB86_31
; %bb.30:                               ;   in Loop: Header=BB86_5 Depth=1
	v_lshlrev_b64 v[4:5], 2, v[4:5]
	v_lshl_add_u64 v[6:7], s[30:31], 0, v[4:5]
	v_lshl_add_u64 v[4:5], s[28:29], 0, v[4:5]
	global_load_dword v69, v[4:5], off
	global_load_dword v68, v[6:7], off
.LBB86_31:                              ;   in Loop: Header=BB86_5 Depth=1
	s_or_b64 exec, exec, s[24:25]
.LBB86_32:                              ;   in Loop: Header=BB86_5 Depth=1
	s_or_b64 exec, exec, s[22:23]
	s_mov_b32 s21, s20
	s_mov_b32 s22, s20
	;; [unrolled: 1-line block ×7, first 2 shown]
	v_mov_b64_e32 v[10:11], s[20:21]
	v_mov_b64_e32 v[16:17], s[26:27]
	;; [unrolled: 1-line block ×8, first 2 shown]
	s_and_saveexec_b64 s[22:23], s[6:7]
	s_cbranch_execnz .LBB86_40
; %bb.33:                               ;   in Loop: Header=BB86_5 Depth=1
	s_or_b64 exec, exec, s[22:23]
	s_and_saveexec_b64 s[22:23], s[6:7]
	s_cbranch_execnz .LBB86_41
.LBB86_34:                              ;   in Loop: Header=BB86_5 Depth=1
	s_or_b64 exec, exec, s[22:23]
	s_and_saveexec_b64 s[22:23], s[6:7]
	s_cbranch_execnz .LBB86_42
.LBB86_35:                              ;   in Loop: Header=BB86_5 Depth=1
	s_or_b64 exec, exec, s[22:23]
	s_and_saveexec_b64 s[22:23], s[6:7]
	s_cbranch_execnz .LBB86_43
.LBB86_36:                              ;   in Loop: Header=BB86_5 Depth=1
	s_or_b64 exec, exec, s[22:23]
	s_and_saveexec_b64 s[22:23], s[6:7]
	s_cbranch_execnz .LBB86_44
.LBB86_37:                              ;   in Loop: Header=BB86_5 Depth=1
	s_or_b64 exec, exec, s[22:23]
	s_and_saveexec_b64 s[22:23], s[6:7]
	s_cbranch_execnz .LBB86_45
.LBB86_38:                              ;   in Loop: Header=BB86_5 Depth=1
	s_or_b64 exec, exec, s[22:23]
	s_and_saveexec_b64 s[22:23], s[6:7]
	s_cbranch_execnz .LBB86_46
.LBB86_39:                              ;   in Loop: Header=BB86_5 Depth=1
	s_or_b64 exec, exec, s[22:23]
	s_and_saveexec_b64 s[22:23], s[6:7]
	s_cbranch_execz .LBB86_3
	s_branch .LBB86_47
.LBB86_40:                              ;   in Loop: Header=BB86_5 Depth=1
	v_lshl_add_u64 v[4:5], v[60:61], 0, v[28:29]
	global_load_ushort v2, v[4:5], off
	v_lshl_add_u64 v[4:5], v[62:63], 0, v[28:29]
	global_load_ushort v10, v[4:5], off
	v_mov_b32_e32 v8, v3
	v_mov_b32_e32 v9, v3
	;; [unrolled: 1-line block ×13, first 2 shown]
	s_waitcnt vmcnt(1)
	v_cvt_f32_f16_e32 v2, v2
	v_mov_b64_e32 v[24:25], v[8:9]
	s_waitcnt vmcnt(0)
	v_cvt_f32_f16_e32 v10, v10
	v_mov_b64_e32 v[22:23], v[6:7]
	v_mov_b64_e32 v[20:21], v[4:5]
	;; [unrolled: 1-line block ×3, first 2 shown]
	s_or_b64 exec, exec, s[22:23]
	s_and_saveexec_b64 s[22:23], s[6:7]
	s_cbranch_execz .LBB86_34
.LBB86_41:                              ;   in Loop: Header=BB86_5 Depth=1
	v_lshl_add_u64 v[4:5], v[56:57], 0, v[28:29]
	global_load_ushort v2, v[4:5], off
	v_lshl_add_u64 v[4:5], v[58:59], 0, v[28:29]
	global_load_ushort v4, v[4:5], off
	s_waitcnt vmcnt(1)
	v_cvt_f32_f16_e32 v19, v2
	s_waitcnt vmcnt(0)
	v_cvt_f32_f16_e32 v11, v4
	s_or_b64 exec, exec, s[22:23]
	s_and_saveexec_b64 s[22:23], s[6:7]
	s_cbranch_execz .LBB86_35
.LBB86_42:                              ;   in Loop: Header=BB86_5 Depth=1
	v_lshl_add_u64 v[4:5], v[52:53], 0, v[28:29]
	global_load_ushort v2, v[4:5], off
	v_lshl_add_u64 v[4:5], v[54:55], 0, v[28:29]
	global_load_ushort v4, v[4:5], off
	s_waitcnt vmcnt(1)
	v_cvt_f32_f16_e32 v20, v2
	s_waitcnt vmcnt(0)
	v_cvt_f32_f16_e32 v12, v4
	s_or_b64 exec, exec, s[22:23]
	s_and_saveexec_b64 s[22:23], s[6:7]
	s_cbranch_execz .LBB86_36
.LBB86_43:                              ;   in Loop: Header=BB86_5 Depth=1
	v_lshl_add_u64 v[4:5], v[48:49], 0, v[28:29]
	global_load_ushort v2, v[4:5], off
	v_lshl_add_u64 v[4:5], v[50:51], 0, v[28:29]
	global_load_ushort v4, v[4:5], off
	s_waitcnt vmcnt(1)
	v_cvt_f32_f16_e32 v21, v2
	s_waitcnt vmcnt(0)
	v_cvt_f32_f16_e32 v13, v4
	s_or_b64 exec, exec, s[22:23]
	s_and_saveexec_b64 s[22:23], s[6:7]
	s_cbranch_execz .LBB86_37
.LBB86_44:                              ;   in Loop: Header=BB86_5 Depth=1
	v_lshl_add_u64 v[4:5], v[44:45], 0, v[28:29]
	global_load_ushort v2, v[4:5], off
	v_lshl_add_u64 v[4:5], v[46:47], 0, v[28:29]
	global_load_ushort v4, v[4:5], off
	s_waitcnt vmcnt(1)
	v_cvt_f32_f16_e32 v22, v2
	s_waitcnt vmcnt(0)
	v_cvt_f32_f16_e32 v14, v4
	s_or_b64 exec, exec, s[22:23]
	s_and_saveexec_b64 s[22:23], s[6:7]
	s_cbranch_execz .LBB86_38
.LBB86_45:                              ;   in Loop: Header=BB86_5 Depth=1
	v_lshl_add_u64 v[4:5], v[40:41], 0, v[28:29]
	global_load_ushort v2, v[4:5], off
	v_lshl_add_u64 v[4:5], v[42:43], 0, v[28:29]
	global_load_ushort v4, v[4:5], off
	s_waitcnt vmcnt(1)
	v_cvt_f32_f16_e32 v23, v2
	s_waitcnt vmcnt(0)
	v_cvt_f32_f16_e32 v15, v4
	s_or_b64 exec, exec, s[22:23]
	s_and_saveexec_b64 s[22:23], s[6:7]
	s_cbranch_execz .LBB86_39
.LBB86_46:                              ;   in Loop: Header=BB86_5 Depth=1
	v_lshl_add_u64 v[4:5], v[36:37], 0, v[28:29]
	global_load_ushort v2, v[4:5], off
	v_lshl_add_u64 v[4:5], v[38:39], 0, v[28:29]
	global_load_ushort v4, v[4:5], off
	s_waitcnt vmcnt(1)
	v_cvt_f32_f16_e32 v24, v2
	s_waitcnt vmcnt(0)
	v_cvt_f32_f16_e32 v16, v4
	s_or_b64 exec, exec, s[22:23]
	s_and_saveexec_b64 s[22:23], s[6:7]
	s_cbranch_execz .LBB86_3
.LBB86_47:                              ;   in Loop: Header=BB86_5 Depth=1
	v_lshl_add_u64 v[4:5], v[32:33], 0, v[28:29]
	global_load_ushort v2, v[4:5], off
	v_lshl_add_u64 v[4:5], v[34:35], 0, v[28:29]
	global_load_ushort v4, v[4:5], off
	s_waitcnt vmcnt(1)
	v_cvt_f32_f16_e32 v25, v2
	s_waitcnt vmcnt(0)
	v_cvt_f32_f16_e32 v17, v4
	s_branch .LBB86_3
.LBB86_48:
                                        ; implicit-def: $vgpr31
	s_branch .LBB86_50
.LBB86_49:
	s_cbranch_execnz .LBB86_81
.LBB86_50:
	v_mov_b32_e32 v31, 0
	s_mov_b32 s20, 0
	s_and_b64 vcc, exec, s[4:5]
	v_mov_b32_e32 v30, v31
	s_cbranch_vccnz .LBB86_81
; %bb.51:
	v_and_b32_e32 v1, 0x3ff, v0
	v_add_u32_e32 v2, s3, v1
	v_mov_b32_e32 v3, 0
	v_bfe_u32 v96, v0, 10, 10
	v_lshlrev_b64 v[28:29], 1, v[2:3]
	v_lshlrev_b32_e32 v2, 4, v96
	v_lshl_add_u64 v[4:5], s[10:11], 1, v[2:3]
	v_lshl_add_u64 v[6:7], v[4:5], 0, 2
	v_mov_b64_e32 v[8:9], s[16:17]
	v_lshl_add_u64 v[10:11], v[4:5], 0, 4
	v_lshl_add_u64 v[12:13], v[4:5], 0, 6
	;; [unrolled: 1-line block ×6, first 2 shown]
	v_mad_u64_u32 v[32:33], s[4:5], s14, v6, v[8:9]
	v_mad_u64_u32 v[34:35], s[4:5], s14, v10, v[8:9]
	;; [unrolled: 1-line block ×7, first 2 shown]
	v_mov_b64_e32 v[8:9], s[18:19]
	v_lshlrev_b32_e32 v26, 3, v96
	v_mov_b32_e32 v27, v3
	v_mul_lo_u32 v2, s14, v7
	v_mul_lo_u32 v7, s15, v6
	v_mad_u64_u32 v[46:47], s[4:5], s14, v6, v[8:9]
	v_add3_u32 v33, v7, v33, v2
	v_mul_lo_u32 v5, s14, v5
	v_mul_lo_u32 v25, s15, v4
	v_add3_u32 v47, v7, v47, v2
	v_lshl_add_u64 v[6:7], v[26:27], 0, s[10:11]
	v_mad_u64_u32 v[58:59], s[4:5], s14, v4, v[8:9]
	v_add3_u32 v45, v25, v45, v5
	v_add3_u32 v59, v25, v59, v5
	v_lshl_add_u64 v[4:5], v[6:7], 0, 7
	v_mad_u64_u32 v[48:49], s[4:5], s14, v10, v[8:9]
	v_mad_u64_u32 v[50:51], s[4:5], s14, v12, v[8:9]
	;; [unrolled: 1-line block ×5, first 2 shown]
	v_mul_lo_u32 v8, s15, v4
	v_mul_lo_u32 v9, s14, v5
	v_mad_u64_u32 v[4:5], s[4:5], s14, v4, 0
	v_mul_lo_u32 v11, s14, v11
	v_mul_lo_u32 v20, s15, v10
	v_add3_u32 v5, v5, v9, v8
	v_lshl_add_u64 v[8:9], v[6:7], 0, 6
	v_add3_u32 v35, v20, v35, v11
	v_add3_u32 v49, v20, v49, v11
	v_mul_lo_u32 v10, s15, v8
	v_mul_lo_u32 v11, s14, v9
	v_mad_u64_u32 v[8:9], s[4:5], s14, v8, 0
	v_mul_lo_u32 v13, s14, v13
	v_mul_lo_u32 v21, s15, v12
	v_add3_u32 v9, v9, v11, v10
	v_lshl_add_u64 v[10:11], v[6:7], 0, 5
	v_add3_u32 v37, v21, v37, v13
	v_add3_u32 v51, v21, v51, v13
	;; [unrolled: 9-line block ×4, first 2 shown]
	v_mul_lo_u32 v16, s15, v14
	v_mul_lo_u32 v17, s14, v15
	v_mad_u64_u32 v[14:15], s[4:5], s14, v14, 0
	v_mul_lo_u32 v19, s14, v19
	v_mul_lo_u32 v24, s15, v18
	v_add3_u32 v15, v15, v17, v16
	v_lshl_add_u64 v[16:17], v[6:7], 0, 2
	s_load_dword s3, s[0:1], 0x44
	v_add3_u32 v43, v24, v43, v19
	v_add3_u32 v57, v24, v57, v19
	v_mul_lo_u32 v18, s15, v16
	v_mul_lo_u32 v19, s14, v17
	v_mad_u64_u32 v[16:17], s[4:5], s14, v16, 0
	v_lshlrev_b64 v[4:5], 1, v[4:5]
	v_add3_u32 v17, v17, v19, v18
	v_mov_b64_e32 v[18:19], s[14:15]
	v_lshl_add_u64 v[64:65], s[16:17], 0, v[4:5]
	v_lshl_add_u64 v[66:67], s[18:19], 0, v[4:5]
	v_lshlrev_b64 v[4:5], 1, v[8:9]
	v_mul_lo_u32 v2, s15, v6
	v_mad_u64_u32 v[18:19], s[4:5], s14, v6, v[18:19]
	v_mul_lo_u32 v20, s14, v7
	v_mad_u64_u32 v[6:7], s[4:5], s14, v6, 0
	v_lshl_add_u64 v[68:69], s[16:17], 0, v[4:5]
	v_lshl_add_u64 v[70:71], s[18:19], 0, v[4:5]
	v_lshlrev_b64 v[4:5], 1, v[10:11]
	s_add_u32 s4, s0, 64
	v_lshl_add_u64 v[72:73], s[16:17], 0, v[4:5]
	v_lshl_add_u64 v[74:75], s[18:19], 0, v[4:5]
	v_lshlrev_b64 v[4:5], 1, v[12:13]
	v_add3_u32 v7, v7, v20, v2
	v_add3_u32 v19, v2, v19, v20
	s_addc_u32 s5, s1, 0
	s_waitcnt lgkmcnt(0)
	s_lshl_b32 s6, s3, 3
	v_lshl_add_u64 v[76:77], s[16:17], 0, v[4:5]
	v_lshl_add_u64 v[78:79], s[18:19], 0, v[4:5]
	v_lshlrev_b64 v[4:5], 1, v[14:15]
	v_mbcnt_lo_u32_b32 v2, -1, 0
	s_mul_i32 s3, s15, s6
	s_mul_hi_u32 s9, s14, s6
	v_lshl_add_u64 v[80:81], s[16:17], 0, v[4:5]
	v_lshl_add_u64 v[82:83], s[18:19], 0, v[4:5]
	v_lshlrev_b64 v[4:5], 1, v[16:17]
	v_mbcnt_hi_u32_b32 v2, -1, v2
	s_add_i32 s23, s9, s3
	s_mul_i32 s22, s14, s6
	v_lshlrev_b64 v[6:7], 1, v[6:7]
	v_lshl_add_u64 v[84:85], s[16:17], 0, v[4:5]
	v_lshl_add_u64 v[86:87], s[18:19], 0, v[4:5]
	v_lshlrev_b64 v[4:5], 1, v[18:19]
	v_lshlrev_b32_e32 v2, 2, v2
	s_mov_b32 s7, s20
	s_lshl_b64 s[34:35], s[22:23], 1
	v_lshl_add_u64 v[60:61], s[16:17], 0, v[6:7]
	v_lshl_add_u64 v[62:63], s[18:19], 0, v[6:7]
	s_mov_b64 s[36:37], 7
	v_lshl_add_u64 v[88:89], s[16:17], 0, v[4:5]
	v_lshl_add_u64 v[90:91], s[18:19], 0, v[4:5]
	v_and_b32_e32 v97, 0x100, v2
	s_mov_b64 s[16:17], s[10:11]
	v_mov_b32_e32 v30, v3
	v_mov_b32_e32 v31, v3
	s_branch .LBB86_55
.LBB86_52:                              ;   in Loop: Header=BB86_55 Depth=1
	s_or_b64 exec, exec, s[22:23]
.LBB86_53:                              ;   in Loop: Header=BB86_55 Depth=1
	s_or_b64 exec, exec, s[18:19]
	v_lshl_add_u64 v[4:5], v[60:61], 0, v[28:29]
	global_load_ushort v2, v[4:5], off
	v_lshl_add_u64 v[4:5], v[62:63], 0, v[28:29]
	global_load_ushort v8, v[4:5], off
	;; [unrolled: 2-line block ×16, first 2 shown]
	s_waitcnt vmcnt(17)
	ds_bpermute_b32 v23, v97, v7
	ds_bpermute_b32 v25, v97, v7 offset:4
	ds_bpermute_b32 v31, v97, v7 offset:8
	ds_bpermute_b32 v95, v97, v7 offset:12
	ds_bpermute_b32 v99, v97, v7 offset:16
	ds_bpermute_b32 v101, v97, v7 offset:20
	ds_bpermute_b32 v103, v97, v7 offset:24
	ds_bpermute_b32 v7, v97, v7 offset:28
	s_waitcnt vmcnt(16)
	ds_bpermute_b32 v22, v97, v6
	ds_bpermute_b32 v24, v97, v6 offset:4
	ds_bpermute_b32 v30, v97, v6 offset:8
	;; [unrolled: 1-line block ×7, first 2 shown]
	s_waitcnt vmcnt(15)
	v_cvt_f32_f16_e32 v4, v2
	s_waitcnt vmcnt(14)
	v_cvt_f32_f16_e32 v2, v8
	;; [unrolled: 2-line block ×4, first 2 shown]
	s_waitcnt lgkmcnt(14)
	v_sub_f32_e32 v2, v2, v23
	s_waitcnt vmcnt(11)
	v_cvt_f32_f16_e32 v8, v11
	v_mul_f32_e32 v2, v2, v4
	s_waitcnt vmcnt(10)
	v_cvt_f32_f16_e32 v11, v12
	v_sub_f32_e32 v9, v9, v25
	s_waitcnt vmcnt(9)
	v_cvt_f32_f16_e32 v10, v13
	s_waitcnt vmcnt(8)
	v_cvt_f32_f16_e32 v13, v14
	s_waitcnt lgkmcnt(13)
	v_sub_f32_e32 v11, v11, v31
	s_waitcnt vmcnt(7)
	v_cvt_f32_f16_e32 v12, v15
	s_waitcnt vmcnt(6)
	v_cvt_f32_f16_e32 v15, v16
	s_waitcnt lgkmcnt(12)
	;; [unrolled: 6-line block ×5, first 2 shown]
	v_sub_f32_e32 v19, v19, v103
	s_waitcnt lgkmcnt(8)
	v_sub_f32_e32 v5, v5, v7
	v_mul_f32_e32 v7, v9, v6
	v_mul_f32_e32 v9, v11, v8
	;; [unrolled: 1-line block ×7, first 2 shown]
	s_waitcnt lgkmcnt(7)
	v_mul_f32_e32 v5, v2, v22
	s_waitcnt lgkmcnt(6)
	v_mul_f32_e32 v7, v7, v24
	v_pk_add_f32 v[4:5], v[92:93], v[4:5]
	s_waitcnt lgkmcnt(5)
	v_mul_f32_e32 v9, v9, v30
	v_pk_add_f32 v[4:5], v[4:5], v[6:7]
	;; [unrolled: 3-line block ×7, first 2 shown]
	s_nop 0
	v_pk_add_f32 v[30:31], v[4:5], v[18:19]
.LBB86_54:                              ;   in Loop: Header=BB86_55 Depth=1
	s_add_u32 s16, s16, s6
	s_addc_u32 s17, s17, 0
	v_mov_b64_e32 v[4:5], s[12:13]
	s_add_u32 s36, s36, s6
	v_cmp_ge_i64_e32 vcc, s[16:17], v[4:5]
	v_lshl_add_u64 v[26:27], v[26:27], 0, s[6:7]
	v_lshl_add_u64 v[32:33], v[32:33], 0, s[34:35]
	;; [unrolled: 1-line block ×31, first 2 shown]
	s_addc_u32 s37, s37, 0
	s_cbranch_vccnz .LBB86_81
.LBB86_55:                              ; =>This Inner Loop Header: Depth=1
	s_add_u32 s18, s10, s36
	s_addc_u32 s19, 0, s37
	v_mov_b64_e32 v[4:5], s[12:13]
	v_cmp_ge_i64_e32 vcc, s[18:19], v[4:5]
	v_mov_b32_e32 v92, v30
	v_mov_b32_e32 v93, v31
	v_lshl_add_u64 v[94:95], s[10:11], 0, v[26:27]
	s_cbranch_vccz .LBB86_77
; %bb.56:                               ;   in Loop: Header=BB86_55 Depth=1
	s_load_dword s3, s[4:5], 0xc
	v_mov_b32_e32 v30, 0
	v_mov_b32_e32 v31, 0
	s_waitcnt lgkmcnt(0)
	s_and_b32 s3, s3, 0xffff
	v_mad_u32_u24 v2, v96, s3, v1
	v_and_b32_e32 v2, 63, v2
	v_cmp_gt_u32_e32 vcc, 8, v2
	s_and_saveexec_b64 s[18:19], vcc
	s_cbranch_execz .LBB86_60
; %bb.57:                               ;   in Loop: Header=BB86_55 Depth=1
	v_lshl_add_u64 v[4:5], v[94:95], 0, v[2:3]
	v_cmp_gt_i64_e32 vcc, s[12:13], v[4:5]
	v_mov_b32_e32 v31, 0
	v_mov_b32_e32 v30, 0
	s_and_saveexec_b64 s[22:23], vcc
	s_cbranch_execz .LBB86_59
; %bb.58:                               ;   in Loop: Header=BB86_55 Depth=1
	v_lshlrev_b64 v[4:5], 2, v[4:5]
	v_lshl_add_u64 v[6:7], s[30:31], 0, v[4:5]
	v_lshl_add_u64 v[4:5], s[28:29], 0, v[4:5]
	global_load_dword v31, v[4:5], off
	global_load_dword v30, v[6:7], off
.LBB86_59:                              ;   in Loop: Header=BB86_55 Depth=1
	s_or_b64 exec, exec, s[22:23]
.LBB86_60:                              ;   in Loop: Header=BB86_55 Depth=1
	s_or_b64 exec, exec, s[18:19]
	s_mov_b32 s21, s20
	s_mov_b32 s22, s20
	;; [unrolled: 1-line block ×7, first 2 shown]
	v_mov_b64_e32 v[10:11], s[20:21]
	v_mov_b64_e32 v[16:17], s[26:27]
	;; [unrolled: 1-line block ×5, first 2 shown]
	v_cmp_gt_i64_e32 vcc, s[12:13], v[94:95]
	v_mov_b64_e32 v[22:23], v[14:15]
	v_mov_b64_e32 v[20:21], v[12:13]
	;; [unrolled: 1-line block ×3, first 2 shown]
	s_and_saveexec_b64 s[18:19], vcc
	s_cbranch_execz .LBB86_62
; %bb.61:                               ;   in Loop: Header=BB86_55 Depth=1
	v_lshl_add_u64 v[4:5], v[60:61], 0, v[28:29]
	global_load_ushort v2, v[4:5], off
	v_lshl_add_u64 v[4:5], v[62:63], 0, v[28:29]
	global_load_ushort v10, v[4:5], off
	v_mov_b32_e32 v8, v3
	v_mov_b32_e32 v9, v3
	v_mov_b32_e32 v4, v3
	v_mov_b32_e32 v5, v3
	v_mov_b32_e32 v6, v3
	v_mov_b32_e32 v7, v3
	v_mov_b32_e32 v11, v3
	v_mov_b32_e32 v12, v3
	v_mov_b32_e32 v13, v3
	v_mov_b32_e32 v14, v3
	v_mov_b32_e32 v15, v3
	v_mov_b32_e32 v16, v3
	v_mov_b32_e32 v17, v3
	s_waitcnt vmcnt(1)
	v_cvt_f32_f16_e32 v2, v2
	v_mov_b64_e32 v[24:25], v[8:9]
	s_waitcnt vmcnt(0)
	v_cvt_f32_f16_e32 v10, v10
	v_mov_b64_e32 v[22:23], v[6:7]
	v_mov_b64_e32 v[20:21], v[4:5]
	;; [unrolled: 1-line block ×3, first 2 shown]
.LBB86_62:                              ;   in Loop: Header=BB86_55 Depth=1
	s_or_b64 exec, exec, s[18:19]
	v_lshl_add_u64 v[4:5], v[94:95], 0, 1
	v_cmp_gt_i64_e32 vcc, s[12:13], v[4:5]
	s_and_saveexec_b64 s[18:19], vcc
	s_cbranch_execz .LBB86_64
; %bb.63:                               ;   in Loop: Header=BB86_55 Depth=1
	v_lshl_add_u64 v[4:5], v[88:89], 0, v[28:29]
	global_load_ushort v2, v[4:5], off
	v_lshl_add_u64 v[4:5], v[90:91], 0, v[28:29]
	global_load_ushort v4, v[4:5], off
	s_waitcnt vmcnt(1)
	v_cvt_f32_f16_e32 v19, v2
	s_waitcnt vmcnt(0)
	v_cvt_f32_f16_e32 v11, v4
.LBB86_64:                              ;   in Loop: Header=BB86_55 Depth=1
	s_or_b64 exec, exec, s[18:19]
	v_lshl_add_u64 v[4:5], v[94:95], 0, 2
	v_cmp_gt_i64_e32 vcc, s[12:13], v[4:5]
	s_and_saveexec_b64 s[18:19], vcc
	s_cbranch_execz .LBB86_66
; %bb.65:                               ;   in Loop: Header=BB86_55 Depth=1
	v_lshl_add_u64 v[4:5], v[84:85], 0, v[28:29]
	global_load_ushort v2, v[4:5], off
	v_lshl_add_u64 v[4:5], v[86:87], 0, v[28:29]
	global_load_ushort v4, v[4:5], off
	s_waitcnt vmcnt(1)
	v_cvt_f32_f16_e32 v20, v2
	s_waitcnt vmcnt(0)
	v_cvt_f32_f16_e32 v12, v4
.LBB86_66:                              ;   in Loop: Header=BB86_55 Depth=1
	;; [unrolled: 15-line block ×7, first 2 shown]
	s_or_b64 exec, exec, s[18:19]
	s_waitcnt vmcnt(1)
	ds_bpermute_b32 v2, v97, v31
	s_waitcnt vmcnt(0)
	ds_bpermute_b32 v4, v97, v30
	ds_bpermute_b32 v7, v97, v31 offset:4
	ds_bpermute_b32 v6, v97, v30 offset:4
	;; [unrolled: 1-line block ×3, first 2 shown]
	s_waitcnt lgkmcnt(4)
	v_sub_f32_e32 v2, v10, v2
	v_mul_f32_e32 v2, v18, v2
	s_waitcnt lgkmcnt(3)
	v_mul_f32_e32 v5, v2, v4
	ds_bpermute_b32 v4, v97, v30 offset:8
	s_waitcnt lgkmcnt(3)
	v_sub_f32_e32 v2, v11, v7
	v_mul_f32_e32 v2, v19, v2
	s_waitcnt lgkmcnt(2)
	v_mul_f32_e32 v7, v2, v6
	s_waitcnt lgkmcnt(1)
	v_sub_f32_e32 v2, v12, v8
	ds_bpermute_b32 v6, v97, v31 offset:12
	v_mul_f32_e32 v2, v20, v2
	s_waitcnt lgkmcnt(1)
	v_mul_f32_e32 v9, v2, v4
	ds_bpermute_b32 v2, v97, v30 offset:12
	ds_bpermute_b32 v4, v97, v31 offset:16
	;; [unrolled: 1-line block ×3, first 2 shown]
	s_waitcnt lgkmcnt(3)
	v_sub_f32_e32 v6, v13, v6
	v_mul_f32_e32 v6, v21, v6
	s_waitcnt lgkmcnt(2)
	v_mul_f32_e32 v11, v6, v2
	s_waitcnt lgkmcnt(1)
	v_sub_f32_e32 v2, v14, v4
	ds_bpermute_b32 v4, v97, v31 offset:20
	v_mul_f32_e32 v2, v22, v2
	s_waitcnt lgkmcnt(1)
	v_mul_f32_e32 v13, v2, v8
	ds_bpermute_b32 v2, v97, v30 offset:20
	ds_bpermute_b32 v6, v97, v31 offset:24
	;; [unrolled: 1-line block ×3, first 2 shown]
	s_waitcnt lgkmcnt(3)
	v_sub_f32_e32 v4, v15, v4
	v_mul_f32_e32 v4, v23, v4
	s_waitcnt lgkmcnt(2)
	v_mul_f32_e32 v15, v4, v2
	s_waitcnt lgkmcnt(1)
	v_sub_f32_e32 v2, v16, v6
	v_mul_f32_e32 v2, v24, v2
	s_waitcnt lgkmcnt(0)
	v_mul_f32_e32 v99, v2, v8
	v_mov_b32_e32 v4, v18
	ds_bpermute_b32 v2, v97, v31 offset:28
	v_pk_add_f32 v[4:5], v[92:93], v[4:5]
	v_mov_b32_e32 v6, v19
	v_pk_add_f32 v[4:5], v[6:7], v[4:5]
	v_mov_b32_e32 v8, v20
	ds_bpermute_b32 v6, v97, v30 offset:28
	v_pk_add_f32 v[4:5], v[8:9], v[4:5]
	v_mov_b32_e32 v10, v21
	v_pk_add_f32 v[4:5], v[10:11], v[4:5]
	v_mov_b32_e32 v12, v22
	;; [unrolled: 2-line block ×3, first 2 shown]
	s_waitcnt lgkmcnt(1)
	v_sub_f32_e32 v2, v17, v2
	v_pk_add_f32 v[4:5], v[14:15], v[4:5]
	v_mov_b32_e32 v98, v24
	v_mul_f32_e32 v2, v25, v2
	v_pk_add_f32 v[4:5], v[98:99], v[4:5]
	s_waitcnt lgkmcnt(0)
	v_mul_f32_e32 v7, v2, v6
	v_mov_b32_e32 v6, v25
	v_pk_add_f32 v[30:31], v[6:7], v[4:5]
	s_branch .LBB86_54
.LBB86_77:                              ;   in Loop: Header=BB86_55 Depth=1
                                        ; implicit-def: $vgpr31
	s_cbranch_execz .LBB86_54
; %bb.78:                               ;   in Loop: Header=BB86_55 Depth=1
	s_load_dword s3, s[4:5], 0x0
	v_mov_b32_e32 v6, 0
	v_mov_b32_e32 v7, 0
	s_waitcnt lgkmcnt(0)
	s_cmp_lt_u32 s2, s3
	s_cselect_b32 s3, 12, 18
	s_add_u32 s18, s4, s3
	s_addc_u32 s19, s5, 0
	global_load_ushort v2, v3, s[18:19]
	s_waitcnt vmcnt(0)
	v_mad_u32_u24 v2, v96, v2, v1
	v_and_b32_e32 v2, 63, v2
	v_cmp_gt_u32_e32 vcc, 8, v2
	s_and_saveexec_b64 s[18:19], vcc
	s_cbranch_execz .LBB86_53
; %bb.79:                               ;   in Loop: Header=BB86_55 Depth=1
	v_lshl_add_u64 v[4:5], v[94:95], 0, v[2:3]
	v_cmp_gt_i64_e32 vcc, s[12:13], v[4:5]
	v_mov_b32_e32 v7, 0
	v_mov_b32_e32 v6, 0
	s_and_saveexec_b64 s[22:23], vcc
	s_cbranch_execz .LBB86_52
; %bb.80:                               ;   in Loop: Header=BB86_55 Depth=1
	v_lshlrev_b64 v[4:5], 2, v[4:5]
	v_lshl_add_u64 v[8:9], s[30:31], 0, v[4:5]
	v_lshl_add_u64 v[4:5], s[28:29], 0, v[4:5]
	global_load_dword v7, v[4:5], off
	global_load_dword v6, v[8:9], off
	s_branch .LBB86_52
.LBB86_81:
	s_mov_b32 s3, 0
	s_lshl_b64 s[2:3], s[2:3], 5
	v_and_b32_e32 v1, 0x3ff, v0
	v_or_b32_e32 v2, s2, v1
	v_mov_b32_e32 v3, s3
	v_cmp_gt_i64_e32 vcc, s[14:15], v[2:3]
	s_and_saveexec_b64 s[2:3], vcc
	s_cbranch_execz .LBB86_86
; %bb.82:
	s_load_dword s2, s[0:1], 0x4c
	s_load_dwordx4 s[4:7], s[0:1], 0x30
	v_bfe_u32 v0, v0, 10, 10
	v_mov_b32_e32 v1, 0
	v_mov_b32_e32 v4, s8
	s_waitcnt lgkmcnt(0)
	s_lshr_b32 s0, s2, 16
	v_mad_u64_u32 v[0:1], s[0:1], s0, v4, v[0:1]
	s_cmp_eq_u64 s[4:5], 0
	v_mul_lo_u32 v1, v1, s14
	v_mul_lo_u32 v4, v0, s15
	s_cbranch_scc1 .LBB86_84
; %bb.83:
	v_cvt_f16_f32_e32 v5, v31
	v_mad_u64_u32 v[6:7], s[0:1], v0, s14, 0
	v_add3_u32 v7, v7, v4, v1
	v_lshl_add_u64 v[6:7], v[6:7], 1, s[4:5]
	v_lshl_add_u64 v[6:7], v[2:3], 1, v[6:7]
	global_store_short v[6:7], v5, off
.LBB86_84:
	s_cmp_eq_u64 s[6:7], 0
	s_cbranch_scc1 .LBB86_86
; %bb.85:
	v_cvt_f16_f32_e32 v5, v30
	v_mad_u64_u32 v[6:7], s[0:1], v0, s14, 0
	v_add3_u32 v7, v7, v4, v1
	v_lshl_add_u64 v[0:1], v[6:7], 1, s[6:7]
	v_lshl_add_u64 v[0:1], v[2:3], 1, v[0:1]
	global_store_short v[0:1], v5, off
.LBB86_86:
	s_endpgm
	.section	.rodata,"a",@progbits
	.p2align	6, 0x0
	.amdhsa_kernel _ZN2at6native12_GLOBAL__N_135GammaBetaBackwardCUDAKernelTemplateIN3c104HalfEfLj32ELj1ELj8ELb1ELb0ELb0EEEvllPKT_S7_PKT0_SA_PS5_SB_
		.amdhsa_group_segment_fixed_size 0
		.amdhsa_private_segment_fixed_size 0
		.amdhsa_kernarg_size 320
		.amdhsa_user_sgpr_count 2
		.amdhsa_user_sgpr_dispatch_ptr 0
		.amdhsa_user_sgpr_queue_ptr 0
		.amdhsa_user_sgpr_kernarg_segment_ptr 1
		.amdhsa_user_sgpr_dispatch_id 0
		.amdhsa_user_sgpr_kernarg_preload_length 0
		.amdhsa_user_sgpr_kernarg_preload_offset 0
		.amdhsa_user_sgpr_private_segment_size 0
		.amdhsa_uses_dynamic_stack 0
		.amdhsa_enable_private_segment 0
		.amdhsa_system_sgpr_workgroup_id_x 1
		.amdhsa_system_sgpr_workgroup_id_y 1
		.amdhsa_system_sgpr_workgroup_id_z 0
		.amdhsa_system_sgpr_workgroup_info 0
		.amdhsa_system_vgpr_workitem_id 1
		.amdhsa_next_free_vgpr 105
		.amdhsa_next_free_sgpr 46
		.amdhsa_accum_offset 108
		.amdhsa_reserve_vcc 1
		.amdhsa_float_round_mode_32 0
		.amdhsa_float_round_mode_16_64 0
		.amdhsa_float_denorm_mode_32 3
		.amdhsa_float_denorm_mode_16_64 3
		.amdhsa_dx10_clamp 1
		.amdhsa_ieee_mode 1
		.amdhsa_fp16_overflow 0
		.amdhsa_tg_split 0
		.amdhsa_exception_fp_ieee_invalid_op 0
		.amdhsa_exception_fp_denorm_src 0
		.amdhsa_exception_fp_ieee_div_zero 0
		.amdhsa_exception_fp_ieee_overflow 0
		.amdhsa_exception_fp_ieee_underflow 0
		.amdhsa_exception_fp_ieee_inexact 0
		.amdhsa_exception_int_div_zero 0
	.end_amdhsa_kernel
	.section	.text._ZN2at6native12_GLOBAL__N_135GammaBetaBackwardCUDAKernelTemplateIN3c104HalfEfLj32ELj1ELj8ELb1ELb0ELb0EEEvllPKT_S7_PKT0_SA_PS5_SB_,"axG",@progbits,_ZN2at6native12_GLOBAL__N_135GammaBetaBackwardCUDAKernelTemplateIN3c104HalfEfLj32ELj1ELj8ELb1ELb0ELb0EEEvllPKT_S7_PKT0_SA_PS5_SB_,comdat
.Lfunc_end86:
	.size	_ZN2at6native12_GLOBAL__N_135GammaBetaBackwardCUDAKernelTemplateIN3c104HalfEfLj32ELj1ELj8ELb1ELb0ELb0EEEvllPKT_S7_PKT0_SA_PS5_SB_, .Lfunc_end86-_ZN2at6native12_GLOBAL__N_135GammaBetaBackwardCUDAKernelTemplateIN3c104HalfEfLj32ELj1ELj8ELb1ELb0ELb0EEEvllPKT_S7_PKT0_SA_PS5_SB_
                                        ; -- End function
	.section	.AMDGPU.csdata,"",@progbits
; Kernel info:
; codeLenInByte = 7096
; NumSgprs: 52
; NumVgprs: 105
; NumAgprs: 0
; TotalNumVgprs: 105
; ScratchSize: 0
; MemoryBound: 0
; FloatMode: 240
; IeeeMode: 1
; LDSByteSize: 0 bytes/workgroup (compile time only)
; SGPRBlocks: 6
; VGPRBlocks: 13
; NumSGPRsForWavesPerEU: 52
; NumVGPRsForWavesPerEU: 105
; AccumOffset: 108
; Occupancy: 4
; WaveLimiterHint : 0
; COMPUTE_PGM_RSRC2:SCRATCH_EN: 0
; COMPUTE_PGM_RSRC2:USER_SGPR: 2
; COMPUTE_PGM_RSRC2:TRAP_HANDLER: 0
; COMPUTE_PGM_RSRC2:TGID_X_EN: 1
; COMPUTE_PGM_RSRC2:TGID_Y_EN: 1
; COMPUTE_PGM_RSRC2:TGID_Z_EN: 0
; COMPUTE_PGM_RSRC2:TIDIG_COMP_CNT: 1
; COMPUTE_PGM_RSRC3_GFX90A:ACCUM_OFFSET: 26
; COMPUTE_PGM_RSRC3_GFX90A:TG_SPLIT: 0
	.section	.text._ZN2at6native12_GLOBAL__N_135GammaBetaBackwardCUDAKernelTemplateIN3c104HalfEfLj32ELj8ELj64ELb0ELb1ELb0EEEvllPKT_S7_PKT0_SA_PS5_SB_,"axG",@progbits,_ZN2at6native12_GLOBAL__N_135GammaBetaBackwardCUDAKernelTemplateIN3c104HalfEfLj32ELj8ELj64ELb0ELb1ELb0EEEvllPKT_S7_PKT0_SA_PS5_SB_,comdat
	.globl	_ZN2at6native12_GLOBAL__N_135GammaBetaBackwardCUDAKernelTemplateIN3c104HalfEfLj32ELj8ELj64ELb0ELb1ELb0EEEvllPKT_S7_PKT0_SA_PS5_SB_ ; -- Begin function _ZN2at6native12_GLOBAL__N_135GammaBetaBackwardCUDAKernelTemplateIN3c104HalfEfLj32ELj8ELj64ELb0ELb1ELb0EEEvllPKT_S7_PKT0_SA_PS5_SB_
	.p2align	8
	.type	_ZN2at6native12_GLOBAL__N_135GammaBetaBackwardCUDAKernelTemplateIN3c104HalfEfLj32ELj8ELj64ELb0ELb1ELb0EEEvllPKT_S7_PKT0_SA_PS5_SB_,@function
_ZN2at6native12_GLOBAL__N_135GammaBetaBackwardCUDAKernelTemplateIN3c104HalfEfLj32ELj8ELj64ELb0ELb1ELb0EEEvllPKT_S7_PKT0_SA_PS5_SB_: ; @_ZN2at6native12_GLOBAL__N_135GammaBetaBackwardCUDAKernelTemplateIN3c104HalfEfLj32ELj8ELj64ELb0ELb1ELb0EEEvllPKT_S7_PKT0_SA_PS5_SB_
; %bb.0:
	s_load_dwordx4 s[16:19], s[0:1], 0x0
	s_lshl_b32 s6, s3, 6
	s_mov_b32 s7, 0
	v_bfe_u32 v12, v0, 10, 10
	s_waitcnt lgkmcnt(0)
	v_mov_b64_e32 v[2:3], s[16:17]
	v_cmp_lt_i64_e32 vcc, s[6:7], v[2:3]
	s_cbranch_vccnz .LBB87_2
; %bb.1:
	s_mov_b64 s[4:5], 0
	v_bfe_u32 v2, v0, 10, 10
	s_branch .LBB87_3
.LBB87_2:
	s_mov_b64 s[4:5], -1
                                        ; implicit-def: $vgpr2
.LBB87_3:
	v_and_b32_e32 v10, 0x3ff, v0
	s_andn2_b64 vcc, exec, s[4:5]
	v_mov_b32_e32 v1, s7
	v_mbcnt_lo_u32_b32 v11, -1, 0
	v_mov_b32_e32 v0, s7
	s_cbranch_vccnz .LBB87_11
; %bb.4:
	s_load_dword s3, s[0:1], 0x4c
	s_load_dword s20, s[0:1], 0x44
	s_load_dwordx8 s[8:15], s[0:1], 0x10
	v_lshlrev_b32_e32 v0, 3, v12
	v_mbcnt_hi_u32_b32 v4, -1, v11
	s_waitcnt lgkmcnt(0)
	s_and_b32 s3, s3, 0xffff
	v_mad_u32_u24 v1, v12, s3, v10
	v_and_b32_e32 v2, 63, v1
	v_mov_b32_e32 v1, 0
	v_mov_b32_e32 v3, v1
	v_lshl_add_u64 v[8:9], v[0:1], 0, s[6:7]
	v_cmp_gt_u32_e64 s[4:5], 8, v2
	s_lshl_b32 s20, s20, 6
	v_lshl_add_u64 v[2:3], v[8:9], 0, v[2:3]
	v_mul_lo_u32 v0, s19, v8
	v_mul_lo_u32 v21, s18, v9
	v_mad_u64_u32 v[8:9], s[24:25], s18, v8, 0
	v_lshl_add_u32 v6, s2, 5, v10
	v_mov_b32_e32 v7, v1
	v_lshlrev_b32_e32 v4, 2, v4
	s_mul_i32 s3, s19, s20
	s_mul_hi_u32 s24, s18, s20
	s_mov_b32 s21, 0
	v_and_b32_e32 v13, 0x100, v4
	v_add3_u32 v9, v9, v21, v0
	v_lshlrev_b64 v[6:7], 1, v[6:7]
	s_add_i32 s25, s24, s3
	s_mul_i32 s24, s18, s20
	v_or_b32_e32 v14, 4, v13
	v_or_b32_e32 v15, 8, v13
	;; [unrolled: 1-line block ×7, first 2 shown]
	v_lshlrev_b64 v[4:5], 2, v[2:3]
	s_lshl_b64 s[22:23], s[20:21], 2
	v_lshl_add_u64 v[6:7], v[8:9], 1, v[6:7]
	s_lshl_b64 s[24:25], s[24:25], 1
	s_lshl_b64 s[18:19], s[18:19], 1
	v_mov_b64_e32 v[8:9], s[16:17]
	v_mov_b32_e32 v0, v1
	s_branch .LBB87_7
.LBB87_5:                               ;   in Loop: Header=BB87_7 Depth=1
	s_or_b64 exec, exec, s[28:29]
.LBB87_6:                               ;   in Loop: Header=BB87_7 Depth=1
	s_or_b64 exec, exec, s[26:27]
	v_lshl_add_u64 v[24:25], s[8:9], 0, v[6:7]
	global_load_ushort v23, v[24:25], off
	v_lshl_add_u64 v[26:27], s[10:11], 0, v[6:7]
	v_lshl_add_u64 v[24:25], v[24:25], 0, s[18:19]
	global_load_ushort v28, v[26:27], off
	global_load_ushort v29, v[24:25], off
	v_lshl_add_u64 v[26:27], v[26:27], 0, s[18:19]
	v_lshl_add_u64 v[24:25], v[24:25], 0, s[18:19]
	global_load_ushort v30, v[26:27], off
	;; [unrolled: 4-line block ×7, first 2 shown]
	global_load_ushort v41, v[24:25], off
	v_lshl_add_u64 v[24:25], v[26:27], 0, s[18:19]
	global_load_ushort v25, v[24:25], off
	s_waitcnt vmcnt(17)
	ds_bpermute_b32 v42, v13, v21
	s_waitcnt vmcnt(16)
	ds_bpermute_b32 v27, v13, v22
	ds_bpermute_b32 v43, v14, v22
	;; [unrolled: 1-line block ×15, first 2 shown]
	s_add_u32 s6, s6, s20
	s_addc_u32 s7, s7, 0
	v_cmp_lt_i64_e32 vcc, s[6:7], v[8:9]
	v_lshl_add_u64 v[4:5], v[4:5], 0, s[22:23]
	v_lshl_add_u64 v[2:3], v[2:3], 0, s[20:21]
	;; [unrolled: 1-line block ×3, first 2 shown]
	s_and_b64 vcc, exec, vcc
	s_waitcnt vmcnt(15)
	v_cvt_f32_f16_e32 v22, v23
	s_waitcnt vmcnt(14)
	v_cvt_f32_f16_e32 v23, v28
	;; [unrolled: 2-line block ×5, first 2 shown]
	s_waitcnt lgkmcnt(14)
	v_sub_f32_e32 v23, v23, v42
	v_mul_f32_e32 v23, v23, v22
	s_waitcnt vmcnt(10)
	v_cvt_f32_f16_e32 v31, v32
	s_waitcnt vmcnt(9)
	v_cvt_f32_f16_e32 v28, v33
	s_waitcnt lgkmcnt(12)
	v_sub_f32_e32 v29, v29, v44
	v_mul_f32_e32 v23, v23, v27
	s_waitcnt vmcnt(8)
	v_cvt_f32_f16_e32 v33, v34
	s_waitcnt vmcnt(7)
	v_cvt_f32_f16_e32 v30, v35
	v_mul_f32_e32 v27, v29, v24
	s_waitcnt lgkmcnt(5)
	v_sub_f32_e32 v29, v31, v46
	s_waitcnt vmcnt(6)
	v_cvt_f32_f16_e32 v35, v36
	s_waitcnt vmcnt(5)
	v_cvt_f32_f16_e32 v32, v37
	v_pk_add_f32 v[0:1], v[0:1], v[22:23]
	s_waitcnt vmcnt(4)
	v_cvt_f32_f16_e32 v37, v38
	s_waitcnt vmcnt(3)
	v_cvt_f32_f16_e32 v34, v39
	s_waitcnt lgkmcnt(3)
	v_sub_f32_e32 v23, v35, v50
	s_waitcnt vmcnt(2)
	v_cvt_f32_f16_e32 v38, v40
	s_waitcnt vmcnt(1)
	v_cvt_f32_f16_e32 v36, v41
	;; [unrolled: 2-line block ×3, first 2 shown]
	v_mul_f32_e32 v25, v27, v43
	v_mul_f32_e32 v27, v29, v26
	v_sub_f32_e32 v29, v33, v48
	v_mul_f32_e32 v27, v27, v45
	v_mul_f32_e32 v22, v29, v28
	v_pk_add_f32 v[0:1], v[0:1], v[24:25]
	v_mul_f32_e32 v29, v22, v47
	v_mul_f32_e32 v22, v23, v30
	s_waitcnt lgkmcnt(2)
	v_sub_f32_e32 v23, v37, v52
	v_pk_add_f32 v[0:1], v[0:1], v[26:27]
	v_mul_f32_e32 v31, v22, v49
	v_mul_f32_e32 v22, v23, v32
	s_waitcnt lgkmcnt(1)
	v_sub_f32_e32 v23, v38, v54
	v_pk_add_f32 v[0:1], v[0:1], v[28:29]
	v_mul_f32_e32 v33, v22, v51
	v_mul_f32_e32 v22, v23, v34
	v_pk_add_f32 v[0:1], v[0:1], v[30:31]
	s_waitcnt lgkmcnt(0)
	v_sub_f32_e32 v21, v39, v21
	v_mul_f32_e32 v35, v22, v53
	v_pk_add_f32 v[0:1], v[0:1], v[32:33]
	v_mul_f32_e32 v21, v21, v36
	v_pk_add_f32 v[0:1], v[0:1], v[34:35]
	;; [unrolled: 2-line block ×3, first 2 shown]
	s_cbranch_vccz .LBB87_10
.LBB87_7:                               ; =>This Inner Loop Header: Depth=1
	v_mov_b32_e32 v22, 0
	v_mov_b32_e32 v21, 0
	s_and_saveexec_b64 s[26:27], s[4:5]
	s_cbranch_execz .LBB87_6
; %bb.8:                                ;   in Loop: Header=BB87_7 Depth=1
	v_cmp_gt_i64_e32 vcc, s[16:17], v[2:3]
	v_mov_b32_e32 v21, 0
	v_mov_b32_e32 v22, 0
	s_and_saveexec_b64 s[28:29], vcc
	s_cbranch_execz .LBB87_5
; %bb.9:                                ;   in Loop: Header=BB87_7 Depth=1
	v_lshl_add_u64 v[26:27], s[12:13], 0, v[4:5]
	v_lshl_add_u64 v[24:25], s[14:15], 0, v[4:5]
	global_load_dword v21, v[26:27], off
	global_load_dword v22, v[24:25], off
	s_branch .LBB87_5
.LBB87_10:
	v_mov_b32_e32 v2, v12
.LBB87_11:
	s_load_dwordx4 s[8:11], s[0:1], 0x30
	v_mad_u32_u24 v3, v2, 33, v10
	v_lshl_add_u32 v4, v3, 2, 0
	ds_write_b32 v4, v1
	ds_write_b32 v4, v0 offset:1056
	v_sub_u32_e32 v0, v3, v2
	s_movk_i32 s0, 0x800
	s_mov_b32 s3, 0
	v_cmp_gt_u32_e32 vcc, s0, v0
	s_waitcnt lgkmcnt(0)
	s_barrier
	s_and_saveexec_b64 s[0:1], vcc
	s_cbranch_execz .LBB87_21
; %bb.12:
	v_lshrrev_b32_e32 v4, 6, v0
	v_and_b32_e32 v5, 63, v0
	v_mbcnt_hi_u32_b32 v0, -1, v11
	v_and_b32_e32 v2, 64, v0
	v_add_u32_e32 v2, 64, v2
	v_xor_b32_e32 v3, 4, v0
	v_cmp_lt_i32_e32 vcc, v3, v2
	s_cmp_lg_u64 s[8:9], 0
	s_cselect_b64 s[6:7], -1, 0
	v_cndmask_b32_e32 v3, v0, v3, vcc
	v_lshlrev_b32_e32 v6, 2, v3
	v_xor_b32_e32 v3, 2, v0
	v_cmp_lt_i32_e32 vcc, v3, v2
	s_cmp_lg_u64 s[10:11], 0
	v_add_u32_e32 v9, -4, v4
	v_cndmask_b32_e32 v3, v0, v3, vcc
	v_lshlrev_b32_e32 v7, 2, v3
	v_xor_b32_e32 v3, 1, v0
	v_cmp_lt_i32_e32 vcc, v3, v2
	v_mov_b32_e32 v1, 0
	v_cmp_eq_u32_e64 s[4:5], 0, v10
	v_cndmask_b32_e32 v0, v0, v3, vcc
	v_lshlrev_b32_e32 v8, 2, v0
	v_lshlrev_b32_e32 v0, 1, v4
	v_mad_u32_u24 v4, v5, 33, v4
	s_cselect_b64 s[14:15], -1, 0
	s_lshl_b64 s[2:3], s[2:3], 6
	v_lshl_add_u32 v10, v4, 2, 0
	v_cndmask_b32_e64 v4, 0, 1, s[6:7]
	v_lshl_add_u64 v[2:3], s[2:3], 0, v[0:1]
	v_cmp_ne_u32_e64 s[2:3], 1, v4
	v_cndmask_b32_e64 v4, 0, 1, s[14:15]
	v_cmp_gt_u32_e64 s[0:1], 8, v5
	s_mov_b64 s[12:13], 0
	v_lshl_add_u64 v[0:1], s[10:11], 0, v[2:3]
	v_lshl_add_u64 v[2:3], s[8:9], 0, v[2:3]
	v_cmp_ne_u32_e64 s[6:7], 1, v4
                                        ; implicit-def: $vgpr4
	s_branch .LBB87_14
.LBB87_13:                              ;   in Loop: Header=BB87_14 Depth=1
	s_or_b64 exec, exec, s[8:9]
	v_add_u32_e32 v9, 4, v9
	v_cmp_lt_u32_e32 vcc, 27, v9
	v_lshl_add_u64 v[0:1], v[0:1], 0, 8
	v_lshl_add_u64 v[2:3], v[2:3], 0, 8
	s_or_b64 s[12:13], vcc, s[12:13]
	v_add_u32_e32 v10, 16, v10
	s_andn2_b64 exec, exec, s[12:13]
	s_cbranch_execz .LBB87_21
.LBB87_14:                              ; =>This Inner Loop Header: Depth=1
	s_and_saveexec_b64 s[8:9], s[0:1]
	s_cbranch_execz .LBB87_16
; %bb.15:                               ;   in Loop: Header=BB87_14 Depth=1
	ds_read_b32 v5, v10
	ds_read_b32 v4, v10 offset:1056
.LBB87_16:                              ;   in Loop: Header=BB87_14 Depth=1
	s_or_b64 exec, exec, s[8:9]
	s_waitcnt lgkmcnt(1)
	ds_bpermute_b32 v13, v6, v5
	s_waitcnt lgkmcnt(1)
	ds_bpermute_b32 v12, v6, v4
	s_waitcnt lgkmcnt(0)
	v_pk_add_f32 v[4:5], v[4:5], v[12:13]
	ds_bpermute_b32 v13, v7, v5
	ds_bpermute_b32 v12, v7, v4
	s_waitcnt lgkmcnt(0)
	v_pk_add_f32 v[4:5], v[4:5], v[12:13]
	ds_bpermute_b32 v13, v8, v5
	ds_bpermute_b32 v12, v8, v4
	s_waitcnt lgkmcnt(0)
	v_pk_add_f32 v[4:5], v[4:5], v[12:13]
	s_and_saveexec_b64 s[8:9], s[4:5]
	s_cbranch_execz .LBB87_13
; %bb.17:                               ;   in Loop: Header=BB87_14 Depth=1
	s_and_b64 vcc, exec, s[2:3]
	s_cbranch_vccnz .LBB87_19
; %bb.18:                               ;   in Loop: Header=BB87_14 Depth=1
	v_cvt_f16_f32_e32 v11, v5
	global_store_short v[2:3], v11, off
.LBB87_19:                              ;   in Loop: Header=BB87_14 Depth=1
	s_and_b64 vcc, exec, s[6:7]
	s_cbranch_vccnz .LBB87_13
; %bb.20:                               ;   in Loop: Header=BB87_14 Depth=1
	v_cvt_f16_f32_e32 v11, v4
	global_store_short v[0:1], v11, off
	s_branch .LBB87_13
.LBB87_21:
	s_endpgm
	.section	.rodata,"a",@progbits
	.p2align	6, 0x0
	.amdhsa_kernel _ZN2at6native12_GLOBAL__N_135GammaBetaBackwardCUDAKernelTemplateIN3c104HalfEfLj32ELj8ELj64ELb0ELb1ELb0EEEvllPKT_S7_PKT0_SA_PS5_SB_
		.amdhsa_group_segment_fixed_size 0
		.amdhsa_private_segment_fixed_size 0
		.amdhsa_kernarg_size 320
		.amdhsa_user_sgpr_count 2
		.amdhsa_user_sgpr_dispatch_ptr 0
		.amdhsa_user_sgpr_queue_ptr 0
		.amdhsa_user_sgpr_kernarg_segment_ptr 1
		.amdhsa_user_sgpr_dispatch_id 0
		.amdhsa_user_sgpr_kernarg_preload_length 0
		.amdhsa_user_sgpr_kernarg_preload_offset 0
		.amdhsa_user_sgpr_private_segment_size 0
		.amdhsa_uses_dynamic_stack 0
		.amdhsa_enable_private_segment 0
		.amdhsa_system_sgpr_workgroup_id_x 1
		.amdhsa_system_sgpr_workgroup_id_y 1
		.amdhsa_system_sgpr_workgroup_id_z 0
		.amdhsa_system_sgpr_workgroup_info 0
		.amdhsa_system_vgpr_workitem_id 1
		.amdhsa_next_free_vgpr 56
		.amdhsa_next_free_sgpr 30
		.amdhsa_accum_offset 56
		.amdhsa_reserve_vcc 1
		.amdhsa_float_round_mode_32 0
		.amdhsa_float_round_mode_16_64 0
		.amdhsa_float_denorm_mode_32 3
		.amdhsa_float_denorm_mode_16_64 3
		.amdhsa_dx10_clamp 1
		.amdhsa_ieee_mode 1
		.amdhsa_fp16_overflow 0
		.amdhsa_tg_split 0
		.amdhsa_exception_fp_ieee_invalid_op 0
		.amdhsa_exception_fp_denorm_src 0
		.amdhsa_exception_fp_ieee_div_zero 0
		.amdhsa_exception_fp_ieee_overflow 0
		.amdhsa_exception_fp_ieee_underflow 0
		.amdhsa_exception_fp_ieee_inexact 0
		.amdhsa_exception_int_div_zero 0
	.end_amdhsa_kernel
	.section	.text._ZN2at6native12_GLOBAL__N_135GammaBetaBackwardCUDAKernelTemplateIN3c104HalfEfLj32ELj8ELj64ELb0ELb1ELb0EEEvllPKT_S7_PKT0_SA_PS5_SB_,"axG",@progbits,_ZN2at6native12_GLOBAL__N_135GammaBetaBackwardCUDAKernelTemplateIN3c104HalfEfLj32ELj8ELj64ELb0ELb1ELb0EEEvllPKT_S7_PKT0_SA_PS5_SB_,comdat
.Lfunc_end87:
	.size	_ZN2at6native12_GLOBAL__N_135GammaBetaBackwardCUDAKernelTemplateIN3c104HalfEfLj32ELj8ELj64ELb0ELb1ELb0EEEvllPKT_S7_PKT0_SA_PS5_SB_, .Lfunc_end87-_ZN2at6native12_GLOBAL__N_135GammaBetaBackwardCUDAKernelTemplateIN3c104HalfEfLj32ELj8ELj64ELb0ELb1ELb0EEEvllPKT_S7_PKT0_SA_PS5_SB_
                                        ; -- End function
	.section	.AMDGPU.csdata,"",@progbits
; Kernel info:
; codeLenInByte = 1668
; NumSgprs: 36
; NumVgprs: 56
; NumAgprs: 0
; TotalNumVgprs: 56
; ScratchSize: 0
; MemoryBound: 0
; FloatMode: 240
; IeeeMode: 1
; LDSByteSize: 0 bytes/workgroup (compile time only)
; SGPRBlocks: 4
; VGPRBlocks: 6
; NumSGPRsForWavesPerEU: 36
; NumVGPRsForWavesPerEU: 56
; AccumOffset: 56
; Occupancy: 8
; WaveLimiterHint : 0
; COMPUTE_PGM_RSRC2:SCRATCH_EN: 0
; COMPUTE_PGM_RSRC2:USER_SGPR: 2
; COMPUTE_PGM_RSRC2:TRAP_HANDLER: 0
; COMPUTE_PGM_RSRC2:TGID_X_EN: 1
; COMPUTE_PGM_RSRC2:TGID_Y_EN: 1
; COMPUTE_PGM_RSRC2:TGID_Z_EN: 0
; COMPUTE_PGM_RSRC2:TIDIG_COMP_CNT: 1
; COMPUTE_PGM_RSRC3_GFX90A:ACCUM_OFFSET: 13
; COMPUTE_PGM_RSRC3_GFX90A:TG_SPLIT: 0
	.section	.text._ZN2at6native12_GLOBAL__N_135GammaBetaBackwardCUDAKernelTemplateIN3c104HalfEfLj32ELj8ELj64ELb0ELb0ELb0EEEvllPKT_S7_PKT0_SA_PS5_SB_,"axG",@progbits,_ZN2at6native12_GLOBAL__N_135GammaBetaBackwardCUDAKernelTemplateIN3c104HalfEfLj32ELj8ELj64ELb0ELb0ELb0EEEvllPKT_S7_PKT0_SA_PS5_SB_,comdat
	.globl	_ZN2at6native12_GLOBAL__N_135GammaBetaBackwardCUDAKernelTemplateIN3c104HalfEfLj32ELj8ELj64ELb0ELb0ELb0EEEvllPKT_S7_PKT0_SA_PS5_SB_ ; -- Begin function _ZN2at6native12_GLOBAL__N_135GammaBetaBackwardCUDAKernelTemplateIN3c104HalfEfLj32ELj8ELj64ELb0ELb0ELb0EEEvllPKT_S7_PKT0_SA_PS5_SB_
	.p2align	8
	.type	_ZN2at6native12_GLOBAL__N_135GammaBetaBackwardCUDAKernelTemplateIN3c104HalfEfLj32ELj8ELj64ELb0ELb0ELb0EEEvllPKT_S7_PKT0_SA_PS5_SB_,@function
_ZN2at6native12_GLOBAL__N_135GammaBetaBackwardCUDAKernelTemplateIN3c104HalfEfLj32ELj8ELj64ELb0ELb0ELb0EEEvllPKT_S7_PKT0_SA_PS5_SB_: ; @_ZN2at6native12_GLOBAL__N_135GammaBetaBackwardCUDAKernelTemplateIN3c104HalfEfLj32ELj8ELj64ELb0ELb0ELb0EEEvllPKT_S7_PKT0_SA_PS5_SB_
; %bb.0:
	s_load_dwordx8 s[8:15], s[0:1], 0x0
	s_load_dwordx4 s[24:27], s[0:1], 0x20
	s_lshl_b32 s33, s2, 5
	s_mov_b32 s16, 0
	s_or_b32 s4, s33, 31
	s_mov_b32 s5, s16
	s_waitcnt lgkmcnt(0)
	v_mov_b64_e32 v[2:3], s[10:11]
	v_cmp_ge_i64_e32 vcc, s[4:5], v[2:3]
	s_lshl_b32 s28, s3, 6
	s_mov_b32 s29, s16
	v_mov_b64_e32 v[2:3], s[8:9]
	v_cmp_lt_i64_e64 s[4:5], s[28:29], v[2:3]
	s_nop 1
	v_cndmask_b32_e64 v1, 0, 1, s[4:5]
	v_cmp_ne_u32_e64 s[4:5], 1, v1
	s_cbranch_vccz .LBB88_48
; %bb.1:
	v_mov_b32_e32 v43, 0
	s_and_b64 vcc, exec, s[4:5]
	v_mov_b32_e32 v42, v43
	s_cbranch_vccnz .LBB88_49
; %bb.2:
	v_mov_b32_e32 v3, 0
	v_bfe_u32 v66, v0, 10, 10
	s_load_dword s3, s[0:1], 0x44
	v_lshlrev_b32_e32 v26, 3, v66
	v_mov_b32_e32 v27, v3
	v_and_b32_e32 v1, 0x3ff, v0
	v_lshl_add_u64 v[4:5], v[26:27], 0, s[28:29]
	v_add_u32_e32 v2, s33, v1
	v_lshl_add_u64 v[6:7], v[4:5], 0, 7
	s_add_u32 s30, s0, 64
	v_cmp_gt_i64_e64 s[6:7], s[10:11], v[2:3]
	v_lshlrev_b64 v[28:29], 1, v[2:3]
	v_mul_lo_u32 v2, s11, v6
	v_mul_lo_u32 v8, s10, v7
	v_mad_u64_u32 v[6:7], s[18:19], s10, v6, 0
	s_addc_u32 s31, s1, 0
	s_waitcnt lgkmcnt(0)
	s_lshl_b32 s3, s3, 6
	v_add3_u32 v7, v7, v8, v2
	v_lshlrev_b64 v[6:7], 1, v[6:7]
	s_mul_i32 s17, s11, s3
	s_mul_hi_u32 s18, s10, s3
	v_lshl_add_u64 v[30:31], s[12:13], 0, v[6:7]
	s_add_i32 s19, s18, s17
	s_mul_i32 s18, s10, s3
	v_lshl_add_u64 v[32:33], s[14:15], 0, v[6:7]
	v_lshl_add_u64 v[6:7], v[4:5], 0, 6
	s_lshl_b64 s[34:35], s[18:19], 1
	v_mul_lo_u32 v2, s11, v6
	v_mul_lo_u32 v8, s10, v7
	v_mad_u64_u32 v[6:7], s[18:19], s10, v6, 0
	v_add3_u32 v7, v7, v8, v2
	v_lshlrev_b64 v[6:7], 1, v[6:7]
	v_lshl_add_u64 v[34:35], s[12:13], 0, v[6:7]
	v_lshl_add_u64 v[36:37], s[14:15], 0, v[6:7]
	v_lshl_add_u64 v[6:7], v[4:5], 0, 5
	v_mul_lo_u32 v2, s11, v6
	v_mul_lo_u32 v8, s10, v7
	v_mad_u64_u32 v[6:7], s[18:19], s10, v6, 0
	v_add3_u32 v7, v7, v8, v2
	v_lshlrev_b64 v[6:7], 1, v[6:7]
	v_lshl_add_u64 v[38:39], s[12:13], 0, v[6:7]
	v_lshl_add_u64 v[40:41], s[14:15], 0, v[6:7]
	v_lshl_add_u64 v[6:7], v[4:5], 0, 4
	;; [unrolled: 8-line block ×4, first 2 shown]
	v_mul_lo_u32 v2, s11, v6
	v_mul_lo_u32 v8, s10, v7
	v_mad_u64_u32 v[6:7], s[18:19], s10, v6, 0
	v_add3_u32 v7, v7, v8, v2
	v_lshlrev_b64 v[6:7], 1, v[6:7]
	v_lshl_add_u64 v[52:53], s[12:13], 0, v[6:7]
	v_lshl_add_u64 v[54:55], s[14:15], 0, v[6:7]
	v_mov_b64_e32 v[6:7], s[10:11]
	v_mad_u64_u32 v[6:7], s[18:19], s10, v4, v[6:7]
	v_mul_lo_u32 v2, s10, v5
	v_mul_lo_u32 v8, s11, v4
	v_mad_u64_u32 v[4:5], s[18:19], s10, v4, 0
	v_add3_u32 v7, v8, v7, v2
	v_add3_u32 v5, v5, v2, v8
	v_mbcnt_lo_u32_b32 v2, -1, 0
	v_mbcnt_hi_u32_b32 v2, -1, v2
	v_lshlrev_b64 v[6:7], 1, v[6:7]
	s_add_u32 s36, s28, 63
	v_lshlrev_b64 v[4:5], 1, v[4:5]
	s_movk_i32 s38, 0xffc1
	s_movk_i32 s40, 0xffc2
	;; [unrolled: 1-line block ×8, first 2 shown]
	v_lshlrev_b32_e32 v2, 2, v2
	v_lshl_add_u64 v[56:57], s[12:13], 0, v[6:7]
	v_lshl_add_u64 v[58:59], s[14:15], 0, v[6:7]
	s_addc_u32 s37, 0, 0
	v_lshl_add_u64 v[60:61], s[12:13], 0, v[4:5]
	v_lshl_add_u64 v[62:63], s[14:15], 0, v[4:5]
	s_mov_b32 s39, -1
	s_mov_b32 s41, -1
	;; [unrolled: 1-line block ×8, first 2 shown]
	v_and_b32_e32 v67, 0x100, v2
	s_mov_b64 s[54:55], s[28:29]
	v_mov_b32_e32 v42, v3
	v_mov_b32_e32 v43, v3
	s_branch .LBB88_5
.LBB88_3:                               ;   in Loop: Header=BB88_5 Depth=1
	s_or_b64 exec, exec, s[18:19]
	s_waitcnt vmcnt(1)
	ds_bpermute_b32 v2, v67, v69
	ds_bpermute_b32 v4, v67, v69 offset:4
	s_waitcnt vmcnt(0)
	ds_bpermute_b32 v5, v67, v68
	ds_bpermute_b32 v6, v67, v68 offset:4
	ds_bpermute_b32 v8, v67, v68 offset:12
	s_waitcnt lgkmcnt(4)
	v_sub_f32_e32 v2, v10, v2
	v_mul_f32_e32 v2, v18, v2
	s_waitcnt lgkmcnt(3)
	v_sub_f32_e32 v4, v11, v4
	s_waitcnt lgkmcnt(2)
	v_mul_f32_e32 v5, v2, v5
	ds_bpermute_b32 v2, v67, v69 offset:8
	v_mul_f32_e32 v4, v19, v4
	s_waitcnt lgkmcnt(2)
	v_mul_f32_e32 v7, v4, v6
	ds_bpermute_b32 v4, v67, v68 offset:8
	ds_bpermute_b32 v6, v67, v69 offset:12
	s_waitcnt lgkmcnt(2)
	v_sub_f32_e32 v2, v12, v2
	v_mul_f32_e32 v2, v20, v2
	v_mov_b32_e32 v10, v21
	s_waitcnt lgkmcnt(1)
	v_mul_f32_e32 v9, v2, v4
	s_waitcnt lgkmcnt(0)
	v_sub_f32_e32 v2, v13, v6
	ds_bpermute_b32 v4, v67, v69 offset:16
	v_mul_f32_e32 v2, v21, v2
	v_mul_f32_e32 v11, v2, v8
	ds_bpermute_b32 v2, v67, v68 offset:16
	ds_bpermute_b32 v6, v67, v69 offset:20
	;; [unrolled: 1-line block ×3, first 2 shown]
	s_waitcnt lgkmcnt(3)
	v_sub_f32_e32 v4, v14, v4
	v_mul_f32_e32 v4, v22, v4
	s_waitcnt lgkmcnt(2)
	v_mul_f32_e32 v13, v4, v2
	s_waitcnt lgkmcnt(1)
	v_sub_f32_e32 v2, v15, v6
	v_mul_f32_e32 v2, v23, v2
	s_waitcnt lgkmcnt(0)
	v_mul_f32_e32 v15, v2, v8
	v_mov_b32_e32 v4, v18
	ds_bpermute_b32 v2, v67, v69 offset:24
	v_pk_add_f32 v[4:5], v[42:43], v[4:5]
	v_mov_b32_e32 v6, v19
	v_pk_add_f32 v[4:5], v[6:7], v[4:5]
	ds_bpermute_b32 v7, v67, v68 offset:24
	v_mov_b32_e32 v8, v20
	v_pk_add_f32 v[4:5], v[8:9], v[4:5]
	v_mov_b32_e32 v12, v22
	v_pk_add_f32 v[4:5], v[10:11], v[4:5]
	s_waitcnt lgkmcnt(1)
	v_sub_f32_e32 v8, v16, v2
	v_pk_add_f32 v[4:5], v[12:13], v[4:5]
	v_mov_b32_e32 v14, v23
	v_mul_f32_e32 v8, v24, v8
	v_pk_add_f32 v[4:5], v[14:15], v[4:5]
	s_waitcnt lgkmcnt(0)
	v_mul_f32_e32 v9, v8, v7
	v_mov_b32_e32 v8, v24
	ds_bpermute_b32 v2, v67, v68 offset:28
	ds_bpermute_b32 v6, v67, v69 offset:28
	v_pk_add_f32 v[4:5], v[8:9], v[4:5]
.LBB88_4:                               ;   in Loop: Header=BB88_5 Depth=1
	s_waitcnt lgkmcnt(0)
	v_sub_f32_e32 v6, v17, v6
	v_mul_f32_e32 v6, v25, v6
	v_mul_f32_e32 v7, v6, v2
	v_mov_b32_e32 v6, v25
	s_add_u32 s54, s54, s3
	v_pk_add_f32 v[42:43], v[4:5], v[6:7]
	s_addc_u32 s55, s55, 0
	v_mov_b64_e32 v[4:5], s[8:9]
	s_add_u32 s36, s36, s3
	v_cmp_lt_i64_e32 vcc, s[54:55], v[4:5]
	v_lshl_add_u64 v[30:31], v[30:31], 0, s[34:35]
	v_lshl_add_u64 v[32:33], v[32:33], 0, s[34:35]
	;; [unrolled: 1-line block ×14, first 2 shown]
	s_addc_u32 s37, s37, 0
	v_lshl_add_u64 v[60:61], v[60:61], 0, s[34:35]
	v_lshl_add_u64 v[62:63], v[62:63], 0, s[34:35]
	s_cbranch_vccz .LBB88_49
.LBB88_5:                               ; =>This Inner Loop Header: Depth=1
	v_mov_b64_e32 v[4:5], s[8:9]
	v_cmp_ge_i64_e32 vcc, s[36:37], v[4:5]
	v_lshl_add_u64 v[64:65], v[26:27], 0, s[36:37]
	s_cbranch_vccz .LBB88_27
; %bb.6:                                ;   in Loop: Header=BB88_5 Depth=1
	s_load_dword s17, s[30:31], 0xc
	v_mov_b32_e32 v68, 0
	v_mov_b32_e32 v69, 0
	s_waitcnt lgkmcnt(0)
	s_and_b32 s17, s17, 0xffff
	v_mad_u32_u24 v2, v66, s17, v1
	v_and_b32_e32 v2, 63, v2
	v_cmp_gt_u32_e32 vcc, 8, v2
	s_and_saveexec_b64 s[18:19], vcc
	s_cbranch_execz .LBB88_10
; %bb.7:                                ;   in Loop: Header=BB88_5 Depth=1
	v_lshl_add_u64 v[4:5], v[64:65], 0, v[2:3]
	v_lshl_add_u64 v[4:5], v[4:5], 0, s[38:39]
	v_cmp_gt_i64_e32 vcc, s[8:9], v[4:5]
	v_mov_b32_e32 v69, 0
	v_mov_b32_e32 v68, 0
	s_and_saveexec_b64 s[20:21], vcc
	s_cbranch_execz .LBB88_9
; %bb.8:                                ;   in Loop: Header=BB88_5 Depth=1
	v_lshlrev_b64 v[4:5], 2, v[4:5]
	v_lshl_add_u64 v[6:7], s[26:27], 0, v[4:5]
	v_lshl_add_u64 v[4:5], s[24:25], 0, v[4:5]
	global_load_dword v69, v[4:5], off
	global_load_dword v68, v[6:7], off
.LBB88_9:                               ;   in Loop: Header=BB88_5 Depth=1
	s_or_b64 exec, exec, s[20:21]
.LBB88_10:                              ;   in Loop: Header=BB88_5 Depth=1
	s_or_b64 exec, exec, s[18:19]
	s_mov_b32 s17, s16
	s_mov_b32 s18, s16
	;; [unrolled: 1-line block ×7, first 2 shown]
	v_mov_b64_e32 v[10:11], s[16:17]
	v_lshl_add_u64 v[4:5], v[64:65], 0, s[38:39]
	v_mov_b64_e32 v[16:17], s[22:23]
	v_cmp_gt_i64_e32 vcc, s[8:9], v[4:5]
	v_mov_b64_e32 v[12:13], s[18:19]
	v_mov_b64_e32 v[14:15], s[20:21]
	;; [unrolled: 1-line block ×3, first 2 shown]
	s_and_b64 s[56:57], s[6:7], vcc
	v_mov_b64_e32 v[22:23], v[14:15]
	v_mov_b64_e32 v[20:21], v[12:13]
	;; [unrolled: 1-line block ×3, first 2 shown]
	s_and_saveexec_b64 s[18:19], s[56:57]
	s_cbranch_execz .LBB88_12
; %bb.11:                               ;   in Loop: Header=BB88_5 Depth=1
	v_lshl_add_u64 v[4:5], v[60:61], 0, v[28:29]
	global_load_ushort v2, v[4:5], off
	v_lshl_add_u64 v[4:5], v[62:63], 0, v[28:29]
	global_load_ushort v10, v[4:5], off
	v_mov_b32_e32 v8, v3
	v_mov_b32_e32 v9, v3
	;; [unrolled: 1-line block ×13, first 2 shown]
	s_waitcnt vmcnt(1)
	v_cvt_f32_f16_e32 v2, v2
	v_mov_b64_e32 v[24:25], v[8:9]
	s_waitcnt vmcnt(0)
	v_cvt_f32_f16_e32 v10, v10
	v_mov_b64_e32 v[22:23], v[6:7]
	v_mov_b64_e32 v[20:21], v[4:5]
	;; [unrolled: 1-line block ×3, first 2 shown]
.LBB88_12:                              ;   in Loop: Header=BB88_5 Depth=1
	s_or_b64 exec, exec, s[18:19]
	v_lshl_add_u64 v[4:5], v[64:65], 0, s[40:41]
	v_cmp_gt_i64_e32 vcc, s[8:9], v[4:5]
	s_and_b64 s[20:21], s[6:7], vcc
	s_and_saveexec_b64 s[18:19], s[20:21]
	s_cbranch_execz .LBB88_14
; %bb.13:                               ;   in Loop: Header=BB88_5 Depth=1
	v_lshl_add_u64 v[4:5], v[56:57], 0, v[28:29]
	global_load_ushort v2, v[4:5], off
	v_lshl_add_u64 v[4:5], v[58:59], 0, v[28:29]
	global_load_ushort v4, v[4:5], off
	s_waitcnt vmcnt(1)
	v_cvt_f32_f16_e32 v19, v2
	s_waitcnt vmcnt(0)
	v_cvt_f32_f16_e32 v11, v4
.LBB88_14:                              ;   in Loop: Header=BB88_5 Depth=1
	s_or_b64 exec, exec, s[18:19]
	v_lshl_add_u64 v[4:5], v[64:65], 0, s[42:43]
	v_cmp_gt_i64_e32 vcc, s[8:9], v[4:5]
	s_and_b64 s[20:21], s[6:7], vcc
	s_and_saveexec_b64 s[18:19], s[20:21]
	s_cbranch_execz .LBB88_16
; %bb.15:                               ;   in Loop: Header=BB88_5 Depth=1
	v_lshl_add_u64 v[4:5], v[52:53], 0, v[28:29]
	global_load_ushort v2, v[4:5], off
	v_lshl_add_u64 v[4:5], v[54:55], 0, v[28:29]
	global_load_ushort v4, v[4:5], off
	s_waitcnt vmcnt(1)
	v_cvt_f32_f16_e32 v20, v2
	s_waitcnt vmcnt(0)
	v_cvt_f32_f16_e32 v12, v4
.LBB88_16:                              ;   in Loop: Header=BB88_5 Depth=1
	;; [unrolled: 16-line block ×7, first 2 shown]
	s_or_b64 exec, exec, s[18:19]
	s_waitcnt vmcnt(1)
	ds_bpermute_b32 v2, v67, v69
	ds_bpermute_b32 v4, v67, v69 offset:4
	s_waitcnt vmcnt(0)
	ds_bpermute_b32 v5, v67, v68
	ds_bpermute_b32 v6, v67, v68 offset:4
	ds_bpermute_b32 v8, v67, v68 offset:12
	s_waitcnt lgkmcnt(4)
	v_sub_f32_e32 v2, v10, v2
	v_mul_f32_e32 v2, v18, v2
	s_waitcnt lgkmcnt(3)
	v_sub_f32_e32 v4, v11, v4
	s_waitcnt lgkmcnt(2)
	v_mul_f32_e32 v5, v2, v5
	ds_bpermute_b32 v2, v67, v69 offset:8
	v_mul_f32_e32 v4, v19, v4
	s_waitcnt lgkmcnt(2)
	v_mul_f32_e32 v7, v4, v6
	ds_bpermute_b32 v4, v67, v68 offset:8
	ds_bpermute_b32 v6, v67, v69 offset:12
	s_waitcnt lgkmcnt(2)
	v_sub_f32_e32 v2, v12, v2
	v_mul_f32_e32 v2, v20, v2
	v_mov_b32_e32 v10, v21
	s_waitcnt lgkmcnt(1)
	v_mul_f32_e32 v9, v2, v4
	s_waitcnt lgkmcnt(0)
	v_sub_f32_e32 v2, v13, v6
	ds_bpermute_b32 v4, v67, v69 offset:16
	v_mul_f32_e32 v2, v21, v2
	v_mul_f32_e32 v11, v2, v8
	ds_bpermute_b32 v2, v67, v68 offset:16
	ds_bpermute_b32 v6, v67, v69 offset:20
	;; [unrolled: 1-line block ×3, first 2 shown]
	s_waitcnt lgkmcnt(3)
	v_sub_f32_e32 v4, v14, v4
	v_mul_f32_e32 v4, v22, v4
	s_waitcnt lgkmcnt(2)
	v_mul_f32_e32 v13, v4, v2
	s_waitcnt lgkmcnt(1)
	v_sub_f32_e32 v2, v15, v6
	v_mul_f32_e32 v2, v23, v2
	s_waitcnt lgkmcnt(0)
	v_mul_f32_e32 v15, v2, v8
	ds_bpermute_b32 v2, v67, v69 offset:24
	v_mov_b32_e32 v4, v18
	v_pk_add_f32 v[4:5], v[42:43], v[4:5]
	v_mov_b32_e32 v6, v19
	v_pk_add_f32 v[4:5], v[6:7], v[4:5]
	ds_bpermute_b32 v7, v67, v68 offset:24
	v_mov_b32_e32 v8, v20
	s_waitcnt lgkmcnt(1)
	v_sub_f32_e32 v2, v16, v2
	v_pk_add_f32 v[4:5], v[8:9], v[4:5]
	v_mul_f32_e32 v8, v24, v2
	ds_bpermute_b32 v2, v67, v68 offset:28
	ds_bpermute_b32 v6, v67, v69 offset:28
	v_pk_add_f32 v[4:5], v[10:11], v[4:5]
	v_mov_b32_e32 v12, v22
	v_pk_add_f32 v[4:5], v[12:13], v[4:5]
	v_mov_b32_e32 v14, v23
	v_pk_add_f32 v[4:5], v[14:15], v[4:5]
	s_waitcnt lgkmcnt(2)
	v_mul_f32_e32 v9, v8, v7
	v_mov_b32_e32 v8, v24
	v_pk_add_f32 v[4:5], v[8:9], v[4:5]
	s_branch .LBB88_4
.LBB88_27:                              ;   in Loop: Header=BB88_5 Depth=1
                                        ; implicit-def: $vgpr4_vgpr5
                                        ; implicit-def: $vgpr2
                                        ; implicit-def: $vgpr10_vgpr11_vgpr12_vgpr13_vgpr14_vgpr15_vgpr16_vgpr17
                                        ; implicit-def: $vgpr18_vgpr19_vgpr20_vgpr21_vgpr22_vgpr23_vgpr24_vgpr25
                                        ; implicit-def: $vgpr6
	s_cbranch_execz .LBB88_4
; %bb.28:                               ;   in Loop: Header=BB88_5 Depth=1
	s_load_dword s17, s[30:31], 0x0
	v_mov_b32_e32 v68, 0
	v_mov_b32_e32 v69, 0
	s_waitcnt lgkmcnt(0)
	s_cmp_lt_u32 s2, s17
	s_cselect_b32 s17, 12, 18
	s_add_u32 s18, s30, s17
	s_addc_u32 s19, s31, 0
	global_load_ushort v2, v3, s[18:19]
	s_waitcnt vmcnt(0)
	v_mad_u32_u24 v2, v66, v2, v1
	v_and_b32_e32 v2, 63, v2
	v_cmp_gt_u32_e32 vcc, 8, v2
	s_and_saveexec_b64 s[18:19], vcc
	s_cbranch_execz .LBB88_32
; %bb.29:                               ;   in Loop: Header=BB88_5 Depth=1
	v_lshl_add_u64 v[4:5], v[64:65], 0, v[2:3]
	v_lshl_add_u64 v[4:5], v[4:5], 0, s[38:39]
	v_cmp_gt_i64_e32 vcc, s[8:9], v[4:5]
	v_mov_b32_e32 v69, 0
	v_mov_b32_e32 v68, 0
	s_and_saveexec_b64 s[20:21], vcc
	s_cbranch_execz .LBB88_31
; %bb.30:                               ;   in Loop: Header=BB88_5 Depth=1
	v_lshlrev_b64 v[4:5], 2, v[4:5]
	v_lshl_add_u64 v[6:7], s[26:27], 0, v[4:5]
	v_lshl_add_u64 v[4:5], s[24:25], 0, v[4:5]
	global_load_dword v69, v[4:5], off
	global_load_dword v68, v[6:7], off
.LBB88_31:                              ;   in Loop: Header=BB88_5 Depth=1
	s_or_b64 exec, exec, s[20:21]
.LBB88_32:                              ;   in Loop: Header=BB88_5 Depth=1
	s_or_b64 exec, exec, s[18:19]
	s_mov_b32 s17, s16
	s_mov_b32 s18, s16
	;; [unrolled: 1-line block ×7, first 2 shown]
	v_mov_b64_e32 v[10:11], s[16:17]
	v_mov_b64_e32 v[16:17], s[22:23]
	;; [unrolled: 1-line block ×8, first 2 shown]
	s_and_saveexec_b64 s[18:19], s[6:7]
	s_cbranch_execnz .LBB88_40
; %bb.33:                               ;   in Loop: Header=BB88_5 Depth=1
	s_or_b64 exec, exec, s[18:19]
	s_and_saveexec_b64 s[18:19], s[6:7]
	s_cbranch_execnz .LBB88_41
.LBB88_34:                              ;   in Loop: Header=BB88_5 Depth=1
	s_or_b64 exec, exec, s[18:19]
	s_and_saveexec_b64 s[18:19], s[6:7]
	s_cbranch_execnz .LBB88_42
.LBB88_35:                              ;   in Loop: Header=BB88_5 Depth=1
	s_or_b64 exec, exec, s[18:19]
	s_and_saveexec_b64 s[18:19], s[6:7]
	s_cbranch_execnz .LBB88_43
.LBB88_36:                              ;   in Loop: Header=BB88_5 Depth=1
	s_or_b64 exec, exec, s[18:19]
	s_and_saveexec_b64 s[18:19], s[6:7]
	s_cbranch_execnz .LBB88_44
.LBB88_37:                              ;   in Loop: Header=BB88_5 Depth=1
	s_or_b64 exec, exec, s[18:19]
	s_and_saveexec_b64 s[18:19], s[6:7]
	s_cbranch_execnz .LBB88_45
.LBB88_38:                              ;   in Loop: Header=BB88_5 Depth=1
	s_or_b64 exec, exec, s[18:19]
	s_and_saveexec_b64 s[18:19], s[6:7]
	s_cbranch_execnz .LBB88_46
.LBB88_39:                              ;   in Loop: Header=BB88_5 Depth=1
	s_or_b64 exec, exec, s[18:19]
	s_and_saveexec_b64 s[18:19], s[6:7]
	s_cbranch_execz .LBB88_3
	s_branch .LBB88_47
.LBB88_40:                              ;   in Loop: Header=BB88_5 Depth=1
	v_lshl_add_u64 v[4:5], v[60:61], 0, v[28:29]
	global_load_ushort v2, v[4:5], off
	v_lshl_add_u64 v[4:5], v[62:63], 0, v[28:29]
	global_load_ushort v10, v[4:5], off
	v_mov_b32_e32 v8, v3
	v_mov_b32_e32 v9, v3
	v_mov_b32_e32 v4, v3
	v_mov_b32_e32 v5, v3
	v_mov_b32_e32 v6, v3
	v_mov_b32_e32 v7, v3
	v_mov_b32_e32 v11, v3
	v_mov_b32_e32 v12, v3
	v_mov_b32_e32 v13, v3
	v_mov_b32_e32 v14, v3
	v_mov_b32_e32 v15, v3
	v_mov_b32_e32 v16, v3
	v_mov_b32_e32 v17, v3
	s_waitcnt vmcnt(1)
	v_cvt_f32_f16_e32 v2, v2
	v_mov_b64_e32 v[24:25], v[8:9]
	s_waitcnt vmcnt(0)
	v_cvt_f32_f16_e32 v10, v10
	v_mov_b64_e32 v[22:23], v[6:7]
	v_mov_b64_e32 v[20:21], v[4:5]
	v_mov_b64_e32 v[18:19], v[2:3]
	s_or_b64 exec, exec, s[18:19]
	s_and_saveexec_b64 s[18:19], s[6:7]
	s_cbranch_execz .LBB88_34
.LBB88_41:                              ;   in Loop: Header=BB88_5 Depth=1
	v_lshl_add_u64 v[4:5], v[56:57], 0, v[28:29]
	global_load_ushort v2, v[4:5], off
	v_lshl_add_u64 v[4:5], v[58:59], 0, v[28:29]
	global_load_ushort v4, v[4:5], off
	s_waitcnt vmcnt(1)
	v_cvt_f32_f16_e32 v19, v2
	s_waitcnt vmcnt(0)
	v_cvt_f32_f16_e32 v11, v4
	s_or_b64 exec, exec, s[18:19]
	s_and_saveexec_b64 s[18:19], s[6:7]
	s_cbranch_execz .LBB88_35
.LBB88_42:                              ;   in Loop: Header=BB88_5 Depth=1
	v_lshl_add_u64 v[4:5], v[52:53], 0, v[28:29]
	global_load_ushort v2, v[4:5], off
	v_lshl_add_u64 v[4:5], v[54:55], 0, v[28:29]
	global_load_ushort v4, v[4:5], off
	s_waitcnt vmcnt(1)
	v_cvt_f32_f16_e32 v20, v2
	s_waitcnt vmcnt(0)
	v_cvt_f32_f16_e32 v12, v4
	s_or_b64 exec, exec, s[18:19]
	s_and_saveexec_b64 s[18:19], s[6:7]
	s_cbranch_execz .LBB88_36
.LBB88_43:                              ;   in Loop: Header=BB88_5 Depth=1
	v_lshl_add_u64 v[4:5], v[48:49], 0, v[28:29]
	global_load_ushort v2, v[4:5], off
	v_lshl_add_u64 v[4:5], v[50:51], 0, v[28:29]
	global_load_ushort v4, v[4:5], off
	s_waitcnt vmcnt(1)
	v_cvt_f32_f16_e32 v21, v2
	s_waitcnt vmcnt(0)
	v_cvt_f32_f16_e32 v13, v4
	s_or_b64 exec, exec, s[18:19]
	s_and_saveexec_b64 s[18:19], s[6:7]
	s_cbranch_execz .LBB88_37
.LBB88_44:                              ;   in Loop: Header=BB88_5 Depth=1
	v_lshl_add_u64 v[4:5], v[44:45], 0, v[28:29]
	global_load_ushort v2, v[4:5], off
	v_lshl_add_u64 v[4:5], v[46:47], 0, v[28:29]
	global_load_ushort v4, v[4:5], off
	s_waitcnt vmcnt(1)
	v_cvt_f32_f16_e32 v22, v2
	s_waitcnt vmcnt(0)
	v_cvt_f32_f16_e32 v14, v4
	s_or_b64 exec, exec, s[18:19]
	s_and_saveexec_b64 s[18:19], s[6:7]
	s_cbranch_execz .LBB88_38
.LBB88_45:                              ;   in Loop: Header=BB88_5 Depth=1
	v_lshl_add_u64 v[4:5], v[38:39], 0, v[28:29]
	global_load_ushort v2, v[4:5], off
	v_lshl_add_u64 v[4:5], v[40:41], 0, v[28:29]
	global_load_ushort v4, v[4:5], off
	s_waitcnt vmcnt(1)
	v_cvt_f32_f16_e32 v23, v2
	s_waitcnt vmcnt(0)
	v_cvt_f32_f16_e32 v15, v4
	s_or_b64 exec, exec, s[18:19]
	s_and_saveexec_b64 s[18:19], s[6:7]
	s_cbranch_execz .LBB88_39
.LBB88_46:                              ;   in Loop: Header=BB88_5 Depth=1
	v_lshl_add_u64 v[4:5], v[34:35], 0, v[28:29]
	global_load_ushort v2, v[4:5], off
	v_lshl_add_u64 v[4:5], v[36:37], 0, v[28:29]
	global_load_ushort v4, v[4:5], off
	s_waitcnt vmcnt(1)
	v_cvt_f32_f16_e32 v24, v2
	s_waitcnt vmcnt(0)
	v_cvt_f32_f16_e32 v16, v4
	s_or_b64 exec, exec, s[18:19]
	s_and_saveexec_b64 s[18:19], s[6:7]
	s_cbranch_execz .LBB88_3
.LBB88_47:                              ;   in Loop: Header=BB88_5 Depth=1
	v_lshl_add_u64 v[4:5], v[30:31], 0, v[28:29]
	global_load_ushort v2, v[4:5], off
	v_lshl_add_u64 v[4:5], v[32:33], 0, v[28:29]
	global_load_ushort v4, v[4:5], off
	s_waitcnt vmcnt(1)
	v_cvt_f32_f16_e32 v25, v2
	s_waitcnt vmcnt(0)
	v_cvt_f32_f16_e32 v17, v4
	s_branch .LBB88_3
.LBB88_48:
                                        ; implicit-def: $vgpr43
	s_branch .LBB88_50
.LBB88_49:
	s_cbranch_execnz .LBB88_81
.LBB88_50:
	v_mov_b32_e32 v43, 0
	s_mov_b32 s16, 0
	s_and_b64 vcc, exec, s[4:5]
	v_mov_b32_e32 v42, v43
	s_cbranch_vccnz .LBB88_81
; %bb.51:
	v_and_b32_e32 v1, 0x3ff, v0
	v_add_u32_e32 v2, s33, v1
	v_mov_b32_e32 v3, 0
	v_bfe_u32 v96, v0, 10, 10
	v_lshlrev_b64 v[28:29], 1, v[2:3]
	v_lshlrev_b32_e32 v2, 4, v96
	v_lshl_add_u64 v[4:5], s[28:29], 1, v[2:3]
	v_lshl_add_u64 v[6:7], v[4:5], 0, 2
	v_mov_b64_e32 v[8:9], s[12:13]
	v_lshl_add_u64 v[10:11], v[4:5], 0, 4
	v_lshl_add_u64 v[12:13], v[4:5], 0, 6
	;; [unrolled: 1-line block ×6, first 2 shown]
	v_mad_u64_u32 v[30:31], s[4:5], s10, v6, v[8:9]
	v_mad_u64_u32 v[32:33], s[4:5], s10, v10, v[8:9]
	;; [unrolled: 1-line block ×7, first 2 shown]
	v_mov_b64_e32 v[8:9], s[14:15]
	v_lshlrev_b32_e32 v26, 3, v96
	v_mov_b32_e32 v27, v3
	v_mul_lo_u32 v2, s10, v7
	v_mul_lo_u32 v7, s11, v6
	v_mad_u64_u32 v[46:47], s[4:5], s10, v6, v[8:9]
	v_add3_u32 v31, v7, v31, v2
	v_mul_lo_u32 v5, s10, v5
	v_mul_lo_u32 v25, s11, v4
	v_add3_u32 v47, v7, v47, v2
	v_lshl_add_u64 v[6:7], v[26:27], 0, s[28:29]
	v_mad_u64_u32 v[58:59], s[4:5], s10, v4, v[8:9]
	v_add3_u32 v45, v25, v45, v5
	v_add3_u32 v59, v25, v59, v5
	v_lshl_add_u64 v[4:5], v[6:7], 0, 7
	v_mad_u64_u32 v[48:49], s[4:5], s10, v10, v[8:9]
	v_mad_u64_u32 v[50:51], s[4:5], s10, v12, v[8:9]
	;; [unrolled: 1-line block ×5, first 2 shown]
	v_mul_lo_u32 v8, s11, v4
	v_mul_lo_u32 v9, s10, v5
	v_mad_u64_u32 v[4:5], s[4:5], s10, v4, 0
	v_mul_lo_u32 v11, s10, v11
	v_mul_lo_u32 v20, s11, v10
	v_add3_u32 v5, v5, v9, v8
	v_lshl_add_u64 v[8:9], v[6:7], 0, 6
	v_add3_u32 v33, v20, v33, v11
	v_add3_u32 v49, v20, v49, v11
	v_mul_lo_u32 v10, s11, v8
	v_mul_lo_u32 v11, s10, v9
	v_mad_u64_u32 v[8:9], s[4:5], s10, v8, 0
	v_mul_lo_u32 v13, s10, v13
	v_mul_lo_u32 v21, s11, v12
	v_add3_u32 v9, v9, v11, v10
	v_lshl_add_u64 v[10:11], v[6:7], 0, 5
	v_add3_u32 v35, v21, v35, v13
	v_add3_u32 v51, v21, v51, v13
	;; [unrolled: 9-line block ×4, first 2 shown]
	v_mul_lo_u32 v16, s11, v14
	v_mul_lo_u32 v17, s10, v15
	v_mad_u64_u32 v[14:15], s[4:5], s10, v14, 0
	v_mul_lo_u32 v19, s10, v19
	v_mul_lo_u32 v24, s11, v18
	v_add3_u32 v15, v15, v17, v16
	v_lshl_add_u64 v[16:17], v[6:7], 0, 2
	s_load_dword s3, s[0:1], 0x44
	v_lshlrev_b64 v[4:5], 1, v[4:5]
	v_add3_u32 v41, v24, v41, v19
	v_add3_u32 v57, v24, v57, v19
	v_mul_lo_u32 v18, s11, v16
	v_mul_lo_u32 v19, s10, v17
	v_mad_u64_u32 v[16:17], s[4:5], s10, v16, 0
	v_lshl_add_u64 v[64:65], s[12:13], 0, v[4:5]
	v_lshl_add_u64 v[66:67], s[14:15], 0, v[4:5]
	v_lshlrev_b64 v[4:5], 1, v[8:9]
	v_add3_u32 v17, v17, v19, v18
	v_mov_b64_e32 v[18:19], s[10:11]
	v_lshl_add_u64 v[68:69], s[12:13], 0, v[4:5]
	v_lshl_add_u64 v[70:71], s[14:15], 0, v[4:5]
	v_lshlrev_b64 v[4:5], 1, v[10:11]
	v_mul_lo_u32 v2, s11, v6
	v_mad_u64_u32 v[18:19], s[4:5], s10, v6, v[18:19]
	v_mul_lo_u32 v20, s10, v7
	v_mad_u64_u32 v[6:7], s[4:5], s10, v6, 0
	v_lshl_add_u64 v[72:73], s[12:13], 0, v[4:5]
	v_lshl_add_u64 v[74:75], s[14:15], 0, v[4:5]
	v_lshlrev_b64 v[4:5], 1, v[12:13]
	s_add_u32 s4, s0, 64
	v_lshl_add_u64 v[76:77], s[12:13], 0, v[4:5]
	v_lshl_add_u64 v[78:79], s[14:15], 0, v[4:5]
	v_lshlrev_b64 v[4:5], 1, v[14:15]
	v_add3_u32 v7, v7, v20, v2
	v_add3_u32 v19, v2, v19, v20
	s_addc_u32 s5, s1, 0
	s_waitcnt lgkmcnt(0)
	s_lshl_b32 s3, s3, 6
	v_lshl_add_u64 v[80:81], s[12:13], 0, v[4:5]
	v_lshl_add_u64 v[82:83], s[14:15], 0, v[4:5]
	v_lshlrev_b64 v[4:5], 1, v[16:17]
	v_mbcnt_lo_u32_b32 v2, -1, 0
	s_add_u32 s6, s28, 63
	s_mul_i32 s17, s11, s3
	s_mul_hi_u32 s18, s10, s3
	v_lshlrev_b64 v[6:7], 1, v[6:7]
	v_lshl_add_u64 v[84:85], s[12:13], 0, v[4:5]
	v_lshl_add_u64 v[86:87], s[14:15], 0, v[4:5]
	v_lshlrev_b64 v[4:5], 1, v[18:19]
	v_mbcnt_hi_u32_b32 v2, -1, v2
	s_addc_u32 s7, 0, 0
	s_add_i32 s19, s18, s17
	s_mul_i32 s18, s10, s3
	v_lshl_add_u64 v[60:61], s[12:13], 0, v[6:7]
	v_lshl_add_u64 v[62:63], s[14:15], 0, v[6:7]
	;; [unrolled: 1-line block ×4, first 2 shown]
	s_movk_i32 s12, 0xffc1
	s_movk_i32 s14, 0xffc2
	;; [unrolled: 1-line block ×8, first 2 shown]
	v_lshlrev_b32_e32 v2, 2, v2
	s_lshl_b64 s[30:31], s[18:19], 1
	s_mov_b32 s13, -1
	s_mov_b32 s15, -1
	;; [unrolled: 1-line block ×8, first 2 shown]
	v_and_b32_e32 v97, 0x100, v2
	v_mov_b32_e32 v42, v3
	v_mov_b32_e32 v43, v3
	s_branch .LBB88_55
.LBB88_52:                              ;   in Loop: Header=BB88_55 Depth=1
	s_or_b64 exec, exec, s[20:21]
.LBB88_53:                              ;   in Loop: Header=BB88_55 Depth=1
	s_or_b64 exec, exec, s[18:19]
	v_lshl_add_u64 v[4:5], v[60:61], 0, v[28:29]
	global_load_ushort v2, v[4:5], off
	v_lshl_add_u64 v[4:5], v[62:63], 0, v[28:29]
	global_load_ushort v8, v[4:5], off
	;; [unrolled: 2-line block ×16, first 2 shown]
	s_waitcnt vmcnt(17)
	ds_bpermute_b32 v23, v97, v7
	ds_bpermute_b32 v25, v97, v7 offset:4
	ds_bpermute_b32 v43, v97, v7 offset:8
	;; [unrolled: 1-line block ×7, first 2 shown]
	s_waitcnt vmcnt(16)
	ds_bpermute_b32 v22, v97, v6
	ds_bpermute_b32 v24, v97, v6 offset:4
	ds_bpermute_b32 v42, v97, v6 offset:8
	;; [unrolled: 1-line block ×7, first 2 shown]
	s_waitcnt vmcnt(15)
	v_cvt_f32_f16_e32 v4, v2
	s_waitcnt vmcnt(14)
	v_cvt_f32_f16_e32 v2, v8
	;; [unrolled: 2-line block ×4, first 2 shown]
	s_waitcnt lgkmcnt(14)
	v_sub_f32_e32 v2, v2, v23
	s_waitcnt vmcnt(11)
	v_cvt_f32_f16_e32 v8, v11
	v_mul_f32_e32 v2, v2, v4
	s_waitcnt vmcnt(10)
	v_cvt_f32_f16_e32 v11, v12
	v_sub_f32_e32 v9, v9, v25
	s_waitcnt vmcnt(9)
	v_cvt_f32_f16_e32 v10, v13
	s_waitcnt vmcnt(8)
	v_cvt_f32_f16_e32 v13, v14
	s_waitcnt lgkmcnt(13)
	v_sub_f32_e32 v11, v11, v43
	s_waitcnt vmcnt(7)
	v_cvt_f32_f16_e32 v12, v15
	s_waitcnt vmcnt(6)
	v_cvt_f32_f16_e32 v15, v16
	s_waitcnt lgkmcnt(12)
	;; [unrolled: 6-line block ×5, first 2 shown]
	v_sub_f32_e32 v19, v19, v103
	s_waitcnt lgkmcnt(8)
	v_sub_f32_e32 v5, v5, v7
	v_mul_f32_e32 v7, v9, v6
	v_mul_f32_e32 v9, v11, v8
	;; [unrolled: 1-line block ×7, first 2 shown]
	s_waitcnt lgkmcnt(7)
	v_mul_f32_e32 v5, v2, v22
	s_waitcnt lgkmcnt(6)
	v_mul_f32_e32 v7, v7, v24
	v_pk_add_f32 v[4:5], v[92:93], v[4:5]
	s_waitcnt lgkmcnt(5)
	v_mul_f32_e32 v9, v9, v42
	v_pk_add_f32 v[4:5], v[4:5], v[6:7]
	;; [unrolled: 3-line block ×7, first 2 shown]
	s_nop 0
	v_pk_add_f32 v[42:43], v[4:5], v[18:19]
.LBB88_54:                              ;   in Loop: Header=BB88_55 Depth=1
	s_add_u32 s28, s28, s3
	s_addc_u32 s29, s29, 0
	v_mov_b64_e32 v[4:5], s[8:9]
	s_add_u32 s6, s6, s3
	v_cmp_ge_i64_e32 vcc, s[28:29], v[4:5]
	s_addc_u32 s7, s7, 0
	v_lshl_add_u64 v[30:31], v[30:31], 0, s[30:31]
	v_lshl_add_u64 v[32:33], v[32:33], 0, s[30:31]
	;; [unrolled: 1-line block ×30, first 2 shown]
	s_cbranch_vccnz .LBB88_81
.LBB88_55:                              ; =>This Inner Loop Header: Depth=1
	v_mov_b64_e32 v[4:5], s[8:9]
	v_cmp_ge_i64_e32 vcc, s[6:7], v[4:5]
	v_mov_b32_e32 v92, v42
	v_mov_b32_e32 v93, v43
	v_lshl_add_u64 v[94:95], v[26:27], 0, s[6:7]
	s_cbranch_vccz .LBB88_77
; %bb.56:                               ;   in Loop: Header=BB88_55 Depth=1
	s_load_dword s17, s[4:5], 0xc
	v_mov_b32_e32 v42, 0
	v_mov_b32_e32 v43, 0
	s_waitcnt lgkmcnt(0)
	s_and_b32 s17, s17, 0xffff
	v_mad_u32_u24 v2, v96, s17, v1
	v_and_b32_e32 v2, 63, v2
	v_cmp_gt_u32_e32 vcc, 8, v2
	s_and_saveexec_b64 s[18:19], vcc
	s_cbranch_execz .LBB88_60
; %bb.57:                               ;   in Loop: Header=BB88_55 Depth=1
	v_lshl_add_u64 v[4:5], v[94:95], 0, v[2:3]
	v_lshl_add_u64 v[4:5], v[4:5], 0, s[12:13]
	v_cmp_gt_i64_e32 vcc, s[8:9], v[4:5]
	v_mov_b32_e32 v43, 0
	v_mov_b32_e32 v42, 0
	s_and_saveexec_b64 s[20:21], vcc
	s_cbranch_execz .LBB88_59
; %bb.58:                               ;   in Loop: Header=BB88_55 Depth=1
	v_lshlrev_b64 v[4:5], 2, v[4:5]
	v_lshl_add_u64 v[6:7], s[26:27], 0, v[4:5]
	v_lshl_add_u64 v[4:5], s[24:25], 0, v[4:5]
	global_load_dword v43, v[4:5], off
	global_load_dword v42, v[6:7], off
.LBB88_59:                              ;   in Loop: Header=BB88_55 Depth=1
	s_or_b64 exec, exec, s[20:21]
.LBB88_60:                              ;   in Loop: Header=BB88_55 Depth=1
	s_or_b64 exec, exec, s[18:19]
	s_mov_b32 s17, s16
	s_mov_b32 s18, s16
	;; [unrolled: 1-line block ×7, first 2 shown]
	v_mov_b64_e32 v[10:11], s[16:17]
	v_mov_b64_e32 v[16:17], s[22:23]
	v_lshl_add_u64 v[4:5], v[94:95], 0, s[12:13]
	v_mov_b64_e32 v[12:13], s[18:19]
	v_mov_b64_e32 v[14:15], s[20:21]
	;; [unrolled: 1-line block ×3, first 2 shown]
	v_cmp_gt_i64_e32 vcc, s[8:9], v[4:5]
	v_mov_b64_e32 v[22:23], v[14:15]
	v_mov_b64_e32 v[20:21], v[12:13]
	v_mov_b64_e32 v[18:19], v[10:11]
	s_and_saveexec_b64 s[18:19], vcc
	s_cbranch_execz .LBB88_62
; %bb.61:                               ;   in Loop: Header=BB88_55 Depth=1
	v_lshl_add_u64 v[4:5], v[60:61], 0, v[28:29]
	global_load_ushort v2, v[4:5], off
	v_lshl_add_u64 v[4:5], v[62:63], 0, v[28:29]
	global_load_ushort v10, v[4:5], off
	v_mov_b32_e32 v8, v3
	v_mov_b32_e32 v9, v3
	;; [unrolled: 1-line block ×13, first 2 shown]
	s_waitcnt vmcnt(1)
	v_cvt_f32_f16_e32 v2, v2
	v_mov_b64_e32 v[24:25], v[8:9]
	s_waitcnt vmcnt(0)
	v_cvt_f32_f16_e32 v10, v10
	v_mov_b64_e32 v[22:23], v[6:7]
	v_mov_b64_e32 v[20:21], v[4:5]
	;; [unrolled: 1-line block ×3, first 2 shown]
.LBB88_62:                              ;   in Loop: Header=BB88_55 Depth=1
	s_or_b64 exec, exec, s[18:19]
	v_lshl_add_u64 v[4:5], v[94:95], 0, s[14:15]
	v_cmp_gt_i64_e32 vcc, s[8:9], v[4:5]
	s_and_saveexec_b64 s[18:19], vcc
	s_cbranch_execz .LBB88_64
; %bb.63:                               ;   in Loop: Header=BB88_55 Depth=1
	v_lshl_add_u64 v[4:5], v[88:89], 0, v[28:29]
	global_load_ushort v2, v[4:5], off
	v_lshl_add_u64 v[4:5], v[90:91], 0, v[28:29]
	global_load_ushort v4, v[4:5], off
	s_waitcnt vmcnt(1)
	v_cvt_f32_f16_e32 v19, v2
	s_waitcnt vmcnt(0)
	v_cvt_f32_f16_e32 v11, v4
.LBB88_64:                              ;   in Loop: Header=BB88_55 Depth=1
	s_or_b64 exec, exec, s[18:19]
	v_lshl_add_u64 v[4:5], v[94:95], 0, s[34:35]
	v_cmp_gt_i64_e32 vcc, s[8:9], v[4:5]
	s_and_saveexec_b64 s[18:19], vcc
	s_cbranch_execz .LBB88_66
; %bb.65:                               ;   in Loop: Header=BB88_55 Depth=1
	v_lshl_add_u64 v[4:5], v[84:85], 0, v[28:29]
	global_load_ushort v2, v[4:5], off
	v_lshl_add_u64 v[4:5], v[86:87], 0, v[28:29]
	global_load_ushort v4, v[4:5], off
	s_waitcnt vmcnt(1)
	v_cvt_f32_f16_e32 v20, v2
	s_waitcnt vmcnt(0)
	v_cvt_f32_f16_e32 v12, v4
.LBB88_66:                              ;   in Loop: Header=BB88_55 Depth=1
	;; [unrolled: 15-line block ×7, first 2 shown]
	s_or_b64 exec, exec, s[18:19]
	s_waitcnt vmcnt(1)
	ds_bpermute_b32 v2, v97, v43
	s_waitcnt vmcnt(0)
	ds_bpermute_b32 v4, v97, v42
	ds_bpermute_b32 v7, v97, v43 offset:4
	ds_bpermute_b32 v6, v97, v42 offset:4
	;; [unrolled: 1-line block ×3, first 2 shown]
	s_waitcnt lgkmcnt(4)
	v_sub_f32_e32 v2, v10, v2
	v_mul_f32_e32 v2, v18, v2
	s_waitcnt lgkmcnt(3)
	v_mul_f32_e32 v5, v2, v4
	ds_bpermute_b32 v4, v97, v42 offset:8
	s_waitcnt lgkmcnt(3)
	v_sub_f32_e32 v2, v11, v7
	v_mul_f32_e32 v2, v19, v2
	s_waitcnt lgkmcnt(2)
	v_mul_f32_e32 v7, v2, v6
	s_waitcnt lgkmcnt(1)
	v_sub_f32_e32 v2, v12, v8
	ds_bpermute_b32 v6, v97, v43 offset:12
	v_mul_f32_e32 v2, v20, v2
	s_waitcnt lgkmcnt(1)
	v_mul_f32_e32 v9, v2, v4
	ds_bpermute_b32 v2, v97, v42 offset:12
	ds_bpermute_b32 v4, v97, v43 offset:16
	;; [unrolled: 1-line block ×3, first 2 shown]
	s_waitcnt lgkmcnt(3)
	v_sub_f32_e32 v6, v13, v6
	v_mul_f32_e32 v6, v21, v6
	s_waitcnt lgkmcnt(2)
	v_mul_f32_e32 v11, v6, v2
	s_waitcnt lgkmcnt(1)
	v_sub_f32_e32 v2, v14, v4
	ds_bpermute_b32 v4, v97, v43 offset:20
	v_mul_f32_e32 v2, v22, v2
	s_waitcnt lgkmcnt(1)
	v_mul_f32_e32 v13, v2, v8
	ds_bpermute_b32 v2, v97, v42 offset:20
	ds_bpermute_b32 v6, v97, v43 offset:24
	;; [unrolled: 1-line block ×3, first 2 shown]
	s_waitcnt lgkmcnt(3)
	v_sub_f32_e32 v4, v15, v4
	v_mul_f32_e32 v4, v23, v4
	s_waitcnt lgkmcnt(2)
	v_mul_f32_e32 v15, v4, v2
	s_waitcnt lgkmcnt(1)
	v_sub_f32_e32 v2, v16, v6
	v_mul_f32_e32 v2, v24, v2
	s_waitcnt lgkmcnt(0)
	v_mul_f32_e32 v99, v2, v8
	v_mov_b32_e32 v4, v18
	ds_bpermute_b32 v2, v97, v43 offset:28
	v_pk_add_f32 v[4:5], v[92:93], v[4:5]
	v_mov_b32_e32 v6, v19
	v_pk_add_f32 v[4:5], v[6:7], v[4:5]
	v_mov_b32_e32 v8, v20
	ds_bpermute_b32 v6, v97, v42 offset:28
	v_pk_add_f32 v[4:5], v[8:9], v[4:5]
	v_mov_b32_e32 v10, v21
	v_pk_add_f32 v[4:5], v[10:11], v[4:5]
	v_mov_b32_e32 v12, v22
	;; [unrolled: 2-line block ×3, first 2 shown]
	s_waitcnt lgkmcnt(1)
	v_sub_f32_e32 v2, v17, v2
	v_pk_add_f32 v[4:5], v[14:15], v[4:5]
	v_mov_b32_e32 v98, v24
	v_mul_f32_e32 v2, v25, v2
	v_pk_add_f32 v[4:5], v[98:99], v[4:5]
	s_waitcnt lgkmcnt(0)
	v_mul_f32_e32 v7, v2, v6
	v_mov_b32_e32 v6, v25
	v_pk_add_f32 v[42:43], v[6:7], v[4:5]
	s_branch .LBB88_54
.LBB88_77:                              ;   in Loop: Header=BB88_55 Depth=1
                                        ; implicit-def: $vgpr43
	s_cbranch_execz .LBB88_54
; %bb.78:                               ;   in Loop: Header=BB88_55 Depth=1
	s_load_dword s17, s[4:5], 0x0
	v_mov_b32_e32 v6, 0
	v_mov_b32_e32 v7, 0
	s_waitcnt lgkmcnt(0)
	s_cmp_lt_u32 s2, s17
	s_cselect_b32 s17, 12, 18
	s_add_u32 s18, s4, s17
	s_addc_u32 s19, s5, 0
	global_load_ushort v2, v3, s[18:19]
	s_waitcnt vmcnt(0)
	v_mad_u32_u24 v2, v96, v2, v1
	v_and_b32_e32 v2, 63, v2
	v_cmp_gt_u32_e32 vcc, 8, v2
	s_and_saveexec_b64 s[18:19], vcc
	s_cbranch_execz .LBB88_53
; %bb.79:                               ;   in Loop: Header=BB88_55 Depth=1
	v_lshl_add_u64 v[4:5], v[94:95], 0, v[2:3]
	v_lshl_add_u64 v[4:5], v[4:5], 0, s[12:13]
	v_cmp_gt_i64_e32 vcc, s[8:9], v[4:5]
	v_mov_b32_e32 v7, 0
	v_mov_b32_e32 v6, 0
	s_and_saveexec_b64 s[20:21], vcc
	s_cbranch_execz .LBB88_52
; %bb.80:                               ;   in Loop: Header=BB88_55 Depth=1
	v_lshlrev_b64 v[4:5], 2, v[4:5]
	v_lshl_add_u64 v[8:9], s[26:27], 0, v[4:5]
	v_lshl_add_u64 v[4:5], s[24:25], 0, v[4:5]
	global_load_dword v7, v[4:5], off
	global_load_dword v6, v[8:9], off
	s_branch .LBB88_52
.LBB88_81:
	v_and_b32_e32 v2, 0x3ff, v0
	v_bfe_u32 v0, v0, 10, 10
	v_mad_u32_u24 v1, v0, 33, v2
	v_lshl_add_u32 v3, v1, 2, 0
	v_sub_u32_e32 v1, v1, v0
	s_movk_i32 s4, 0x800
	s_mov_b32 s3, 0
	v_cmp_gt_u32_e32 vcc, s4, v1
	ds_write_b32 v3, v43
	ds_write_b32 v3, v42 offset:1056
	s_waitcnt lgkmcnt(0)
	s_barrier
	s_and_saveexec_b64 s[4:5], vcc
	s_cbranch_execz .LBB88_91
; %bb.82:
	v_mbcnt_lo_u32_b32 v3, -1, 0
	v_mbcnt_hi_u32_b32 v3, -1, v3
	v_and_b32_e32 v4, 64, v3
	v_add_u32_e32 v4, 64, v4
	v_cmp_eq_u32_e64 s[4:5], 0, v2
	v_xor_b32_e32 v2, 4, v3
	v_cmp_lt_i32_e32 vcc, v2, v4
	s_load_dwordx4 s[16:19], s[0:1], 0x30
	s_lshl_b64 s[8:9], s[2:3], 5
	v_cndmask_b32_e32 v2, v3, v2, vcc
	v_lshlrev_b32_e32 v8, 2, v2
	v_xor_b32_e32 v2, 2, v3
	v_cmp_lt_i32_e32 vcc, v2, v4
	v_lshrrev_b32_e32 v0, 6, v1
	v_and_b32_e32 v6, 63, v1
	v_cndmask_b32_e32 v2, v3, v2, vcc
	v_lshlrev_b32_e32 v9, 2, v2
	v_xor_b32_e32 v2, 1, v3
	s_waitcnt lgkmcnt(0)
	s_cmp_lg_u64 s[16:17], 0
	v_cmp_lt_i32_e32 vcc, v2, v4
	v_cmp_gt_u32_e64 s[0:1], 8, v6
	v_mov_b32_e32 v1, 0
	s_cselect_b64 s[6:7], -1, 0
	s_cmp_lg_u64 s[18:19], 0
	v_cndmask_b32_e32 v2, v3, v2, vcc
	v_mad_u32_u24 v6, v6, 33, v0
	s_cselect_b64 s[14:15], -1, 0
	v_lshlrev_b32_e32 v10, 2, v2
	s_lshl_b64 s[2:3], s[2:3], 6
	v_lshlrev_b32_e32 v2, 1, v0
	v_mov_b32_e32 v3, v1
	v_lshl_add_u32 v11, v6, 2, 0
	v_cndmask_b32_e64 v6, 0, 1, s[6:7]
	v_lshl_add_u64 v[4:5], s[2:3], 0, v[2:3]
	v_cmp_ne_u32_e64 s[2:3], 1, v6
	v_cndmask_b32_e64 v6, 0, 1, s[14:15]
	s_mov_b64 s[12:13], 0
	v_lshl_add_u64 v[2:3], s[18:19], 0, v[4:5]
	v_lshl_add_u64 v[4:5], s[16:17], 0, v[4:5]
	v_cmp_ne_u32_e64 s[6:7], 1, v6
                                        ; implicit-def: $vgpr6
	s_branch .LBB88_84
.LBB88_83:                              ;   in Loop: Header=BB88_84 Depth=1
	s_or_b64 exec, exec, s[14:15]
	v_lshl_add_u64 v[0:1], v[0:1], 0, 4
	v_add_u32_e32 v12, -4, v0
	v_cmp_lt_u32_e32 vcc, 27, v12
	v_lshl_add_u64 v[2:3], v[2:3], 0, 8
	v_lshl_add_u64 v[4:5], v[4:5], 0, 8
	s_or_b64 s[12:13], vcc, s[12:13]
	v_add_u32_e32 v11, 16, v11
	s_andn2_b64 exec, exec, s[12:13]
	s_cbranch_execz .LBB88_91
.LBB88_84:                              ; =>This Inner Loop Header: Depth=1
	s_and_saveexec_b64 s[14:15], s[0:1]
	s_cbranch_execz .LBB88_86
; %bb.85:                               ;   in Loop: Header=BB88_84 Depth=1
	ds_read_b32 v7, v11
	ds_read_b32 v6, v11 offset:1056
.LBB88_86:                              ;   in Loop: Header=BB88_84 Depth=1
	s_or_b64 exec, exec, s[14:15]
	s_waitcnt lgkmcnt(1)
	ds_bpermute_b32 v13, v8, v7
	s_waitcnt lgkmcnt(1)
	ds_bpermute_b32 v12, v8, v6
	v_lshl_add_u64 v[14:15], s[8:9], 0, v[0:1]
	v_cmp_gt_i64_e32 vcc, s[10:11], v[14:15]
	s_and_b64 s[16:17], s[4:5], vcc
	s_waitcnt lgkmcnt(0)
	v_pk_add_f32 v[6:7], v[6:7], v[12:13]
	ds_bpermute_b32 v13, v9, v7
	ds_bpermute_b32 v12, v9, v6
	s_waitcnt lgkmcnt(0)
	v_pk_add_f32 v[6:7], v[6:7], v[12:13]
	ds_bpermute_b32 v13, v10, v7
	ds_bpermute_b32 v12, v10, v6
	s_waitcnt lgkmcnt(0)
	v_pk_add_f32 v[6:7], v[6:7], v[12:13]
	s_and_saveexec_b64 s[14:15], s[16:17]
	s_cbranch_execz .LBB88_83
; %bb.87:                               ;   in Loop: Header=BB88_84 Depth=1
	s_and_b64 vcc, exec, s[2:3]
	s_cbranch_vccnz .LBB88_89
; %bb.88:                               ;   in Loop: Header=BB88_84 Depth=1
	v_cvt_f16_f32_e32 v12, v7
	global_store_short v[4:5], v12, off
.LBB88_89:                              ;   in Loop: Header=BB88_84 Depth=1
	s_and_b64 vcc, exec, s[6:7]
	s_cbranch_vccnz .LBB88_83
; %bb.90:                               ;   in Loop: Header=BB88_84 Depth=1
	v_cvt_f16_f32_e32 v12, v6
	global_store_short v[2:3], v12, off
	s_branch .LBB88_83
.LBB88_91:
	s_endpgm
	.section	.rodata,"a",@progbits
	.p2align	6, 0x0
	.amdhsa_kernel _ZN2at6native12_GLOBAL__N_135GammaBetaBackwardCUDAKernelTemplateIN3c104HalfEfLj32ELj8ELj64ELb0ELb0ELb0EEEvllPKT_S7_PKT0_SA_PS5_SB_
		.amdhsa_group_segment_fixed_size 0
		.amdhsa_private_segment_fixed_size 0
		.amdhsa_kernarg_size 320
		.amdhsa_user_sgpr_count 2
		.amdhsa_user_sgpr_dispatch_ptr 0
		.amdhsa_user_sgpr_queue_ptr 0
		.amdhsa_user_sgpr_kernarg_segment_ptr 1
		.amdhsa_user_sgpr_dispatch_id 0
		.amdhsa_user_sgpr_kernarg_preload_length 0
		.amdhsa_user_sgpr_kernarg_preload_offset 0
		.amdhsa_user_sgpr_private_segment_size 0
		.amdhsa_uses_dynamic_stack 0
		.amdhsa_enable_private_segment 0
		.amdhsa_system_sgpr_workgroup_id_x 1
		.amdhsa_system_sgpr_workgroup_id_y 1
		.amdhsa_system_sgpr_workgroup_id_z 0
		.amdhsa_system_sgpr_workgroup_info 0
		.amdhsa_system_vgpr_workitem_id 1
		.amdhsa_next_free_vgpr 105
		.amdhsa_next_free_sgpr 58
		.amdhsa_accum_offset 108
		.amdhsa_reserve_vcc 1
		.amdhsa_float_round_mode_32 0
		.amdhsa_float_round_mode_16_64 0
		.amdhsa_float_denorm_mode_32 3
		.amdhsa_float_denorm_mode_16_64 3
		.amdhsa_dx10_clamp 1
		.amdhsa_ieee_mode 1
		.amdhsa_fp16_overflow 0
		.amdhsa_tg_split 0
		.amdhsa_exception_fp_ieee_invalid_op 0
		.amdhsa_exception_fp_denorm_src 0
		.amdhsa_exception_fp_ieee_div_zero 0
		.amdhsa_exception_fp_ieee_overflow 0
		.amdhsa_exception_fp_ieee_underflow 0
		.amdhsa_exception_fp_ieee_inexact 0
		.amdhsa_exception_int_div_zero 0
	.end_amdhsa_kernel
	.section	.text._ZN2at6native12_GLOBAL__N_135GammaBetaBackwardCUDAKernelTemplateIN3c104HalfEfLj32ELj8ELj64ELb0ELb0ELb0EEEvllPKT_S7_PKT0_SA_PS5_SB_,"axG",@progbits,_ZN2at6native12_GLOBAL__N_135GammaBetaBackwardCUDAKernelTemplateIN3c104HalfEfLj32ELj8ELj64ELb0ELb0ELb0EEEvllPKT_S7_PKT0_SA_PS5_SB_,comdat
.Lfunc_end88:
	.size	_ZN2at6native12_GLOBAL__N_135GammaBetaBackwardCUDAKernelTemplateIN3c104HalfEfLj32ELj8ELj64ELb0ELb0ELb0EEEvllPKT_S7_PKT0_SA_PS5_SB_, .Lfunc_end88-_ZN2at6native12_GLOBAL__N_135GammaBetaBackwardCUDAKernelTemplateIN3c104HalfEfLj32ELj8ELj64ELb0ELb0ELb0EEEvllPKT_S7_PKT0_SA_PS5_SB_
                                        ; -- End function
	.section	.AMDGPU.csdata,"",@progbits
; Kernel info:
; codeLenInByte = 7572
; NumSgprs: 64
; NumVgprs: 105
; NumAgprs: 0
; TotalNumVgprs: 105
; ScratchSize: 0
; MemoryBound: 0
; FloatMode: 240
; IeeeMode: 1
; LDSByteSize: 0 bytes/workgroup (compile time only)
; SGPRBlocks: 7
; VGPRBlocks: 13
; NumSGPRsForWavesPerEU: 64
; NumVGPRsForWavesPerEU: 105
; AccumOffset: 108
; Occupancy: 4
; WaveLimiterHint : 0
; COMPUTE_PGM_RSRC2:SCRATCH_EN: 0
; COMPUTE_PGM_RSRC2:USER_SGPR: 2
; COMPUTE_PGM_RSRC2:TRAP_HANDLER: 0
; COMPUTE_PGM_RSRC2:TGID_X_EN: 1
; COMPUTE_PGM_RSRC2:TGID_Y_EN: 1
; COMPUTE_PGM_RSRC2:TGID_Z_EN: 0
; COMPUTE_PGM_RSRC2:TIDIG_COMP_CNT: 1
; COMPUTE_PGM_RSRC3_GFX90A:ACCUM_OFFSET: 26
; COMPUTE_PGM_RSRC3_GFX90A:TG_SPLIT: 0
	.section	.text._ZN2at6native12_GLOBAL__N_135GammaBetaBackwardCUDAKernelTemplateIN3c104HalfEfLj32ELj16ELj128ELb0ELb1ELb0EEEvllPKT_S7_PKT0_SA_PS5_SB_,"axG",@progbits,_ZN2at6native12_GLOBAL__N_135GammaBetaBackwardCUDAKernelTemplateIN3c104HalfEfLj32ELj16ELj128ELb0ELb1ELb0EEEvllPKT_S7_PKT0_SA_PS5_SB_,comdat
	.globl	_ZN2at6native12_GLOBAL__N_135GammaBetaBackwardCUDAKernelTemplateIN3c104HalfEfLj32ELj16ELj128ELb0ELb1ELb0EEEvllPKT_S7_PKT0_SA_PS5_SB_ ; -- Begin function _ZN2at6native12_GLOBAL__N_135GammaBetaBackwardCUDAKernelTemplateIN3c104HalfEfLj32ELj16ELj128ELb0ELb1ELb0EEEvllPKT_S7_PKT0_SA_PS5_SB_
	.p2align	8
	.type	_ZN2at6native12_GLOBAL__N_135GammaBetaBackwardCUDAKernelTemplateIN3c104HalfEfLj32ELj16ELj128ELb0ELb1ELb0EEEvllPKT_S7_PKT0_SA_PS5_SB_,@function
_ZN2at6native12_GLOBAL__N_135GammaBetaBackwardCUDAKernelTemplateIN3c104HalfEfLj32ELj16ELj128ELb0ELb1ELb0EEEvllPKT_S7_PKT0_SA_PS5_SB_: ; @_ZN2at6native12_GLOBAL__N_135GammaBetaBackwardCUDAKernelTemplateIN3c104HalfEfLj32ELj16ELj128ELb0ELb1ELb0EEEvllPKT_S7_PKT0_SA_PS5_SB_
; %bb.0:
	s_load_dwordx4 s[16:19], s[0:1], 0x0
	s_lshl_b32 s6, s3, 7
	s_mov_b32 s7, 0
	v_bfe_u32 v12, v0, 10, 10
	s_waitcnt lgkmcnt(0)
	v_mov_b64_e32 v[2:3], s[16:17]
	v_cmp_lt_i64_e32 vcc, s[6:7], v[2:3]
	s_cbranch_vccnz .LBB89_2
; %bb.1:
	s_mov_b64 s[4:5], 0
	v_bfe_u32 v2, v0, 10, 10
	s_branch .LBB89_3
.LBB89_2:
	s_mov_b64 s[4:5], -1
                                        ; implicit-def: $vgpr2
.LBB89_3:
	v_and_b32_e32 v10, 0x3ff, v0
	s_andn2_b64 vcc, exec, s[4:5]
	v_mov_b32_e32 v1, s7
	v_mbcnt_lo_u32_b32 v11, -1, 0
	v_mov_b32_e32 v0, s7
	s_cbranch_vccnz .LBB89_11
; %bb.4:
	s_load_dword s3, s[0:1], 0x4c
	s_load_dword s20, s[0:1], 0x44
	s_load_dwordx8 s[8:15], s[0:1], 0x10
	v_lshlrev_b32_e32 v0, 3, v12
	v_mbcnt_hi_u32_b32 v4, -1, v11
	s_waitcnt lgkmcnt(0)
	s_and_b32 s3, s3, 0xffff
	v_mad_u32_u24 v1, v12, s3, v10
	v_and_b32_e32 v2, 63, v1
	v_mov_b32_e32 v1, 0
	v_mov_b32_e32 v3, v1
	v_lshl_add_u64 v[8:9], v[0:1], 0, s[6:7]
	v_cmp_gt_u32_e64 s[4:5], 8, v2
	s_lshl_b32 s20, s20, 7
	v_lshl_add_u64 v[2:3], v[8:9], 0, v[2:3]
	v_mul_lo_u32 v0, s19, v8
	v_mul_lo_u32 v21, s18, v9
	v_mad_u64_u32 v[8:9], s[24:25], s18, v8, 0
	v_lshl_add_u32 v6, s2, 5, v10
	v_mov_b32_e32 v7, v1
	v_lshlrev_b32_e32 v4, 2, v4
	s_mul_i32 s3, s19, s20
	s_mul_hi_u32 s24, s18, s20
	s_mov_b32 s21, 0
	v_and_b32_e32 v13, 0x100, v4
	v_add3_u32 v9, v9, v21, v0
	v_lshlrev_b64 v[6:7], 1, v[6:7]
	s_add_i32 s25, s24, s3
	s_mul_i32 s24, s18, s20
	v_or_b32_e32 v14, 4, v13
	v_or_b32_e32 v15, 8, v13
	;; [unrolled: 1-line block ×7, first 2 shown]
	v_lshlrev_b64 v[4:5], 2, v[2:3]
	s_lshl_b64 s[22:23], s[20:21], 2
	v_lshl_add_u64 v[6:7], v[8:9], 1, v[6:7]
	s_lshl_b64 s[24:25], s[24:25], 1
	s_lshl_b64 s[18:19], s[18:19], 1
	v_mov_b64_e32 v[8:9], s[16:17]
	v_mov_b32_e32 v0, v1
	s_branch .LBB89_7
.LBB89_5:                               ;   in Loop: Header=BB89_7 Depth=1
	s_or_b64 exec, exec, s[28:29]
.LBB89_6:                               ;   in Loop: Header=BB89_7 Depth=1
	s_or_b64 exec, exec, s[26:27]
	v_lshl_add_u64 v[24:25], s[8:9], 0, v[6:7]
	global_load_ushort v23, v[24:25], off
	v_lshl_add_u64 v[26:27], s[10:11], 0, v[6:7]
	v_lshl_add_u64 v[24:25], v[24:25], 0, s[18:19]
	global_load_ushort v28, v[26:27], off
	global_load_ushort v29, v[24:25], off
	v_lshl_add_u64 v[26:27], v[26:27], 0, s[18:19]
	v_lshl_add_u64 v[24:25], v[24:25], 0, s[18:19]
	global_load_ushort v30, v[26:27], off
	;; [unrolled: 4-line block ×7, first 2 shown]
	global_load_ushort v41, v[24:25], off
	v_lshl_add_u64 v[24:25], v[26:27], 0, s[18:19]
	global_load_ushort v25, v[24:25], off
	s_waitcnt vmcnt(17)
	ds_bpermute_b32 v42, v13, v21
	s_waitcnt vmcnt(16)
	ds_bpermute_b32 v27, v13, v22
	ds_bpermute_b32 v43, v14, v22
	;; [unrolled: 1-line block ×15, first 2 shown]
	s_add_u32 s6, s6, s20
	s_addc_u32 s7, s7, 0
	v_cmp_lt_i64_e32 vcc, s[6:7], v[8:9]
	v_lshl_add_u64 v[4:5], v[4:5], 0, s[22:23]
	v_lshl_add_u64 v[2:3], v[2:3], 0, s[20:21]
	;; [unrolled: 1-line block ×3, first 2 shown]
	s_and_b64 vcc, exec, vcc
	s_waitcnt vmcnt(15)
	v_cvt_f32_f16_e32 v22, v23
	s_waitcnt vmcnt(14)
	v_cvt_f32_f16_e32 v23, v28
	;; [unrolled: 2-line block ×5, first 2 shown]
	s_waitcnt lgkmcnt(14)
	v_sub_f32_e32 v23, v23, v42
	v_mul_f32_e32 v23, v23, v22
	s_waitcnt vmcnt(10)
	v_cvt_f32_f16_e32 v31, v32
	s_waitcnt vmcnt(9)
	v_cvt_f32_f16_e32 v28, v33
	s_waitcnt lgkmcnt(12)
	v_sub_f32_e32 v29, v29, v44
	v_mul_f32_e32 v23, v23, v27
	s_waitcnt vmcnt(8)
	v_cvt_f32_f16_e32 v33, v34
	s_waitcnt vmcnt(7)
	v_cvt_f32_f16_e32 v30, v35
	v_mul_f32_e32 v27, v29, v24
	s_waitcnt lgkmcnt(5)
	v_sub_f32_e32 v29, v31, v46
	s_waitcnt vmcnt(6)
	v_cvt_f32_f16_e32 v35, v36
	s_waitcnt vmcnt(5)
	v_cvt_f32_f16_e32 v32, v37
	v_pk_add_f32 v[0:1], v[0:1], v[22:23]
	s_waitcnt vmcnt(4)
	v_cvt_f32_f16_e32 v37, v38
	s_waitcnt vmcnt(3)
	v_cvt_f32_f16_e32 v34, v39
	s_waitcnt lgkmcnt(3)
	v_sub_f32_e32 v23, v35, v50
	s_waitcnt vmcnt(2)
	v_cvt_f32_f16_e32 v38, v40
	s_waitcnt vmcnt(1)
	v_cvt_f32_f16_e32 v36, v41
	s_waitcnt vmcnt(0)
	v_cvt_f32_f16_e32 v39, v25
	v_mul_f32_e32 v25, v27, v43
	v_mul_f32_e32 v27, v29, v26
	v_sub_f32_e32 v29, v33, v48
	v_mul_f32_e32 v27, v27, v45
	v_mul_f32_e32 v22, v29, v28
	v_pk_add_f32 v[0:1], v[0:1], v[24:25]
	v_mul_f32_e32 v29, v22, v47
	v_mul_f32_e32 v22, v23, v30
	s_waitcnt lgkmcnt(2)
	v_sub_f32_e32 v23, v37, v52
	v_pk_add_f32 v[0:1], v[0:1], v[26:27]
	v_mul_f32_e32 v31, v22, v49
	v_mul_f32_e32 v22, v23, v32
	s_waitcnt lgkmcnt(1)
	v_sub_f32_e32 v23, v38, v54
	v_pk_add_f32 v[0:1], v[0:1], v[28:29]
	v_mul_f32_e32 v33, v22, v51
	v_mul_f32_e32 v22, v23, v34
	v_pk_add_f32 v[0:1], v[0:1], v[30:31]
	s_waitcnt lgkmcnt(0)
	v_sub_f32_e32 v21, v39, v21
	v_mul_f32_e32 v35, v22, v53
	v_pk_add_f32 v[0:1], v[0:1], v[32:33]
	v_mul_f32_e32 v21, v21, v36
	v_pk_add_f32 v[0:1], v[0:1], v[34:35]
	v_mul_f32_e32 v37, v21, v55
	v_pk_add_f32 v[0:1], v[0:1], v[36:37]
	s_cbranch_vccz .LBB89_10
.LBB89_7:                               ; =>This Inner Loop Header: Depth=1
	v_mov_b32_e32 v22, 0
	v_mov_b32_e32 v21, 0
	s_and_saveexec_b64 s[26:27], s[4:5]
	s_cbranch_execz .LBB89_6
; %bb.8:                                ;   in Loop: Header=BB89_7 Depth=1
	v_cmp_gt_i64_e32 vcc, s[16:17], v[2:3]
	v_mov_b32_e32 v21, 0
	v_mov_b32_e32 v22, 0
	s_and_saveexec_b64 s[28:29], vcc
	s_cbranch_execz .LBB89_5
; %bb.9:                                ;   in Loop: Header=BB89_7 Depth=1
	v_lshl_add_u64 v[26:27], s[12:13], 0, v[4:5]
	v_lshl_add_u64 v[24:25], s[14:15], 0, v[4:5]
	global_load_dword v21, v[26:27], off
	global_load_dword v22, v[24:25], off
	s_branch .LBB89_5
.LBB89_10:
	v_mov_b32_e32 v2, v12
.LBB89_11:
	s_load_dwordx4 s[8:11], s[0:1], 0x30
	v_mad_u32_u24 v3, v2, 33, v10
	v_lshl_add_u32 v4, v3, 2, 0
	ds_write_b32 v4, v1
	ds_write_b32 v4, v0 offset:2112
	v_sub_u32_e32 v0, v3, v2
	s_movk_i32 s0, 0x800
	s_mov_b32 s3, 0
	v_cmp_gt_u32_e32 vcc, s0, v0
	s_waitcnt lgkmcnt(0)
	s_barrier
	s_and_saveexec_b64 s[0:1], vcc
	s_cbranch_execz .LBB89_21
; %bb.12:
	v_lshrrev_b32_e32 v4, 6, v0
	v_and_b32_e32 v5, 63, v0
	v_mbcnt_hi_u32_b32 v0, -1, v11
	v_and_b32_e32 v2, 64, v0
	v_add_u32_e32 v2, 64, v2
	v_xor_b32_e32 v3, 8, v0
	v_cmp_lt_i32_e32 vcc, v3, v2
	s_cmp_lg_u64 s[8:9], 0
	v_cmp_eq_u32_e64 s[4:5], 0, v10
	v_cndmask_b32_e32 v3, v0, v3, vcc
	v_lshlrev_b32_e32 v6, 2, v3
	v_xor_b32_e32 v3, 4, v0
	v_cmp_lt_i32_e32 vcc, v3, v2
	s_cselect_b64 s[6:7], -1, 0
	s_cmp_lg_u64 s[10:11], 0
	v_cndmask_b32_e32 v3, v0, v3, vcc
	v_lshlrev_b32_e32 v7, 2, v3
	v_xor_b32_e32 v3, 2, v0
	v_cmp_lt_i32_e32 vcc, v3, v2
	v_add_u32_e32 v10, -8, v4
	v_mov_b32_e32 v1, 0
	v_cndmask_b32_e32 v3, v0, v3, vcc
	v_lshlrev_b32_e32 v8, 2, v3
	v_xor_b32_e32 v3, 1, v0
	v_cmp_lt_i32_e32 vcc, v3, v2
	s_cselect_b64 s[14:15], -1, 0
	s_lshl_b64 s[2:3], s[2:3], 6
	v_cndmask_b32_e32 v0, v0, v3, vcc
	v_lshlrev_b32_e32 v9, 2, v0
	v_lshlrev_b32_e32 v0, 1, v4
	v_mad_u32_u24 v4, v5, 33, v4
	v_lshl_add_u32 v11, v4, 2, 0
	v_cndmask_b32_e64 v4, 0, 1, s[6:7]
	v_lshl_add_u64 v[2:3], s[2:3], 0, v[0:1]
	v_cmp_ne_u32_e64 s[2:3], 1, v4
	v_cndmask_b32_e64 v4, 0, 1, s[14:15]
	v_cmp_gt_u32_e64 s[0:1], 16, v5
	s_mov_b64 s[12:13], 0
	v_lshl_add_u64 v[0:1], s[10:11], 0, v[2:3]
	v_lshl_add_u64 v[2:3], s[8:9], 0, v[2:3]
	v_cmp_ne_u32_e64 s[6:7], 1, v4
                                        ; implicit-def: $vgpr4
	s_branch .LBB89_14
.LBB89_13:                              ;   in Loop: Header=BB89_14 Depth=1
	s_or_b64 exec, exec, s[8:9]
	v_add_u32_e32 v10, 8, v10
	v_cmp_lt_u32_e32 vcc, 23, v10
	v_lshl_add_u64 v[0:1], v[0:1], 0, 16
	v_lshl_add_u64 v[2:3], v[2:3], 0, 16
	s_or_b64 s[12:13], vcc, s[12:13]
	v_add_u32_e32 v11, 32, v11
	s_andn2_b64 exec, exec, s[12:13]
	s_cbranch_execz .LBB89_21
.LBB89_14:                              ; =>This Inner Loop Header: Depth=1
	s_and_saveexec_b64 s[8:9], s[0:1]
	s_cbranch_execz .LBB89_16
; %bb.15:                               ;   in Loop: Header=BB89_14 Depth=1
	ds_read_b32 v5, v11
	ds_read_b32 v4, v11 offset:2112
.LBB89_16:                              ;   in Loop: Header=BB89_14 Depth=1
	s_or_b64 exec, exec, s[8:9]
	s_waitcnt lgkmcnt(1)
	ds_bpermute_b32 v13, v6, v5
	s_waitcnt lgkmcnt(1)
	ds_bpermute_b32 v12, v6, v4
	s_waitcnt lgkmcnt(0)
	v_pk_add_f32 v[4:5], v[4:5], v[12:13]
	ds_bpermute_b32 v13, v7, v5
	ds_bpermute_b32 v12, v7, v4
	s_waitcnt lgkmcnt(0)
	v_pk_add_f32 v[4:5], v[4:5], v[12:13]
	ds_bpermute_b32 v13, v8, v5
	ds_bpermute_b32 v12, v8, v4
	s_waitcnt lgkmcnt(0)
	v_pk_add_f32 v[4:5], v[4:5], v[12:13]
	ds_bpermute_b32 v13, v9, v5
	ds_bpermute_b32 v12, v9, v4
	s_waitcnt lgkmcnt(0)
	v_pk_add_f32 v[4:5], v[4:5], v[12:13]
	s_and_saveexec_b64 s[8:9], s[4:5]
	s_cbranch_execz .LBB89_13
; %bb.17:                               ;   in Loop: Header=BB89_14 Depth=1
	s_and_b64 vcc, exec, s[2:3]
	s_cbranch_vccnz .LBB89_19
; %bb.18:                               ;   in Loop: Header=BB89_14 Depth=1
	v_cvt_f16_f32_e32 v12, v5
	global_store_short v[2:3], v12, off
.LBB89_19:                              ;   in Loop: Header=BB89_14 Depth=1
	s_and_b64 vcc, exec, s[6:7]
	s_cbranch_vccnz .LBB89_13
; %bb.20:                               ;   in Loop: Header=BB89_14 Depth=1
	v_cvt_f16_f32_e32 v12, v4
	global_store_short v[0:1], v12, off
	s_branch .LBB89_13
.LBB89_21:
	s_endpgm
	.section	.rodata,"a",@progbits
	.p2align	6, 0x0
	.amdhsa_kernel _ZN2at6native12_GLOBAL__N_135GammaBetaBackwardCUDAKernelTemplateIN3c104HalfEfLj32ELj16ELj128ELb0ELb1ELb0EEEvllPKT_S7_PKT0_SA_PS5_SB_
		.amdhsa_group_segment_fixed_size 0
		.amdhsa_private_segment_fixed_size 0
		.amdhsa_kernarg_size 320
		.amdhsa_user_sgpr_count 2
		.amdhsa_user_sgpr_dispatch_ptr 0
		.amdhsa_user_sgpr_queue_ptr 0
		.amdhsa_user_sgpr_kernarg_segment_ptr 1
		.amdhsa_user_sgpr_dispatch_id 0
		.amdhsa_user_sgpr_kernarg_preload_length 0
		.amdhsa_user_sgpr_kernarg_preload_offset 0
		.amdhsa_user_sgpr_private_segment_size 0
		.amdhsa_uses_dynamic_stack 0
		.amdhsa_enable_private_segment 0
		.amdhsa_system_sgpr_workgroup_id_x 1
		.amdhsa_system_sgpr_workgroup_id_y 1
		.amdhsa_system_sgpr_workgroup_id_z 0
		.amdhsa_system_sgpr_workgroup_info 0
		.amdhsa_system_vgpr_workitem_id 1
		.amdhsa_next_free_vgpr 56
		.amdhsa_next_free_sgpr 30
		.amdhsa_accum_offset 56
		.amdhsa_reserve_vcc 1
		.amdhsa_float_round_mode_32 0
		.amdhsa_float_round_mode_16_64 0
		.amdhsa_float_denorm_mode_32 3
		.amdhsa_float_denorm_mode_16_64 3
		.amdhsa_dx10_clamp 1
		.amdhsa_ieee_mode 1
		.amdhsa_fp16_overflow 0
		.amdhsa_tg_split 0
		.amdhsa_exception_fp_ieee_invalid_op 0
		.amdhsa_exception_fp_denorm_src 0
		.amdhsa_exception_fp_ieee_div_zero 0
		.amdhsa_exception_fp_ieee_overflow 0
		.amdhsa_exception_fp_ieee_underflow 0
		.amdhsa_exception_fp_ieee_inexact 0
		.amdhsa_exception_int_div_zero 0
	.end_amdhsa_kernel
	.section	.text._ZN2at6native12_GLOBAL__N_135GammaBetaBackwardCUDAKernelTemplateIN3c104HalfEfLj32ELj16ELj128ELb0ELb1ELb0EEEvllPKT_S7_PKT0_SA_PS5_SB_,"axG",@progbits,_ZN2at6native12_GLOBAL__N_135GammaBetaBackwardCUDAKernelTemplateIN3c104HalfEfLj32ELj16ELj128ELb0ELb1ELb0EEEvllPKT_S7_PKT0_SA_PS5_SB_,comdat
.Lfunc_end89:
	.size	_ZN2at6native12_GLOBAL__N_135GammaBetaBackwardCUDAKernelTemplateIN3c104HalfEfLj32ELj16ELj128ELb0ELb1ELb0EEEvllPKT_S7_PKT0_SA_PS5_SB_, .Lfunc_end89-_ZN2at6native12_GLOBAL__N_135GammaBetaBackwardCUDAKernelTemplateIN3c104HalfEfLj32ELj16ELj128ELb0ELb1ELb0EEEvllPKT_S7_PKT0_SA_PS5_SB_
                                        ; -- End function
	.section	.AMDGPU.csdata,"",@progbits
; Kernel info:
; codeLenInByte = 1712
; NumSgprs: 36
; NumVgprs: 56
; NumAgprs: 0
; TotalNumVgprs: 56
; ScratchSize: 0
; MemoryBound: 0
; FloatMode: 240
; IeeeMode: 1
; LDSByteSize: 0 bytes/workgroup (compile time only)
; SGPRBlocks: 4
; VGPRBlocks: 6
; NumSGPRsForWavesPerEU: 36
; NumVGPRsForWavesPerEU: 56
; AccumOffset: 56
; Occupancy: 8
; WaveLimiterHint : 0
; COMPUTE_PGM_RSRC2:SCRATCH_EN: 0
; COMPUTE_PGM_RSRC2:USER_SGPR: 2
; COMPUTE_PGM_RSRC2:TRAP_HANDLER: 0
; COMPUTE_PGM_RSRC2:TGID_X_EN: 1
; COMPUTE_PGM_RSRC2:TGID_Y_EN: 1
; COMPUTE_PGM_RSRC2:TGID_Z_EN: 0
; COMPUTE_PGM_RSRC2:TIDIG_COMP_CNT: 1
; COMPUTE_PGM_RSRC3_GFX90A:ACCUM_OFFSET: 13
; COMPUTE_PGM_RSRC3_GFX90A:TG_SPLIT: 0
	.section	.text._ZN2at6native12_GLOBAL__N_135GammaBetaBackwardCUDAKernelTemplateIN3c104HalfEfLj32ELj16ELj128ELb0ELb0ELb0EEEvllPKT_S7_PKT0_SA_PS5_SB_,"axG",@progbits,_ZN2at6native12_GLOBAL__N_135GammaBetaBackwardCUDAKernelTemplateIN3c104HalfEfLj32ELj16ELj128ELb0ELb0ELb0EEEvllPKT_S7_PKT0_SA_PS5_SB_,comdat
	.globl	_ZN2at6native12_GLOBAL__N_135GammaBetaBackwardCUDAKernelTemplateIN3c104HalfEfLj32ELj16ELj128ELb0ELb0ELb0EEEvllPKT_S7_PKT0_SA_PS5_SB_ ; -- Begin function _ZN2at6native12_GLOBAL__N_135GammaBetaBackwardCUDAKernelTemplateIN3c104HalfEfLj32ELj16ELj128ELb0ELb0ELb0EEEvllPKT_S7_PKT0_SA_PS5_SB_
	.p2align	8
	.type	_ZN2at6native12_GLOBAL__N_135GammaBetaBackwardCUDAKernelTemplateIN3c104HalfEfLj32ELj16ELj128ELb0ELb0ELb0EEEvllPKT_S7_PKT0_SA_PS5_SB_,@function
_ZN2at6native12_GLOBAL__N_135GammaBetaBackwardCUDAKernelTemplateIN3c104HalfEfLj32ELj16ELj128ELb0ELb0ELb0EEEvllPKT_S7_PKT0_SA_PS5_SB_: ; @_ZN2at6native12_GLOBAL__N_135GammaBetaBackwardCUDAKernelTemplateIN3c104HalfEfLj32ELj16ELj128ELb0ELb0ELb0EEEvllPKT_S7_PKT0_SA_PS5_SB_
; %bb.0:
	s_load_dwordx8 s[8:15], s[0:1], 0x0
	s_load_dwordx4 s[24:27], s[0:1], 0x20
	s_lshl_b32 s33, s2, 5
	s_mov_b32 s16, 0
	s_or_b32 s4, s33, 31
	s_mov_b32 s5, s16
	s_waitcnt lgkmcnt(0)
	v_mov_b64_e32 v[2:3], s[10:11]
	v_cmp_ge_i64_e32 vcc, s[4:5], v[2:3]
	s_lshl_b32 s28, s3, 7
	s_mov_b32 s29, s16
	v_mov_b64_e32 v[2:3], s[8:9]
	v_cmp_lt_i64_e64 s[4:5], s[28:29], v[2:3]
	s_nop 1
	v_cndmask_b32_e64 v1, 0, 1, s[4:5]
	v_cmp_ne_u32_e64 s[4:5], 1, v1
	s_cbranch_vccz .LBB90_48
; %bb.1:
	v_mov_b32_e32 v43, 0
	s_and_b64 vcc, exec, s[4:5]
	v_mov_b32_e32 v42, v43
	s_cbranch_vccnz .LBB90_49
; %bb.2:
	v_mov_b32_e32 v3, 0
	v_bfe_u32 v66, v0, 10, 10
	s_load_dword s3, s[0:1], 0x44
	v_lshlrev_b32_e32 v26, 3, v66
	v_mov_b32_e32 v27, v3
	v_and_b32_e32 v1, 0x3ff, v0
	v_lshl_add_u64 v[4:5], v[26:27], 0, s[28:29]
	v_add_u32_e32 v2, s33, v1
	v_lshl_add_u64 v[6:7], v[4:5], 0, 7
	s_add_u32 s30, s0, 64
	v_cmp_gt_i64_e64 s[6:7], s[10:11], v[2:3]
	v_lshlrev_b64 v[28:29], 1, v[2:3]
	v_mul_lo_u32 v2, s11, v6
	v_mul_lo_u32 v8, s10, v7
	v_mad_u64_u32 v[6:7], s[18:19], s10, v6, 0
	s_addc_u32 s31, s1, 0
	s_waitcnt lgkmcnt(0)
	s_lshl_b32 s3, s3, 7
	v_add3_u32 v7, v7, v8, v2
	v_lshlrev_b64 v[6:7], 1, v[6:7]
	s_mul_i32 s17, s11, s3
	s_mul_hi_u32 s18, s10, s3
	v_lshl_add_u64 v[30:31], s[12:13], 0, v[6:7]
	s_add_i32 s19, s18, s17
	s_mul_i32 s18, s10, s3
	v_lshl_add_u64 v[32:33], s[14:15], 0, v[6:7]
	v_lshl_add_u64 v[6:7], v[4:5], 0, 6
	s_lshl_b64 s[34:35], s[18:19], 1
	v_mul_lo_u32 v2, s11, v6
	v_mul_lo_u32 v8, s10, v7
	v_mad_u64_u32 v[6:7], s[18:19], s10, v6, 0
	v_add3_u32 v7, v7, v8, v2
	v_lshlrev_b64 v[6:7], 1, v[6:7]
	v_lshl_add_u64 v[34:35], s[12:13], 0, v[6:7]
	v_lshl_add_u64 v[36:37], s[14:15], 0, v[6:7]
	v_lshl_add_u64 v[6:7], v[4:5], 0, 5
	v_mul_lo_u32 v2, s11, v6
	v_mul_lo_u32 v8, s10, v7
	v_mad_u64_u32 v[6:7], s[18:19], s10, v6, 0
	v_add3_u32 v7, v7, v8, v2
	v_lshlrev_b64 v[6:7], 1, v[6:7]
	v_lshl_add_u64 v[38:39], s[12:13], 0, v[6:7]
	v_lshl_add_u64 v[40:41], s[14:15], 0, v[6:7]
	v_lshl_add_u64 v[6:7], v[4:5], 0, 4
	v_mul_lo_u32 v2, s11, v6
	v_mul_lo_u32 v8, s10, v7
	v_mad_u64_u32 v[6:7], s[18:19], s10, v6, 0
	v_add3_u32 v7, v7, v8, v2
	v_lshlrev_b64 v[6:7], 1, v[6:7]
	v_lshl_add_u64 v[44:45], s[12:13], 0, v[6:7]
	v_lshl_add_u64 v[46:47], s[14:15], 0, v[6:7]
	v_lshl_add_u64 v[6:7], v[4:5], 0, 3
	v_mul_lo_u32 v2, s11, v6
	v_mul_lo_u32 v8, s10, v7
	v_mad_u64_u32 v[6:7], s[18:19], s10, v6, 0
	v_add3_u32 v7, v7, v8, v2
	v_lshlrev_b64 v[6:7], 1, v[6:7]
	v_lshl_add_u64 v[48:49], s[12:13], 0, v[6:7]
	v_lshl_add_u64 v[50:51], s[14:15], 0, v[6:7]
	v_lshl_add_u64 v[6:7], v[4:5], 0, 2
	v_mul_lo_u32 v2, s11, v6
	v_mul_lo_u32 v8, s10, v7
	v_mad_u64_u32 v[6:7], s[18:19], s10, v6, 0
	v_add3_u32 v7, v7, v8, v2
	v_lshlrev_b64 v[6:7], 1, v[6:7]
	v_lshl_add_u64 v[52:53], s[12:13], 0, v[6:7]
	v_lshl_add_u64 v[54:55], s[14:15], 0, v[6:7]
	v_mov_b64_e32 v[6:7], s[10:11]
	v_mad_u64_u32 v[6:7], s[18:19], s10, v4, v[6:7]
	v_mul_lo_u32 v2, s10, v5
	v_mul_lo_u32 v8, s11, v4
	v_mad_u64_u32 v[4:5], s[18:19], s10, v4, 0
	v_add3_u32 v7, v8, v7, v2
	v_add3_u32 v5, v5, v2, v8
	v_mbcnt_lo_u32_b32 v2, -1, 0
	v_mbcnt_hi_u32_b32 v2, -1, v2
	v_lshlrev_b64 v[6:7], 1, v[6:7]
	s_add_u32 s36, s28, 0x7f
	v_lshlrev_b64 v[4:5], 1, v[4:5]
	s_movk_i32 s38, 0xff81
	s_movk_i32 s40, 0xff82
	;; [unrolled: 1-line block ×8, first 2 shown]
	v_lshlrev_b32_e32 v2, 2, v2
	v_lshl_add_u64 v[56:57], s[12:13], 0, v[6:7]
	v_lshl_add_u64 v[58:59], s[14:15], 0, v[6:7]
	s_addc_u32 s37, 0, 0
	v_lshl_add_u64 v[60:61], s[12:13], 0, v[4:5]
	v_lshl_add_u64 v[62:63], s[14:15], 0, v[4:5]
	s_mov_b32 s39, -1
	s_mov_b32 s41, -1
	;; [unrolled: 1-line block ×8, first 2 shown]
	v_and_b32_e32 v67, 0x100, v2
	s_mov_b64 s[54:55], s[28:29]
	v_mov_b32_e32 v42, v3
	v_mov_b32_e32 v43, v3
	s_branch .LBB90_5
.LBB90_3:                               ;   in Loop: Header=BB90_5 Depth=1
	s_or_b64 exec, exec, s[18:19]
	s_waitcnt vmcnt(1)
	ds_bpermute_b32 v2, v67, v69
	ds_bpermute_b32 v4, v67, v69 offset:4
	s_waitcnt vmcnt(0)
	ds_bpermute_b32 v5, v67, v68
	ds_bpermute_b32 v6, v67, v68 offset:4
	ds_bpermute_b32 v8, v67, v68 offset:12
	s_waitcnt lgkmcnt(4)
	v_sub_f32_e32 v2, v10, v2
	v_mul_f32_e32 v2, v18, v2
	s_waitcnt lgkmcnt(3)
	v_sub_f32_e32 v4, v11, v4
	s_waitcnt lgkmcnt(2)
	v_mul_f32_e32 v5, v2, v5
	ds_bpermute_b32 v2, v67, v69 offset:8
	v_mul_f32_e32 v4, v19, v4
	s_waitcnt lgkmcnt(2)
	v_mul_f32_e32 v7, v4, v6
	ds_bpermute_b32 v4, v67, v68 offset:8
	ds_bpermute_b32 v6, v67, v69 offset:12
	s_waitcnt lgkmcnt(2)
	v_sub_f32_e32 v2, v12, v2
	v_mul_f32_e32 v2, v20, v2
	v_mov_b32_e32 v10, v21
	s_waitcnt lgkmcnt(1)
	v_mul_f32_e32 v9, v2, v4
	s_waitcnt lgkmcnt(0)
	v_sub_f32_e32 v2, v13, v6
	ds_bpermute_b32 v4, v67, v69 offset:16
	v_mul_f32_e32 v2, v21, v2
	v_mul_f32_e32 v11, v2, v8
	ds_bpermute_b32 v2, v67, v68 offset:16
	ds_bpermute_b32 v6, v67, v69 offset:20
	;; [unrolled: 1-line block ×3, first 2 shown]
	s_waitcnt lgkmcnt(3)
	v_sub_f32_e32 v4, v14, v4
	v_mul_f32_e32 v4, v22, v4
	s_waitcnt lgkmcnt(2)
	v_mul_f32_e32 v13, v4, v2
	s_waitcnt lgkmcnt(1)
	v_sub_f32_e32 v2, v15, v6
	v_mul_f32_e32 v2, v23, v2
	s_waitcnt lgkmcnt(0)
	v_mul_f32_e32 v15, v2, v8
	v_mov_b32_e32 v4, v18
	ds_bpermute_b32 v2, v67, v69 offset:24
	v_pk_add_f32 v[4:5], v[42:43], v[4:5]
	v_mov_b32_e32 v6, v19
	v_pk_add_f32 v[4:5], v[6:7], v[4:5]
	ds_bpermute_b32 v7, v67, v68 offset:24
	v_mov_b32_e32 v8, v20
	v_pk_add_f32 v[4:5], v[8:9], v[4:5]
	v_mov_b32_e32 v12, v22
	v_pk_add_f32 v[4:5], v[10:11], v[4:5]
	s_waitcnt lgkmcnt(1)
	v_sub_f32_e32 v8, v16, v2
	v_pk_add_f32 v[4:5], v[12:13], v[4:5]
	v_mov_b32_e32 v14, v23
	v_mul_f32_e32 v8, v24, v8
	v_pk_add_f32 v[4:5], v[14:15], v[4:5]
	s_waitcnt lgkmcnt(0)
	v_mul_f32_e32 v9, v8, v7
	v_mov_b32_e32 v8, v24
	ds_bpermute_b32 v2, v67, v68 offset:28
	ds_bpermute_b32 v6, v67, v69 offset:28
	v_pk_add_f32 v[4:5], v[8:9], v[4:5]
.LBB90_4:                               ;   in Loop: Header=BB90_5 Depth=1
	s_waitcnt lgkmcnt(0)
	v_sub_f32_e32 v6, v17, v6
	v_mul_f32_e32 v6, v25, v6
	v_mul_f32_e32 v7, v6, v2
	v_mov_b32_e32 v6, v25
	s_add_u32 s54, s54, s3
	v_pk_add_f32 v[42:43], v[4:5], v[6:7]
	s_addc_u32 s55, s55, 0
	v_mov_b64_e32 v[4:5], s[8:9]
	s_add_u32 s36, s36, s3
	v_cmp_lt_i64_e32 vcc, s[54:55], v[4:5]
	v_lshl_add_u64 v[30:31], v[30:31], 0, s[34:35]
	v_lshl_add_u64 v[32:33], v[32:33], 0, s[34:35]
	;; [unrolled: 1-line block ×14, first 2 shown]
	s_addc_u32 s37, s37, 0
	v_lshl_add_u64 v[60:61], v[60:61], 0, s[34:35]
	v_lshl_add_u64 v[62:63], v[62:63], 0, s[34:35]
	s_cbranch_vccz .LBB90_49
.LBB90_5:                               ; =>This Inner Loop Header: Depth=1
	v_mov_b64_e32 v[4:5], s[8:9]
	v_cmp_ge_i64_e32 vcc, s[36:37], v[4:5]
	v_lshl_add_u64 v[64:65], v[26:27], 0, s[36:37]
	s_cbranch_vccz .LBB90_27
; %bb.6:                                ;   in Loop: Header=BB90_5 Depth=1
	s_load_dword s17, s[30:31], 0xc
	v_mov_b32_e32 v68, 0
	v_mov_b32_e32 v69, 0
	s_waitcnt lgkmcnt(0)
	s_and_b32 s17, s17, 0xffff
	v_mad_u32_u24 v2, v66, s17, v1
	v_and_b32_e32 v2, 63, v2
	v_cmp_gt_u32_e32 vcc, 8, v2
	s_and_saveexec_b64 s[18:19], vcc
	s_cbranch_execz .LBB90_10
; %bb.7:                                ;   in Loop: Header=BB90_5 Depth=1
	v_lshl_add_u64 v[4:5], v[64:65], 0, v[2:3]
	v_lshl_add_u64 v[4:5], v[4:5], 0, s[38:39]
	v_cmp_gt_i64_e32 vcc, s[8:9], v[4:5]
	v_mov_b32_e32 v69, 0
	v_mov_b32_e32 v68, 0
	s_and_saveexec_b64 s[20:21], vcc
	s_cbranch_execz .LBB90_9
; %bb.8:                                ;   in Loop: Header=BB90_5 Depth=1
	v_lshlrev_b64 v[4:5], 2, v[4:5]
	v_lshl_add_u64 v[6:7], s[26:27], 0, v[4:5]
	v_lshl_add_u64 v[4:5], s[24:25], 0, v[4:5]
	global_load_dword v69, v[4:5], off
	global_load_dword v68, v[6:7], off
.LBB90_9:                               ;   in Loop: Header=BB90_5 Depth=1
	s_or_b64 exec, exec, s[20:21]
.LBB90_10:                              ;   in Loop: Header=BB90_5 Depth=1
	s_or_b64 exec, exec, s[18:19]
	s_mov_b32 s17, s16
	s_mov_b32 s18, s16
	;; [unrolled: 1-line block ×7, first 2 shown]
	v_mov_b64_e32 v[10:11], s[16:17]
	v_lshl_add_u64 v[4:5], v[64:65], 0, s[38:39]
	v_mov_b64_e32 v[16:17], s[22:23]
	v_cmp_gt_i64_e32 vcc, s[8:9], v[4:5]
	v_mov_b64_e32 v[12:13], s[18:19]
	v_mov_b64_e32 v[14:15], s[20:21]
	;; [unrolled: 1-line block ×3, first 2 shown]
	s_and_b64 s[56:57], s[6:7], vcc
	v_mov_b64_e32 v[22:23], v[14:15]
	v_mov_b64_e32 v[20:21], v[12:13]
	;; [unrolled: 1-line block ×3, first 2 shown]
	s_and_saveexec_b64 s[18:19], s[56:57]
	s_cbranch_execz .LBB90_12
; %bb.11:                               ;   in Loop: Header=BB90_5 Depth=1
	v_lshl_add_u64 v[4:5], v[60:61], 0, v[28:29]
	global_load_ushort v2, v[4:5], off
	v_lshl_add_u64 v[4:5], v[62:63], 0, v[28:29]
	global_load_ushort v10, v[4:5], off
	v_mov_b32_e32 v8, v3
	v_mov_b32_e32 v9, v3
	;; [unrolled: 1-line block ×13, first 2 shown]
	s_waitcnt vmcnt(1)
	v_cvt_f32_f16_e32 v2, v2
	v_mov_b64_e32 v[24:25], v[8:9]
	s_waitcnt vmcnt(0)
	v_cvt_f32_f16_e32 v10, v10
	v_mov_b64_e32 v[22:23], v[6:7]
	v_mov_b64_e32 v[20:21], v[4:5]
	;; [unrolled: 1-line block ×3, first 2 shown]
.LBB90_12:                              ;   in Loop: Header=BB90_5 Depth=1
	s_or_b64 exec, exec, s[18:19]
	v_lshl_add_u64 v[4:5], v[64:65], 0, s[40:41]
	v_cmp_gt_i64_e32 vcc, s[8:9], v[4:5]
	s_and_b64 s[20:21], s[6:7], vcc
	s_and_saveexec_b64 s[18:19], s[20:21]
	s_cbranch_execz .LBB90_14
; %bb.13:                               ;   in Loop: Header=BB90_5 Depth=1
	v_lshl_add_u64 v[4:5], v[56:57], 0, v[28:29]
	global_load_ushort v2, v[4:5], off
	v_lshl_add_u64 v[4:5], v[58:59], 0, v[28:29]
	global_load_ushort v4, v[4:5], off
	s_waitcnt vmcnt(1)
	v_cvt_f32_f16_e32 v19, v2
	s_waitcnt vmcnt(0)
	v_cvt_f32_f16_e32 v11, v4
.LBB90_14:                              ;   in Loop: Header=BB90_5 Depth=1
	s_or_b64 exec, exec, s[18:19]
	v_lshl_add_u64 v[4:5], v[64:65], 0, s[42:43]
	v_cmp_gt_i64_e32 vcc, s[8:9], v[4:5]
	s_and_b64 s[20:21], s[6:7], vcc
	s_and_saveexec_b64 s[18:19], s[20:21]
	s_cbranch_execz .LBB90_16
; %bb.15:                               ;   in Loop: Header=BB90_5 Depth=1
	v_lshl_add_u64 v[4:5], v[52:53], 0, v[28:29]
	global_load_ushort v2, v[4:5], off
	v_lshl_add_u64 v[4:5], v[54:55], 0, v[28:29]
	global_load_ushort v4, v[4:5], off
	s_waitcnt vmcnt(1)
	v_cvt_f32_f16_e32 v20, v2
	s_waitcnt vmcnt(0)
	v_cvt_f32_f16_e32 v12, v4
.LBB90_16:                              ;   in Loop: Header=BB90_5 Depth=1
	;; [unrolled: 16-line block ×7, first 2 shown]
	s_or_b64 exec, exec, s[18:19]
	s_waitcnt vmcnt(1)
	ds_bpermute_b32 v2, v67, v69
	ds_bpermute_b32 v4, v67, v69 offset:4
	s_waitcnt vmcnt(0)
	ds_bpermute_b32 v5, v67, v68
	ds_bpermute_b32 v6, v67, v68 offset:4
	ds_bpermute_b32 v8, v67, v68 offset:12
	s_waitcnt lgkmcnt(4)
	v_sub_f32_e32 v2, v10, v2
	v_mul_f32_e32 v2, v18, v2
	s_waitcnt lgkmcnt(3)
	v_sub_f32_e32 v4, v11, v4
	s_waitcnt lgkmcnt(2)
	v_mul_f32_e32 v5, v2, v5
	ds_bpermute_b32 v2, v67, v69 offset:8
	v_mul_f32_e32 v4, v19, v4
	s_waitcnt lgkmcnt(2)
	v_mul_f32_e32 v7, v4, v6
	ds_bpermute_b32 v4, v67, v68 offset:8
	ds_bpermute_b32 v6, v67, v69 offset:12
	s_waitcnt lgkmcnt(2)
	v_sub_f32_e32 v2, v12, v2
	v_mul_f32_e32 v2, v20, v2
	v_mov_b32_e32 v10, v21
	s_waitcnt lgkmcnt(1)
	v_mul_f32_e32 v9, v2, v4
	s_waitcnt lgkmcnt(0)
	v_sub_f32_e32 v2, v13, v6
	ds_bpermute_b32 v4, v67, v69 offset:16
	v_mul_f32_e32 v2, v21, v2
	v_mul_f32_e32 v11, v2, v8
	ds_bpermute_b32 v2, v67, v68 offset:16
	ds_bpermute_b32 v6, v67, v69 offset:20
	;; [unrolled: 1-line block ×3, first 2 shown]
	s_waitcnt lgkmcnt(3)
	v_sub_f32_e32 v4, v14, v4
	v_mul_f32_e32 v4, v22, v4
	s_waitcnt lgkmcnt(2)
	v_mul_f32_e32 v13, v4, v2
	s_waitcnt lgkmcnt(1)
	v_sub_f32_e32 v2, v15, v6
	v_mul_f32_e32 v2, v23, v2
	s_waitcnt lgkmcnt(0)
	v_mul_f32_e32 v15, v2, v8
	ds_bpermute_b32 v2, v67, v69 offset:24
	v_mov_b32_e32 v4, v18
	v_pk_add_f32 v[4:5], v[42:43], v[4:5]
	v_mov_b32_e32 v6, v19
	v_pk_add_f32 v[4:5], v[6:7], v[4:5]
	ds_bpermute_b32 v7, v67, v68 offset:24
	v_mov_b32_e32 v8, v20
	s_waitcnt lgkmcnt(1)
	v_sub_f32_e32 v2, v16, v2
	v_pk_add_f32 v[4:5], v[8:9], v[4:5]
	v_mul_f32_e32 v8, v24, v2
	ds_bpermute_b32 v2, v67, v68 offset:28
	ds_bpermute_b32 v6, v67, v69 offset:28
	v_pk_add_f32 v[4:5], v[10:11], v[4:5]
	v_mov_b32_e32 v12, v22
	v_pk_add_f32 v[4:5], v[12:13], v[4:5]
	v_mov_b32_e32 v14, v23
	v_pk_add_f32 v[4:5], v[14:15], v[4:5]
	s_waitcnt lgkmcnt(2)
	v_mul_f32_e32 v9, v8, v7
	v_mov_b32_e32 v8, v24
	v_pk_add_f32 v[4:5], v[8:9], v[4:5]
	s_branch .LBB90_4
.LBB90_27:                              ;   in Loop: Header=BB90_5 Depth=1
                                        ; implicit-def: $vgpr4_vgpr5
                                        ; implicit-def: $vgpr2
                                        ; implicit-def: $vgpr10_vgpr11_vgpr12_vgpr13_vgpr14_vgpr15_vgpr16_vgpr17
                                        ; implicit-def: $vgpr18_vgpr19_vgpr20_vgpr21_vgpr22_vgpr23_vgpr24_vgpr25
                                        ; implicit-def: $vgpr6
	s_cbranch_execz .LBB90_4
; %bb.28:                               ;   in Loop: Header=BB90_5 Depth=1
	s_load_dword s17, s[30:31], 0x0
	v_mov_b32_e32 v68, 0
	v_mov_b32_e32 v69, 0
	s_waitcnt lgkmcnt(0)
	s_cmp_lt_u32 s2, s17
	s_cselect_b32 s17, 12, 18
	s_add_u32 s18, s30, s17
	s_addc_u32 s19, s31, 0
	global_load_ushort v2, v3, s[18:19]
	s_waitcnt vmcnt(0)
	v_mad_u32_u24 v2, v66, v2, v1
	v_and_b32_e32 v2, 63, v2
	v_cmp_gt_u32_e32 vcc, 8, v2
	s_and_saveexec_b64 s[18:19], vcc
	s_cbranch_execz .LBB90_32
; %bb.29:                               ;   in Loop: Header=BB90_5 Depth=1
	v_lshl_add_u64 v[4:5], v[64:65], 0, v[2:3]
	v_lshl_add_u64 v[4:5], v[4:5], 0, s[38:39]
	v_cmp_gt_i64_e32 vcc, s[8:9], v[4:5]
	v_mov_b32_e32 v69, 0
	v_mov_b32_e32 v68, 0
	s_and_saveexec_b64 s[20:21], vcc
	s_cbranch_execz .LBB90_31
; %bb.30:                               ;   in Loop: Header=BB90_5 Depth=1
	v_lshlrev_b64 v[4:5], 2, v[4:5]
	v_lshl_add_u64 v[6:7], s[26:27], 0, v[4:5]
	v_lshl_add_u64 v[4:5], s[24:25], 0, v[4:5]
	global_load_dword v69, v[4:5], off
	global_load_dword v68, v[6:7], off
.LBB90_31:                              ;   in Loop: Header=BB90_5 Depth=1
	s_or_b64 exec, exec, s[20:21]
.LBB90_32:                              ;   in Loop: Header=BB90_5 Depth=1
	s_or_b64 exec, exec, s[18:19]
	s_mov_b32 s17, s16
	s_mov_b32 s18, s16
	;; [unrolled: 1-line block ×7, first 2 shown]
	v_mov_b64_e32 v[10:11], s[16:17]
	v_mov_b64_e32 v[16:17], s[22:23]
	;; [unrolled: 1-line block ×8, first 2 shown]
	s_and_saveexec_b64 s[18:19], s[6:7]
	s_cbranch_execnz .LBB90_40
; %bb.33:                               ;   in Loop: Header=BB90_5 Depth=1
	s_or_b64 exec, exec, s[18:19]
	s_and_saveexec_b64 s[18:19], s[6:7]
	s_cbranch_execnz .LBB90_41
.LBB90_34:                              ;   in Loop: Header=BB90_5 Depth=1
	s_or_b64 exec, exec, s[18:19]
	s_and_saveexec_b64 s[18:19], s[6:7]
	s_cbranch_execnz .LBB90_42
.LBB90_35:                              ;   in Loop: Header=BB90_5 Depth=1
	s_or_b64 exec, exec, s[18:19]
	s_and_saveexec_b64 s[18:19], s[6:7]
	s_cbranch_execnz .LBB90_43
.LBB90_36:                              ;   in Loop: Header=BB90_5 Depth=1
	s_or_b64 exec, exec, s[18:19]
	s_and_saveexec_b64 s[18:19], s[6:7]
	s_cbranch_execnz .LBB90_44
.LBB90_37:                              ;   in Loop: Header=BB90_5 Depth=1
	s_or_b64 exec, exec, s[18:19]
	s_and_saveexec_b64 s[18:19], s[6:7]
	s_cbranch_execnz .LBB90_45
.LBB90_38:                              ;   in Loop: Header=BB90_5 Depth=1
	s_or_b64 exec, exec, s[18:19]
	s_and_saveexec_b64 s[18:19], s[6:7]
	s_cbranch_execnz .LBB90_46
.LBB90_39:                              ;   in Loop: Header=BB90_5 Depth=1
	s_or_b64 exec, exec, s[18:19]
	s_and_saveexec_b64 s[18:19], s[6:7]
	s_cbranch_execz .LBB90_3
	s_branch .LBB90_47
.LBB90_40:                              ;   in Loop: Header=BB90_5 Depth=1
	v_lshl_add_u64 v[4:5], v[60:61], 0, v[28:29]
	global_load_ushort v2, v[4:5], off
	v_lshl_add_u64 v[4:5], v[62:63], 0, v[28:29]
	global_load_ushort v10, v[4:5], off
	v_mov_b32_e32 v8, v3
	v_mov_b32_e32 v9, v3
	;; [unrolled: 1-line block ×13, first 2 shown]
	s_waitcnt vmcnt(1)
	v_cvt_f32_f16_e32 v2, v2
	v_mov_b64_e32 v[24:25], v[8:9]
	s_waitcnt vmcnt(0)
	v_cvt_f32_f16_e32 v10, v10
	v_mov_b64_e32 v[22:23], v[6:7]
	v_mov_b64_e32 v[20:21], v[4:5]
	;; [unrolled: 1-line block ×3, first 2 shown]
	s_or_b64 exec, exec, s[18:19]
	s_and_saveexec_b64 s[18:19], s[6:7]
	s_cbranch_execz .LBB90_34
.LBB90_41:                              ;   in Loop: Header=BB90_5 Depth=1
	v_lshl_add_u64 v[4:5], v[56:57], 0, v[28:29]
	global_load_ushort v2, v[4:5], off
	v_lshl_add_u64 v[4:5], v[58:59], 0, v[28:29]
	global_load_ushort v4, v[4:5], off
	s_waitcnt vmcnt(1)
	v_cvt_f32_f16_e32 v19, v2
	s_waitcnt vmcnt(0)
	v_cvt_f32_f16_e32 v11, v4
	s_or_b64 exec, exec, s[18:19]
	s_and_saveexec_b64 s[18:19], s[6:7]
	s_cbranch_execz .LBB90_35
.LBB90_42:                              ;   in Loop: Header=BB90_5 Depth=1
	v_lshl_add_u64 v[4:5], v[52:53], 0, v[28:29]
	global_load_ushort v2, v[4:5], off
	v_lshl_add_u64 v[4:5], v[54:55], 0, v[28:29]
	global_load_ushort v4, v[4:5], off
	s_waitcnt vmcnt(1)
	v_cvt_f32_f16_e32 v20, v2
	s_waitcnt vmcnt(0)
	v_cvt_f32_f16_e32 v12, v4
	s_or_b64 exec, exec, s[18:19]
	s_and_saveexec_b64 s[18:19], s[6:7]
	s_cbranch_execz .LBB90_36
.LBB90_43:                              ;   in Loop: Header=BB90_5 Depth=1
	v_lshl_add_u64 v[4:5], v[48:49], 0, v[28:29]
	global_load_ushort v2, v[4:5], off
	v_lshl_add_u64 v[4:5], v[50:51], 0, v[28:29]
	global_load_ushort v4, v[4:5], off
	s_waitcnt vmcnt(1)
	v_cvt_f32_f16_e32 v21, v2
	s_waitcnt vmcnt(0)
	v_cvt_f32_f16_e32 v13, v4
	s_or_b64 exec, exec, s[18:19]
	s_and_saveexec_b64 s[18:19], s[6:7]
	s_cbranch_execz .LBB90_37
.LBB90_44:                              ;   in Loop: Header=BB90_5 Depth=1
	v_lshl_add_u64 v[4:5], v[44:45], 0, v[28:29]
	global_load_ushort v2, v[4:5], off
	v_lshl_add_u64 v[4:5], v[46:47], 0, v[28:29]
	global_load_ushort v4, v[4:5], off
	s_waitcnt vmcnt(1)
	v_cvt_f32_f16_e32 v22, v2
	s_waitcnt vmcnt(0)
	v_cvt_f32_f16_e32 v14, v4
	s_or_b64 exec, exec, s[18:19]
	s_and_saveexec_b64 s[18:19], s[6:7]
	s_cbranch_execz .LBB90_38
.LBB90_45:                              ;   in Loop: Header=BB90_5 Depth=1
	v_lshl_add_u64 v[4:5], v[38:39], 0, v[28:29]
	global_load_ushort v2, v[4:5], off
	v_lshl_add_u64 v[4:5], v[40:41], 0, v[28:29]
	global_load_ushort v4, v[4:5], off
	s_waitcnt vmcnt(1)
	v_cvt_f32_f16_e32 v23, v2
	s_waitcnt vmcnt(0)
	v_cvt_f32_f16_e32 v15, v4
	s_or_b64 exec, exec, s[18:19]
	s_and_saveexec_b64 s[18:19], s[6:7]
	s_cbranch_execz .LBB90_39
.LBB90_46:                              ;   in Loop: Header=BB90_5 Depth=1
	v_lshl_add_u64 v[4:5], v[34:35], 0, v[28:29]
	global_load_ushort v2, v[4:5], off
	v_lshl_add_u64 v[4:5], v[36:37], 0, v[28:29]
	global_load_ushort v4, v[4:5], off
	s_waitcnt vmcnt(1)
	v_cvt_f32_f16_e32 v24, v2
	s_waitcnt vmcnt(0)
	v_cvt_f32_f16_e32 v16, v4
	s_or_b64 exec, exec, s[18:19]
	s_and_saveexec_b64 s[18:19], s[6:7]
	s_cbranch_execz .LBB90_3
.LBB90_47:                              ;   in Loop: Header=BB90_5 Depth=1
	v_lshl_add_u64 v[4:5], v[30:31], 0, v[28:29]
	global_load_ushort v2, v[4:5], off
	v_lshl_add_u64 v[4:5], v[32:33], 0, v[28:29]
	global_load_ushort v4, v[4:5], off
	s_waitcnt vmcnt(1)
	v_cvt_f32_f16_e32 v25, v2
	s_waitcnt vmcnt(0)
	v_cvt_f32_f16_e32 v17, v4
	s_branch .LBB90_3
.LBB90_48:
                                        ; implicit-def: $vgpr43
	s_branch .LBB90_50
.LBB90_49:
	s_cbranch_execnz .LBB90_81
.LBB90_50:
	v_mov_b32_e32 v43, 0
	s_mov_b32 s16, 0
	s_and_b64 vcc, exec, s[4:5]
	v_mov_b32_e32 v42, v43
	s_cbranch_vccnz .LBB90_81
; %bb.51:
	v_and_b32_e32 v1, 0x3ff, v0
	v_add_u32_e32 v2, s33, v1
	v_mov_b32_e32 v3, 0
	v_bfe_u32 v96, v0, 10, 10
	v_lshlrev_b64 v[28:29], 1, v[2:3]
	v_lshlrev_b32_e32 v2, 4, v96
	v_lshl_add_u64 v[4:5], s[28:29], 1, v[2:3]
	v_lshl_add_u64 v[6:7], v[4:5], 0, 2
	v_mov_b64_e32 v[8:9], s[12:13]
	v_lshl_add_u64 v[10:11], v[4:5], 0, 4
	v_lshl_add_u64 v[12:13], v[4:5], 0, 6
	;; [unrolled: 1-line block ×6, first 2 shown]
	v_mad_u64_u32 v[30:31], s[4:5], s10, v6, v[8:9]
	v_mad_u64_u32 v[32:33], s[4:5], s10, v10, v[8:9]
	;; [unrolled: 1-line block ×7, first 2 shown]
	v_mov_b64_e32 v[8:9], s[14:15]
	v_lshlrev_b32_e32 v26, 3, v96
	v_mov_b32_e32 v27, v3
	v_mul_lo_u32 v2, s10, v7
	v_mul_lo_u32 v7, s11, v6
	v_mad_u64_u32 v[46:47], s[4:5], s10, v6, v[8:9]
	v_add3_u32 v31, v7, v31, v2
	v_mul_lo_u32 v5, s10, v5
	v_mul_lo_u32 v25, s11, v4
	v_add3_u32 v47, v7, v47, v2
	v_lshl_add_u64 v[6:7], v[26:27], 0, s[28:29]
	v_mad_u64_u32 v[58:59], s[4:5], s10, v4, v[8:9]
	v_add3_u32 v45, v25, v45, v5
	v_add3_u32 v59, v25, v59, v5
	v_lshl_add_u64 v[4:5], v[6:7], 0, 7
	v_mad_u64_u32 v[48:49], s[4:5], s10, v10, v[8:9]
	v_mad_u64_u32 v[50:51], s[4:5], s10, v12, v[8:9]
	;; [unrolled: 1-line block ×5, first 2 shown]
	v_mul_lo_u32 v8, s11, v4
	v_mul_lo_u32 v9, s10, v5
	v_mad_u64_u32 v[4:5], s[4:5], s10, v4, 0
	v_mul_lo_u32 v11, s10, v11
	v_mul_lo_u32 v20, s11, v10
	v_add3_u32 v5, v5, v9, v8
	v_lshl_add_u64 v[8:9], v[6:7], 0, 6
	v_add3_u32 v33, v20, v33, v11
	v_add3_u32 v49, v20, v49, v11
	v_mul_lo_u32 v10, s11, v8
	v_mul_lo_u32 v11, s10, v9
	v_mad_u64_u32 v[8:9], s[4:5], s10, v8, 0
	v_mul_lo_u32 v13, s10, v13
	v_mul_lo_u32 v21, s11, v12
	v_add3_u32 v9, v9, v11, v10
	v_lshl_add_u64 v[10:11], v[6:7], 0, 5
	v_add3_u32 v35, v21, v35, v13
	v_add3_u32 v51, v21, v51, v13
	;; [unrolled: 9-line block ×4, first 2 shown]
	v_mul_lo_u32 v16, s11, v14
	v_mul_lo_u32 v17, s10, v15
	v_mad_u64_u32 v[14:15], s[4:5], s10, v14, 0
	v_mul_lo_u32 v19, s10, v19
	v_mul_lo_u32 v24, s11, v18
	v_add3_u32 v15, v15, v17, v16
	v_lshl_add_u64 v[16:17], v[6:7], 0, 2
	s_load_dword s3, s[0:1], 0x44
	v_lshlrev_b64 v[4:5], 1, v[4:5]
	v_add3_u32 v41, v24, v41, v19
	v_add3_u32 v57, v24, v57, v19
	v_mul_lo_u32 v18, s11, v16
	v_mul_lo_u32 v19, s10, v17
	v_mad_u64_u32 v[16:17], s[4:5], s10, v16, 0
	v_lshl_add_u64 v[64:65], s[12:13], 0, v[4:5]
	v_lshl_add_u64 v[66:67], s[14:15], 0, v[4:5]
	v_lshlrev_b64 v[4:5], 1, v[8:9]
	v_add3_u32 v17, v17, v19, v18
	v_mov_b64_e32 v[18:19], s[10:11]
	v_lshl_add_u64 v[68:69], s[12:13], 0, v[4:5]
	v_lshl_add_u64 v[70:71], s[14:15], 0, v[4:5]
	v_lshlrev_b64 v[4:5], 1, v[10:11]
	v_mul_lo_u32 v2, s11, v6
	v_mad_u64_u32 v[18:19], s[4:5], s10, v6, v[18:19]
	v_mul_lo_u32 v20, s10, v7
	v_mad_u64_u32 v[6:7], s[4:5], s10, v6, 0
	v_lshl_add_u64 v[72:73], s[12:13], 0, v[4:5]
	v_lshl_add_u64 v[74:75], s[14:15], 0, v[4:5]
	v_lshlrev_b64 v[4:5], 1, v[12:13]
	s_add_u32 s4, s0, 64
	v_lshl_add_u64 v[76:77], s[12:13], 0, v[4:5]
	v_lshl_add_u64 v[78:79], s[14:15], 0, v[4:5]
	v_lshlrev_b64 v[4:5], 1, v[14:15]
	v_add3_u32 v7, v7, v20, v2
	v_add3_u32 v19, v2, v19, v20
	s_addc_u32 s5, s1, 0
	s_waitcnt lgkmcnt(0)
	s_lshl_b32 s3, s3, 7
	v_lshl_add_u64 v[80:81], s[12:13], 0, v[4:5]
	v_lshl_add_u64 v[82:83], s[14:15], 0, v[4:5]
	v_lshlrev_b64 v[4:5], 1, v[16:17]
	v_mbcnt_lo_u32_b32 v2, -1, 0
	s_add_u32 s6, s28, 0x7f
	s_mul_i32 s17, s11, s3
	s_mul_hi_u32 s18, s10, s3
	v_lshlrev_b64 v[6:7], 1, v[6:7]
	v_lshl_add_u64 v[84:85], s[12:13], 0, v[4:5]
	v_lshl_add_u64 v[86:87], s[14:15], 0, v[4:5]
	v_lshlrev_b64 v[4:5], 1, v[18:19]
	v_mbcnt_hi_u32_b32 v2, -1, v2
	s_addc_u32 s7, 0, 0
	s_add_i32 s19, s18, s17
	s_mul_i32 s18, s10, s3
	v_lshl_add_u64 v[60:61], s[12:13], 0, v[6:7]
	v_lshl_add_u64 v[62:63], s[14:15], 0, v[6:7]
	;; [unrolled: 1-line block ×4, first 2 shown]
	s_movk_i32 s12, 0xff81
	s_movk_i32 s14, 0xff82
	;; [unrolled: 1-line block ×8, first 2 shown]
	v_lshlrev_b32_e32 v2, 2, v2
	s_lshl_b64 s[30:31], s[18:19], 1
	s_mov_b32 s13, -1
	s_mov_b32 s15, -1
	;; [unrolled: 1-line block ×8, first 2 shown]
	v_and_b32_e32 v97, 0x100, v2
	v_mov_b32_e32 v42, v3
	v_mov_b32_e32 v43, v3
	s_branch .LBB90_55
.LBB90_52:                              ;   in Loop: Header=BB90_55 Depth=1
	s_or_b64 exec, exec, s[20:21]
.LBB90_53:                              ;   in Loop: Header=BB90_55 Depth=1
	s_or_b64 exec, exec, s[18:19]
	v_lshl_add_u64 v[4:5], v[60:61], 0, v[28:29]
	global_load_ushort v2, v[4:5], off
	v_lshl_add_u64 v[4:5], v[62:63], 0, v[28:29]
	global_load_ushort v8, v[4:5], off
	;; [unrolled: 2-line block ×16, first 2 shown]
	s_waitcnt vmcnt(17)
	ds_bpermute_b32 v23, v97, v7
	ds_bpermute_b32 v25, v97, v7 offset:4
	ds_bpermute_b32 v43, v97, v7 offset:8
	;; [unrolled: 1-line block ×7, first 2 shown]
	s_waitcnt vmcnt(16)
	ds_bpermute_b32 v22, v97, v6
	ds_bpermute_b32 v24, v97, v6 offset:4
	ds_bpermute_b32 v42, v97, v6 offset:8
	;; [unrolled: 1-line block ×7, first 2 shown]
	s_waitcnt vmcnt(15)
	v_cvt_f32_f16_e32 v4, v2
	s_waitcnt vmcnt(14)
	v_cvt_f32_f16_e32 v2, v8
	;; [unrolled: 2-line block ×4, first 2 shown]
	s_waitcnt lgkmcnt(14)
	v_sub_f32_e32 v2, v2, v23
	s_waitcnt vmcnt(11)
	v_cvt_f32_f16_e32 v8, v11
	v_mul_f32_e32 v2, v2, v4
	s_waitcnt vmcnt(10)
	v_cvt_f32_f16_e32 v11, v12
	v_sub_f32_e32 v9, v9, v25
	s_waitcnt vmcnt(9)
	v_cvt_f32_f16_e32 v10, v13
	s_waitcnt vmcnt(8)
	v_cvt_f32_f16_e32 v13, v14
	s_waitcnt lgkmcnt(13)
	v_sub_f32_e32 v11, v11, v43
	s_waitcnt vmcnt(7)
	v_cvt_f32_f16_e32 v12, v15
	s_waitcnt vmcnt(6)
	v_cvt_f32_f16_e32 v15, v16
	s_waitcnt lgkmcnt(12)
	;; [unrolled: 6-line block ×5, first 2 shown]
	v_sub_f32_e32 v19, v19, v103
	s_waitcnt lgkmcnt(8)
	v_sub_f32_e32 v5, v5, v7
	v_mul_f32_e32 v7, v9, v6
	v_mul_f32_e32 v9, v11, v8
	;; [unrolled: 1-line block ×7, first 2 shown]
	s_waitcnt lgkmcnt(7)
	v_mul_f32_e32 v5, v2, v22
	s_waitcnt lgkmcnt(6)
	v_mul_f32_e32 v7, v7, v24
	v_pk_add_f32 v[4:5], v[92:93], v[4:5]
	s_waitcnt lgkmcnt(5)
	v_mul_f32_e32 v9, v9, v42
	v_pk_add_f32 v[4:5], v[4:5], v[6:7]
	;; [unrolled: 3-line block ×7, first 2 shown]
	s_nop 0
	v_pk_add_f32 v[42:43], v[4:5], v[18:19]
.LBB90_54:                              ;   in Loop: Header=BB90_55 Depth=1
	s_add_u32 s28, s28, s3
	s_addc_u32 s29, s29, 0
	v_mov_b64_e32 v[4:5], s[8:9]
	s_add_u32 s6, s6, s3
	v_cmp_ge_i64_e32 vcc, s[28:29], v[4:5]
	s_addc_u32 s7, s7, 0
	v_lshl_add_u64 v[30:31], v[30:31], 0, s[30:31]
	v_lshl_add_u64 v[32:33], v[32:33], 0, s[30:31]
	v_lshl_add_u64 v[34:35], v[34:35], 0, s[30:31]
	v_lshl_add_u64 v[36:37], v[36:37], 0, s[30:31]
	v_lshl_add_u64 v[38:39], v[38:39], 0, s[30:31]
	v_lshl_add_u64 v[40:41], v[40:41], 0, s[30:31]
	v_lshl_add_u64 v[44:45], v[44:45], 0, s[30:31]
	v_lshl_add_u64 v[60:61], v[60:61], 0, s[30:31]
	v_lshl_add_u64 v[46:47], v[46:47], 0, s[30:31]
	v_lshl_add_u64 v[48:49], v[48:49], 0, s[30:31]
	v_lshl_add_u64 v[50:51], v[50:51], 0, s[30:31]
	v_lshl_add_u64 v[52:53], v[52:53], 0, s[30:31]
	v_lshl_add_u64 v[54:55], v[54:55], 0, s[30:31]
	v_lshl_add_u64 v[56:57], v[56:57], 0, s[30:31]
	v_lshl_add_u64 v[58:59], v[58:59], 0, s[30:31]
	v_lshl_add_u64 v[62:63], v[62:63], 0, s[30:31]
	v_lshl_add_u64 v[64:65], v[64:65], 0, s[30:31]
	v_lshl_add_u64 v[66:67], v[66:67], 0, s[30:31]
	v_lshl_add_u64 v[68:69], v[68:69], 0, s[30:31]
	v_lshl_add_u64 v[70:71], v[70:71], 0, s[30:31]
	v_lshl_add_u64 v[72:73], v[72:73], 0, s[30:31]
	v_lshl_add_u64 v[74:75], v[74:75], 0, s[30:31]
	v_lshl_add_u64 v[76:77], v[76:77], 0, s[30:31]
	v_lshl_add_u64 v[78:79], v[78:79], 0, s[30:31]
	v_lshl_add_u64 v[80:81], v[80:81], 0, s[30:31]
	v_lshl_add_u64 v[82:83], v[82:83], 0, s[30:31]
	v_lshl_add_u64 v[84:85], v[84:85], 0, s[30:31]
	v_lshl_add_u64 v[86:87], v[86:87], 0, s[30:31]
	v_lshl_add_u64 v[88:89], v[88:89], 0, s[30:31]
	v_lshl_add_u64 v[90:91], v[90:91], 0, s[30:31]
	s_cbranch_vccnz .LBB90_81
.LBB90_55:                              ; =>This Inner Loop Header: Depth=1
	v_mov_b64_e32 v[4:5], s[8:9]
	v_cmp_ge_i64_e32 vcc, s[6:7], v[4:5]
	v_mov_b32_e32 v92, v42
	v_mov_b32_e32 v93, v43
	v_lshl_add_u64 v[94:95], v[26:27], 0, s[6:7]
	s_cbranch_vccz .LBB90_77
; %bb.56:                               ;   in Loop: Header=BB90_55 Depth=1
	s_load_dword s17, s[4:5], 0xc
	v_mov_b32_e32 v42, 0
	v_mov_b32_e32 v43, 0
	s_waitcnt lgkmcnt(0)
	s_and_b32 s17, s17, 0xffff
	v_mad_u32_u24 v2, v96, s17, v1
	v_and_b32_e32 v2, 63, v2
	v_cmp_gt_u32_e32 vcc, 8, v2
	s_and_saveexec_b64 s[18:19], vcc
	s_cbranch_execz .LBB90_60
; %bb.57:                               ;   in Loop: Header=BB90_55 Depth=1
	v_lshl_add_u64 v[4:5], v[94:95], 0, v[2:3]
	v_lshl_add_u64 v[4:5], v[4:5], 0, s[12:13]
	v_cmp_gt_i64_e32 vcc, s[8:9], v[4:5]
	v_mov_b32_e32 v43, 0
	v_mov_b32_e32 v42, 0
	s_and_saveexec_b64 s[20:21], vcc
	s_cbranch_execz .LBB90_59
; %bb.58:                               ;   in Loop: Header=BB90_55 Depth=1
	v_lshlrev_b64 v[4:5], 2, v[4:5]
	v_lshl_add_u64 v[6:7], s[26:27], 0, v[4:5]
	v_lshl_add_u64 v[4:5], s[24:25], 0, v[4:5]
	global_load_dword v43, v[4:5], off
	global_load_dword v42, v[6:7], off
.LBB90_59:                              ;   in Loop: Header=BB90_55 Depth=1
	s_or_b64 exec, exec, s[20:21]
.LBB90_60:                              ;   in Loop: Header=BB90_55 Depth=1
	s_or_b64 exec, exec, s[18:19]
	s_mov_b32 s17, s16
	s_mov_b32 s18, s16
	s_mov_b32 s19, s16
	s_mov_b32 s20, s16
	s_mov_b32 s21, s16
	s_mov_b32 s22, s16
	s_mov_b32 s23, s16
	v_mov_b64_e32 v[10:11], s[16:17]
	v_mov_b64_e32 v[16:17], s[22:23]
	v_lshl_add_u64 v[4:5], v[94:95], 0, s[12:13]
	v_mov_b64_e32 v[12:13], s[18:19]
	v_mov_b64_e32 v[14:15], s[20:21]
	;; [unrolled: 1-line block ×3, first 2 shown]
	v_cmp_gt_i64_e32 vcc, s[8:9], v[4:5]
	v_mov_b64_e32 v[22:23], v[14:15]
	v_mov_b64_e32 v[20:21], v[12:13]
	;; [unrolled: 1-line block ×3, first 2 shown]
	s_and_saveexec_b64 s[18:19], vcc
	s_cbranch_execz .LBB90_62
; %bb.61:                               ;   in Loop: Header=BB90_55 Depth=1
	v_lshl_add_u64 v[4:5], v[60:61], 0, v[28:29]
	global_load_ushort v2, v[4:5], off
	v_lshl_add_u64 v[4:5], v[62:63], 0, v[28:29]
	global_load_ushort v10, v[4:5], off
	v_mov_b32_e32 v8, v3
	v_mov_b32_e32 v9, v3
	;; [unrolled: 1-line block ×13, first 2 shown]
	s_waitcnt vmcnt(1)
	v_cvt_f32_f16_e32 v2, v2
	v_mov_b64_e32 v[24:25], v[8:9]
	s_waitcnt vmcnt(0)
	v_cvt_f32_f16_e32 v10, v10
	v_mov_b64_e32 v[22:23], v[6:7]
	v_mov_b64_e32 v[20:21], v[4:5]
	;; [unrolled: 1-line block ×3, first 2 shown]
.LBB90_62:                              ;   in Loop: Header=BB90_55 Depth=1
	s_or_b64 exec, exec, s[18:19]
	v_lshl_add_u64 v[4:5], v[94:95], 0, s[14:15]
	v_cmp_gt_i64_e32 vcc, s[8:9], v[4:5]
	s_and_saveexec_b64 s[18:19], vcc
	s_cbranch_execz .LBB90_64
; %bb.63:                               ;   in Loop: Header=BB90_55 Depth=1
	v_lshl_add_u64 v[4:5], v[88:89], 0, v[28:29]
	global_load_ushort v2, v[4:5], off
	v_lshl_add_u64 v[4:5], v[90:91], 0, v[28:29]
	global_load_ushort v4, v[4:5], off
	s_waitcnt vmcnt(1)
	v_cvt_f32_f16_e32 v19, v2
	s_waitcnt vmcnt(0)
	v_cvt_f32_f16_e32 v11, v4
.LBB90_64:                              ;   in Loop: Header=BB90_55 Depth=1
	s_or_b64 exec, exec, s[18:19]
	v_lshl_add_u64 v[4:5], v[94:95], 0, s[34:35]
	v_cmp_gt_i64_e32 vcc, s[8:9], v[4:5]
	s_and_saveexec_b64 s[18:19], vcc
	s_cbranch_execz .LBB90_66
; %bb.65:                               ;   in Loop: Header=BB90_55 Depth=1
	v_lshl_add_u64 v[4:5], v[84:85], 0, v[28:29]
	global_load_ushort v2, v[4:5], off
	v_lshl_add_u64 v[4:5], v[86:87], 0, v[28:29]
	global_load_ushort v4, v[4:5], off
	s_waitcnt vmcnt(1)
	v_cvt_f32_f16_e32 v20, v2
	s_waitcnt vmcnt(0)
	v_cvt_f32_f16_e32 v12, v4
.LBB90_66:                              ;   in Loop: Header=BB90_55 Depth=1
	;; [unrolled: 15-line block ×7, first 2 shown]
	s_or_b64 exec, exec, s[18:19]
	s_waitcnt vmcnt(1)
	ds_bpermute_b32 v2, v97, v43
	s_waitcnt vmcnt(0)
	ds_bpermute_b32 v4, v97, v42
	ds_bpermute_b32 v7, v97, v43 offset:4
	ds_bpermute_b32 v6, v97, v42 offset:4
	;; [unrolled: 1-line block ×3, first 2 shown]
	s_waitcnt lgkmcnt(4)
	v_sub_f32_e32 v2, v10, v2
	v_mul_f32_e32 v2, v18, v2
	s_waitcnt lgkmcnt(3)
	v_mul_f32_e32 v5, v2, v4
	ds_bpermute_b32 v4, v97, v42 offset:8
	s_waitcnt lgkmcnt(3)
	v_sub_f32_e32 v2, v11, v7
	v_mul_f32_e32 v2, v19, v2
	s_waitcnt lgkmcnt(2)
	v_mul_f32_e32 v7, v2, v6
	s_waitcnt lgkmcnt(1)
	v_sub_f32_e32 v2, v12, v8
	ds_bpermute_b32 v6, v97, v43 offset:12
	v_mul_f32_e32 v2, v20, v2
	s_waitcnt lgkmcnt(1)
	v_mul_f32_e32 v9, v2, v4
	ds_bpermute_b32 v2, v97, v42 offset:12
	ds_bpermute_b32 v4, v97, v43 offset:16
	;; [unrolled: 1-line block ×3, first 2 shown]
	s_waitcnt lgkmcnt(3)
	v_sub_f32_e32 v6, v13, v6
	v_mul_f32_e32 v6, v21, v6
	s_waitcnt lgkmcnt(2)
	v_mul_f32_e32 v11, v6, v2
	s_waitcnt lgkmcnt(1)
	v_sub_f32_e32 v2, v14, v4
	ds_bpermute_b32 v4, v97, v43 offset:20
	v_mul_f32_e32 v2, v22, v2
	s_waitcnt lgkmcnt(1)
	v_mul_f32_e32 v13, v2, v8
	ds_bpermute_b32 v2, v97, v42 offset:20
	ds_bpermute_b32 v6, v97, v43 offset:24
	;; [unrolled: 1-line block ×3, first 2 shown]
	s_waitcnt lgkmcnt(3)
	v_sub_f32_e32 v4, v15, v4
	v_mul_f32_e32 v4, v23, v4
	s_waitcnt lgkmcnt(2)
	v_mul_f32_e32 v15, v4, v2
	s_waitcnt lgkmcnt(1)
	v_sub_f32_e32 v2, v16, v6
	v_mul_f32_e32 v2, v24, v2
	s_waitcnt lgkmcnt(0)
	v_mul_f32_e32 v99, v2, v8
	v_mov_b32_e32 v4, v18
	ds_bpermute_b32 v2, v97, v43 offset:28
	v_pk_add_f32 v[4:5], v[92:93], v[4:5]
	v_mov_b32_e32 v6, v19
	v_pk_add_f32 v[4:5], v[6:7], v[4:5]
	v_mov_b32_e32 v8, v20
	ds_bpermute_b32 v6, v97, v42 offset:28
	v_pk_add_f32 v[4:5], v[8:9], v[4:5]
	v_mov_b32_e32 v10, v21
	v_pk_add_f32 v[4:5], v[10:11], v[4:5]
	v_mov_b32_e32 v12, v22
	;; [unrolled: 2-line block ×3, first 2 shown]
	s_waitcnt lgkmcnt(1)
	v_sub_f32_e32 v2, v17, v2
	v_pk_add_f32 v[4:5], v[14:15], v[4:5]
	v_mov_b32_e32 v98, v24
	v_mul_f32_e32 v2, v25, v2
	v_pk_add_f32 v[4:5], v[98:99], v[4:5]
	s_waitcnt lgkmcnt(0)
	v_mul_f32_e32 v7, v2, v6
	v_mov_b32_e32 v6, v25
	v_pk_add_f32 v[42:43], v[6:7], v[4:5]
	s_branch .LBB90_54
.LBB90_77:                              ;   in Loop: Header=BB90_55 Depth=1
                                        ; implicit-def: $vgpr43
	s_cbranch_execz .LBB90_54
; %bb.78:                               ;   in Loop: Header=BB90_55 Depth=1
	s_load_dword s17, s[4:5], 0x0
	v_mov_b32_e32 v6, 0
	v_mov_b32_e32 v7, 0
	s_waitcnt lgkmcnt(0)
	s_cmp_lt_u32 s2, s17
	s_cselect_b32 s17, 12, 18
	s_add_u32 s18, s4, s17
	s_addc_u32 s19, s5, 0
	global_load_ushort v2, v3, s[18:19]
	s_waitcnt vmcnt(0)
	v_mad_u32_u24 v2, v96, v2, v1
	v_and_b32_e32 v2, 63, v2
	v_cmp_gt_u32_e32 vcc, 8, v2
	s_and_saveexec_b64 s[18:19], vcc
	s_cbranch_execz .LBB90_53
; %bb.79:                               ;   in Loop: Header=BB90_55 Depth=1
	v_lshl_add_u64 v[4:5], v[94:95], 0, v[2:3]
	v_lshl_add_u64 v[4:5], v[4:5], 0, s[12:13]
	v_cmp_gt_i64_e32 vcc, s[8:9], v[4:5]
	v_mov_b32_e32 v7, 0
	v_mov_b32_e32 v6, 0
	s_and_saveexec_b64 s[20:21], vcc
	s_cbranch_execz .LBB90_52
; %bb.80:                               ;   in Loop: Header=BB90_55 Depth=1
	v_lshlrev_b64 v[4:5], 2, v[4:5]
	v_lshl_add_u64 v[8:9], s[26:27], 0, v[4:5]
	v_lshl_add_u64 v[4:5], s[24:25], 0, v[4:5]
	global_load_dword v7, v[4:5], off
	global_load_dword v6, v[8:9], off
	s_branch .LBB90_52
.LBB90_81:
	v_and_b32_e32 v2, 0x3ff, v0
	v_bfe_u32 v0, v0, 10, 10
	v_mad_u32_u24 v1, v0, 33, v2
	v_lshl_add_u32 v3, v1, 2, 0
	v_sub_u32_e32 v1, v1, v0
	s_movk_i32 s4, 0x800
	s_mov_b32 s3, 0
	v_cmp_gt_u32_e32 vcc, s4, v1
	ds_write_b32 v3, v43
	ds_write_b32 v3, v42 offset:2112
	s_waitcnt lgkmcnt(0)
	s_barrier
	s_and_saveexec_b64 s[4:5], vcc
	s_cbranch_execz .LBB90_91
; %bb.82:
	v_mbcnt_lo_u32_b32 v3, -1, 0
	v_mbcnt_hi_u32_b32 v3, -1, v3
	v_and_b32_e32 v4, 64, v3
	v_add_u32_e32 v4, 64, v4
	v_cmp_eq_u32_e64 s[4:5], 0, v2
	v_xor_b32_e32 v2, 8, v3
	v_cmp_lt_i32_e32 vcc, v2, v4
	s_load_dwordx4 s[16:19], s[0:1], 0x30
	s_lshl_b64 s[8:9], s[2:3], 5
	v_cndmask_b32_e32 v2, v3, v2, vcc
	v_lshlrev_b32_e32 v8, 2, v2
	v_xor_b32_e32 v2, 4, v3
	v_cmp_lt_i32_e32 vcc, v2, v4
	v_lshrrev_b32_e32 v0, 6, v1
	v_and_b32_e32 v6, 63, v1
	v_cndmask_b32_e32 v2, v3, v2, vcc
	v_lshlrev_b32_e32 v9, 2, v2
	v_xor_b32_e32 v2, 2, v3
	v_cmp_lt_i32_e32 vcc, v2, v4
	s_waitcnt lgkmcnt(0)
	s_cmp_lg_u64 s[16:17], 0
	v_cmp_gt_u32_e64 s[0:1], 16, v6
	v_cndmask_b32_e32 v2, v3, v2, vcc
	v_lshlrev_b32_e32 v10, 2, v2
	v_xor_b32_e32 v2, 1, v3
	v_cmp_lt_i32_e32 vcc, v2, v4
	v_mov_b32_e32 v1, 0
	s_cselect_b64 s[6:7], -1, 0
	s_cmp_lg_u64 s[18:19], 0
	v_cndmask_b32_e32 v2, v3, v2, vcc
	v_mad_u32_u24 v6, v6, 33, v0
	s_cselect_b64 s[14:15], -1, 0
	v_lshlrev_b32_e32 v11, 2, v2
	s_lshl_b64 s[2:3], s[2:3], 6
	v_lshlrev_b32_e32 v2, 1, v0
	v_mov_b32_e32 v3, v1
	v_lshl_add_u32 v12, v6, 2, 0
	v_cndmask_b32_e64 v6, 0, 1, s[6:7]
	v_lshl_add_u64 v[4:5], s[2:3], 0, v[2:3]
	v_cmp_ne_u32_e64 s[2:3], 1, v6
	v_cndmask_b32_e64 v6, 0, 1, s[14:15]
	s_mov_b64 s[12:13], 0
	v_lshl_add_u64 v[2:3], s[18:19], 0, v[4:5]
	v_lshl_add_u64 v[4:5], s[16:17], 0, v[4:5]
	v_cmp_ne_u32_e64 s[6:7], 1, v6
                                        ; implicit-def: $vgpr6
	s_branch .LBB90_84
.LBB90_83:                              ;   in Loop: Header=BB90_84 Depth=1
	s_or_b64 exec, exec, s[14:15]
	v_lshl_add_u64 v[0:1], v[0:1], 0, 8
	v_add_u32_e32 v13, -8, v0
	v_cmp_lt_u32_e32 vcc, 23, v13
	v_lshl_add_u64 v[2:3], v[2:3], 0, 16
	v_lshl_add_u64 v[4:5], v[4:5], 0, 16
	s_or_b64 s[12:13], vcc, s[12:13]
	v_add_u32_e32 v12, 32, v12
	s_andn2_b64 exec, exec, s[12:13]
	s_cbranch_execz .LBB90_91
.LBB90_84:                              ; =>This Inner Loop Header: Depth=1
	s_and_saveexec_b64 s[14:15], s[0:1]
	s_cbranch_execz .LBB90_86
; %bb.85:                               ;   in Loop: Header=BB90_84 Depth=1
	ds_read_b32 v7, v12
	ds_read_b32 v6, v12 offset:2112
.LBB90_86:                              ;   in Loop: Header=BB90_84 Depth=1
	s_or_b64 exec, exec, s[14:15]
	s_waitcnt lgkmcnt(1)
	ds_bpermute_b32 v15, v8, v7
	s_waitcnt lgkmcnt(1)
	ds_bpermute_b32 v14, v8, v6
	v_lshl_add_u64 v[16:17], s[8:9], 0, v[0:1]
	v_cmp_gt_i64_e32 vcc, s[10:11], v[16:17]
	s_and_b64 s[16:17], s[4:5], vcc
	s_waitcnt lgkmcnt(0)
	v_pk_add_f32 v[6:7], v[6:7], v[14:15]
	ds_bpermute_b32 v15, v9, v7
	ds_bpermute_b32 v14, v9, v6
	s_waitcnt lgkmcnt(0)
	v_pk_add_f32 v[6:7], v[6:7], v[14:15]
	ds_bpermute_b32 v15, v10, v7
	ds_bpermute_b32 v14, v10, v6
	;; [unrolled: 4-line block ×3, first 2 shown]
	s_waitcnt lgkmcnt(0)
	v_pk_add_f32 v[6:7], v[6:7], v[14:15]
	s_and_saveexec_b64 s[14:15], s[16:17]
	s_cbranch_execz .LBB90_83
; %bb.87:                               ;   in Loop: Header=BB90_84 Depth=1
	s_and_b64 vcc, exec, s[2:3]
	s_cbranch_vccnz .LBB90_89
; %bb.88:                               ;   in Loop: Header=BB90_84 Depth=1
	v_cvt_f16_f32_e32 v13, v7
	global_store_short v[4:5], v13, off
.LBB90_89:                              ;   in Loop: Header=BB90_84 Depth=1
	s_and_b64 vcc, exec, s[6:7]
	s_cbranch_vccnz .LBB90_83
; %bb.90:                               ;   in Loop: Header=BB90_84 Depth=1
	v_cvt_f16_f32_e32 v13, v6
	global_store_short v[2:3], v13, off
	s_branch .LBB90_83
.LBB90_91:
	s_endpgm
	.section	.rodata,"a",@progbits
	.p2align	6, 0x0
	.amdhsa_kernel _ZN2at6native12_GLOBAL__N_135GammaBetaBackwardCUDAKernelTemplateIN3c104HalfEfLj32ELj16ELj128ELb0ELb0ELb0EEEvllPKT_S7_PKT0_SA_PS5_SB_
		.amdhsa_group_segment_fixed_size 0
		.amdhsa_private_segment_fixed_size 0
		.amdhsa_kernarg_size 320
		.amdhsa_user_sgpr_count 2
		.amdhsa_user_sgpr_dispatch_ptr 0
		.amdhsa_user_sgpr_queue_ptr 0
		.amdhsa_user_sgpr_kernarg_segment_ptr 1
		.amdhsa_user_sgpr_dispatch_id 0
		.amdhsa_user_sgpr_kernarg_preload_length 0
		.amdhsa_user_sgpr_kernarg_preload_offset 0
		.amdhsa_user_sgpr_private_segment_size 0
		.amdhsa_uses_dynamic_stack 0
		.amdhsa_enable_private_segment 0
		.amdhsa_system_sgpr_workgroup_id_x 1
		.amdhsa_system_sgpr_workgroup_id_y 1
		.amdhsa_system_sgpr_workgroup_id_z 0
		.amdhsa_system_sgpr_workgroup_info 0
		.amdhsa_system_vgpr_workitem_id 1
		.amdhsa_next_free_vgpr 105
		.amdhsa_next_free_sgpr 58
		.amdhsa_accum_offset 108
		.amdhsa_reserve_vcc 1
		.amdhsa_float_round_mode_32 0
		.amdhsa_float_round_mode_16_64 0
		.amdhsa_float_denorm_mode_32 3
		.amdhsa_float_denorm_mode_16_64 3
		.amdhsa_dx10_clamp 1
		.amdhsa_ieee_mode 1
		.amdhsa_fp16_overflow 0
		.amdhsa_tg_split 0
		.amdhsa_exception_fp_ieee_invalid_op 0
		.amdhsa_exception_fp_denorm_src 0
		.amdhsa_exception_fp_ieee_div_zero 0
		.amdhsa_exception_fp_ieee_overflow 0
		.amdhsa_exception_fp_ieee_underflow 0
		.amdhsa_exception_fp_ieee_inexact 0
		.amdhsa_exception_int_div_zero 0
	.end_amdhsa_kernel
	.section	.text._ZN2at6native12_GLOBAL__N_135GammaBetaBackwardCUDAKernelTemplateIN3c104HalfEfLj32ELj16ELj128ELb0ELb0ELb0EEEvllPKT_S7_PKT0_SA_PS5_SB_,"axG",@progbits,_ZN2at6native12_GLOBAL__N_135GammaBetaBackwardCUDAKernelTemplateIN3c104HalfEfLj32ELj16ELj128ELb0ELb0ELb0EEEvllPKT_S7_PKT0_SA_PS5_SB_,comdat
.Lfunc_end90:
	.size	_ZN2at6native12_GLOBAL__N_135GammaBetaBackwardCUDAKernelTemplateIN3c104HalfEfLj32ELj16ELj128ELb0ELb0ELb0EEEvllPKT_S7_PKT0_SA_PS5_SB_, .Lfunc_end90-_ZN2at6native12_GLOBAL__N_135GammaBetaBackwardCUDAKernelTemplateIN3c104HalfEfLj32ELj16ELj128ELb0ELb0ELb0EEEvllPKT_S7_PKT0_SA_PS5_SB_
                                        ; -- End function
	.section	.AMDGPU.csdata,"",@progbits
; Kernel info:
; codeLenInByte = 7624
; NumSgprs: 64
; NumVgprs: 105
; NumAgprs: 0
; TotalNumVgprs: 105
; ScratchSize: 0
; MemoryBound: 0
; FloatMode: 240
; IeeeMode: 1
; LDSByteSize: 0 bytes/workgroup (compile time only)
; SGPRBlocks: 7
; VGPRBlocks: 13
; NumSGPRsForWavesPerEU: 64
; NumVGPRsForWavesPerEU: 105
; AccumOffset: 108
; Occupancy: 4
; WaveLimiterHint : 0
; COMPUTE_PGM_RSRC2:SCRATCH_EN: 0
; COMPUTE_PGM_RSRC2:USER_SGPR: 2
; COMPUTE_PGM_RSRC2:TRAP_HANDLER: 0
; COMPUTE_PGM_RSRC2:TGID_X_EN: 1
; COMPUTE_PGM_RSRC2:TGID_Y_EN: 1
; COMPUTE_PGM_RSRC2:TGID_Z_EN: 0
; COMPUTE_PGM_RSRC2:TIDIG_COMP_CNT: 1
; COMPUTE_PGM_RSRC3_GFX90A:ACCUM_OFFSET: 26
; COMPUTE_PGM_RSRC3_GFX90A:TG_SPLIT: 0
	.section	.text._ZN2at6native12_GLOBAL__N_135GammaBetaBackwardCUDAKernelTemplateIN3c104HalfEfLj32ELj32ELj256ELb0ELb1ELb0EEEvllPKT_S7_PKT0_SA_PS5_SB_,"axG",@progbits,_ZN2at6native12_GLOBAL__N_135GammaBetaBackwardCUDAKernelTemplateIN3c104HalfEfLj32ELj32ELj256ELb0ELb1ELb0EEEvllPKT_S7_PKT0_SA_PS5_SB_,comdat
	.globl	_ZN2at6native12_GLOBAL__N_135GammaBetaBackwardCUDAKernelTemplateIN3c104HalfEfLj32ELj32ELj256ELb0ELb1ELb0EEEvllPKT_S7_PKT0_SA_PS5_SB_ ; -- Begin function _ZN2at6native12_GLOBAL__N_135GammaBetaBackwardCUDAKernelTemplateIN3c104HalfEfLj32ELj32ELj256ELb0ELb1ELb0EEEvllPKT_S7_PKT0_SA_PS5_SB_
	.p2align	8
	.type	_ZN2at6native12_GLOBAL__N_135GammaBetaBackwardCUDAKernelTemplateIN3c104HalfEfLj32ELj32ELj256ELb0ELb1ELb0EEEvllPKT_S7_PKT0_SA_PS5_SB_,@function
_ZN2at6native12_GLOBAL__N_135GammaBetaBackwardCUDAKernelTemplateIN3c104HalfEfLj32ELj32ELj256ELb0ELb1ELb0EEEvllPKT_S7_PKT0_SA_PS5_SB_: ; @_ZN2at6native12_GLOBAL__N_135GammaBetaBackwardCUDAKernelTemplateIN3c104HalfEfLj32ELj32ELj256ELb0ELb1ELb0EEEvllPKT_S7_PKT0_SA_PS5_SB_
; %bb.0:
	s_load_dwordx4 s[16:19], s[0:1], 0x0
	s_lshl_b32 s6, s3, 8
	s_mov_b32 s7, 0
	v_bfe_u32 v12, v0, 10, 10
	s_waitcnt lgkmcnt(0)
	v_mov_b64_e32 v[2:3], s[16:17]
	v_cmp_lt_i64_e32 vcc, s[6:7], v[2:3]
	s_cbranch_vccnz .LBB91_2
; %bb.1:
	s_mov_b64 s[4:5], 0
	v_bfe_u32 v2, v0, 10, 10
	s_branch .LBB91_3
.LBB91_2:
	s_mov_b64 s[4:5], -1
                                        ; implicit-def: $vgpr2
.LBB91_3:
	v_and_b32_e32 v10, 0x3ff, v0
	s_andn2_b64 vcc, exec, s[4:5]
	v_mov_b32_e32 v1, s7
	v_mbcnt_lo_u32_b32 v11, -1, 0
	v_mov_b32_e32 v0, s7
	s_cbranch_vccnz .LBB91_11
; %bb.4:
	s_load_dword s3, s[0:1], 0x4c
	s_load_dword s20, s[0:1], 0x44
	s_load_dwordx8 s[8:15], s[0:1], 0x10
	v_lshlrev_b32_e32 v0, 3, v12
	v_mbcnt_hi_u32_b32 v4, -1, v11
	s_waitcnt lgkmcnt(0)
	s_and_b32 s3, s3, 0xffff
	v_mad_u32_u24 v1, v12, s3, v10
	v_and_b32_e32 v2, 63, v1
	v_mov_b32_e32 v1, 0
	v_mov_b32_e32 v3, v1
	v_lshl_add_u64 v[8:9], v[0:1], 0, s[6:7]
	v_cmp_gt_u32_e64 s[4:5], 8, v2
	s_lshl_b32 s20, s20, 8
	v_lshl_add_u64 v[2:3], v[8:9], 0, v[2:3]
	v_mul_lo_u32 v0, s19, v8
	v_mul_lo_u32 v21, s18, v9
	v_mad_u64_u32 v[8:9], s[24:25], s18, v8, 0
	v_lshl_add_u32 v6, s2, 5, v10
	v_mov_b32_e32 v7, v1
	v_lshlrev_b32_e32 v4, 2, v4
	s_mul_i32 s3, s19, s20
	s_mul_hi_u32 s24, s18, s20
	s_mov_b32 s21, 0
	v_and_b32_e32 v13, 0x100, v4
	v_add3_u32 v9, v9, v21, v0
	v_lshlrev_b64 v[6:7], 1, v[6:7]
	s_add_i32 s25, s24, s3
	s_mul_i32 s24, s18, s20
	v_or_b32_e32 v14, 4, v13
	v_or_b32_e32 v15, 8, v13
	;; [unrolled: 1-line block ×7, first 2 shown]
	v_lshlrev_b64 v[4:5], 2, v[2:3]
	s_lshl_b64 s[22:23], s[20:21], 2
	v_lshl_add_u64 v[6:7], v[8:9], 1, v[6:7]
	s_lshl_b64 s[24:25], s[24:25], 1
	s_lshl_b64 s[18:19], s[18:19], 1
	v_mov_b64_e32 v[8:9], s[16:17]
	v_mov_b32_e32 v0, v1
	s_branch .LBB91_7
.LBB91_5:                               ;   in Loop: Header=BB91_7 Depth=1
	s_or_b64 exec, exec, s[28:29]
.LBB91_6:                               ;   in Loop: Header=BB91_7 Depth=1
	s_or_b64 exec, exec, s[26:27]
	v_lshl_add_u64 v[24:25], s[8:9], 0, v[6:7]
	global_load_ushort v23, v[24:25], off
	v_lshl_add_u64 v[26:27], s[10:11], 0, v[6:7]
	v_lshl_add_u64 v[24:25], v[24:25], 0, s[18:19]
	global_load_ushort v28, v[26:27], off
	global_load_ushort v29, v[24:25], off
	v_lshl_add_u64 v[26:27], v[26:27], 0, s[18:19]
	v_lshl_add_u64 v[24:25], v[24:25], 0, s[18:19]
	global_load_ushort v30, v[26:27], off
	;; [unrolled: 4-line block ×7, first 2 shown]
	global_load_ushort v41, v[24:25], off
	v_lshl_add_u64 v[24:25], v[26:27], 0, s[18:19]
	global_load_ushort v25, v[24:25], off
	s_waitcnt vmcnt(17)
	ds_bpermute_b32 v42, v13, v21
	s_waitcnt vmcnt(16)
	ds_bpermute_b32 v27, v13, v22
	ds_bpermute_b32 v43, v14, v22
	;; [unrolled: 1-line block ×15, first 2 shown]
	s_add_u32 s6, s6, s20
	s_addc_u32 s7, s7, 0
	v_cmp_lt_i64_e32 vcc, s[6:7], v[8:9]
	v_lshl_add_u64 v[4:5], v[4:5], 0, s[22:23]
	v_lshl_add_u64 v[2:3], v[2:3], 0, s[20:21]
	;; [unrolled: 1-line block ×3, first 2 shown]
	s_and_b64 vcc, exec, vcc
	s_waitcnt vmcnt(15)
	v_cvt_f32_f16_e32 v22, v23
	s_waitcnt vmcnt(14)
	v_cvt_f32_f16_e32 v23, v28
	;; [unrolled: 2-line block ×5, first 2 shown]
	s_waitcnt lgkmcnt(14)
	v_sub_f32_e32 v23, v23, v42
	v_mul_f32_e32 v23, v23, v22
	s_waitcnt vmcnt(10)
	v_cvt_f32_f16_e32 v31, v32
	s_waitcnt vmcnt(9)
	v_cvt_f32_f16_e32 v28, v33
	s_waitcnt lgkmcnt(12)
	v_sub_f32_e32 v29, v29, v44
	v_mul_f32_e32 v23, v23, v27
	s_waitcnt vmcnt(8)
	v_cvt_f32_f16_e32 v33, v34
	s_waitcnt vmcnt(7)
	v_cvt_f32_f16_e32 v30, v35
	v_mul_f32_e32 v27, v29, v24
	s_waitcnt lgkmcnt(5)
	v_sub_f32_e32 v29, v31, v46
	s_waitcnt vmcnt(6)
	v_cvt_f32_f16_e32 v35, v36
	s_waitcnt vmcnt(5)
	v_cvt_f32_f16_e32 v32, v37
	v_pk_add_f32 v[0:1], v[0:1], v[22:23]
	s_waitcnt vmcnt(4)
	v_cvt_f32_f16_e32 v37, v38
	s_waitcnt vmcnt(3)
	v_cvt_f32_f16_e32 v34, v39
	s_waitcnt lgkmcnt(3)
	v_sub_f32_e32 v23, v35, v50
	s_waitcnt vmcnt(2)
	v_cvt_f32_f16_e32 v38, v40
	s_waitcnt vmcnt(1)
	v_cvt_f32_f16_e32 v36, v41
	;; [unrolled: 2-line block ×3, first 2 shown]
	v_mul_f32_e32 v25, v27, v43
	v_mul_f32_e32 v27, v29, v26
	v_sub_f32_e32 v29, v33, v48
	v_mul_f32_e32 v27, v27, v45
	v_mul_f32_e32 v22, v29, v28
	v_pk_add_f32 v[0:1], v[0:1], v[24:25]
	v_mul_f32_e32 v29, v22, v47
	v_mul_f32_e32 v22, v23, v30
	s_waitcnt lgkmcnt(2)
	v_sub_f32_e32 v23, v37, v52
	v_pk_add_f32 v[0:1], v[0:1], v[26:27]
	v_mul_f32_e32 v31, v22, v49
	v_mul_f32_e32 v22, v23, v32
	s_waitcnt lgkmcnt(1)
	v_sub_f32_e32 v23, v38, v54
	v_pk_add_f32 v[0:1], v[0:1], v[28:29]
	v_mul_f32_e32 v33, v22, v51
	v_mul_f32_e32 v22, v23, v34
	v_pk_add_f32 v[0:1], v[0:1], v[30:31]
	s_waitcnt lgkmcnt(0)
	v_sub_f32_e32 v21, v39, v21
	v_mul_f32_e32 v35, v22, v53
	v_pk_add_f32 v[0:1], v[0:1], v[32:33]
	v_mul_f32_e32 v21, v21, v36
	v_pk_add_f32 v[0:1], v[0:1], v[34:35]
	;; [unrolled: 2-line block ×3, first 2 shown]
	s_cbranch_vccz .LBB91_10
.LBB91_7:                               ; =>This Inner Loop Header: Depth=1
	v_mov_b32_e32 v22, 0
	v_mov_b32_e32 v21, 0
	s_and_saveexec_b64 s[26:27], s[4:5]
	s_cbranch_execz .LBB91_6
; %bb.8:                                ;   in Loop: Header=BB91_7 Depth=1
	v_cmp_gt_i64_e32 vcc, s[16:17], v[2:3]
	v_mov_b32_e32 v21, 0
	v_mov_b32_e32 v22, 0
	s_and_saveexec_b64 s[28:29], vcc
	s_cbranch_execz .LBB91_5
; %bb.9:                                ;   in Loop: Header=BB91_7 Depth=1
	v_lshl_add_u64 v[26:27], s[12:13], 0, v[4:5]
	v_lshl_add_u64 v[24:25], s[14:15], 0, v[4:5]
	global_load_dword v21, v[26:27], off
	global_load_dword v22, v[24:25], off
	s_branch .LBB91_5
.LBB91_10:
	v_mov_b32_e32 v2, v12
.LBB91_11:
	s_load_dwordx4 s[8:11], s[0:1], 0x30
	v_mad_u32_u24 v3, v2, 33, v10
	v_lshl_add_u32 v4, v3, 2, 0
	ds_write_b32 v4, v1
	ds_write_b32 v4, v0 offset:4224
	v_sub_u32_e32 v0, v3, v2
	s_movk_i32 s0, 0x800
	s_mov_b32 s3, 0
	v_cmp_gt_u32_e32 vcc, s0, v0
	s_waitcnt lgkmcnt(0)
	s_barrier
	s_and_saveexec_b64 s[0:1], vcc
	s_cbranch_execz .LBB91_21
; %bb.12:
	v_lshrrev_b32_e32 v4, 6, v0
	v_and_b32_e32 v5, 63, v0
	v_mbcnt_hi_u32_b32 v0, -1, v11
	v_and_b32_e32 v2, 64, v0
	v_add_u32_e32 v2, 64, v2
	v_xor_b32_e32 v3, 16, v0
	v_cmp_lt_i32_e32 vcc, v3, v2
	s_cmp_lg_u64 s[8:9], 0
	v_cmp_eq_u32_e64 s[4:5], 0, v10
	v_cndmask_b32_e32 v3, v0, v3, vcc
	v_lshlrev_b32_e32 v6, 2, v3
	v_xor_b32_e32 v3, 8, v0
	v_cmp_lt_i32_e32 vcc, v3, v2
	s_cselect_b64 s[6:7], -1, 0
	s_cmp_lg_u64 s[10:11], 0
	v_cndmask_b32_e32 v3, v0, v3, vcc
	v_lshlrev_b32_e32 v7, 2, v3
	v_xor_b32_e32 v3, 4, v0
	v_cmp_lt_i32_e32 vcc, v3, v2
	v_add_u32_e32 v11, -16, v4
	v_mov_b32_e32 v1, 0
	v_cndmask_b32_e32 v3, v0, v3, vcc
	v_lshlrev_b32_e32 v8, 2, v3
	v_xor_b32_e32 v3, 2, v0
	v_cmp_lt_i32_e32 vcc, v3, v2
	s_cselect_b64 s[14:15], -1, 0
	s_lshl_b64 s[2:3], s[2:3], 6
	v_cndmask_b32_e32 v3, v0, v3, vcc
	v_lshlrev_b32_e32 v9, 2, v3
	v_xor_b32_e32 v3, 1, v0
	v_cmp_lt_i32_e32 vcc, v3, v2
	v_cmp_gt_u32_e64 s[0:1], 32, v5
	s_mov_b64 s[12:13], 0
	v_cndmask_b32_e32 v0, v0, v3, vcc
	v_lshlrev_b32_e32 v10, 2, v0
	v_lshlrev_b32_e32 v0, 1, v4
	v_mad_u32_u24 v4, v5, 33, v4
	v_lshl_add_u32 v12, v4, 2, 0
	v_cndmask_b32_e64 v4, 0, 1, s[6:7]
	v_lshl_add_u64 v[2:3], s[2:3], 0, v[0:1]
	v_cmp_ne_u32_e64 s[2:3], 1, v4
	v_cndmask_b32_e64 v4, 0, 1, s[14:15]
	v_lshl_add_u64 v[0:1], s[10:11], 0, v[2:3]
	v_lshl_add_u64 v[2:3], s[8:9], 0, v[2:3]
	v_cmp_ne_u32_e64 s[6:7], 1, v4
                                        ; implicit-def: $vgpr4
	s_branch .LBB91_14
.LBB91_13:                              ;   in Loop: Header=BB91_14 Depth=1
	s_or_b64 exec, exec, s[8:9]
	v_add_co_u32_e32 v11, vcc, 16, v11
	s_xor_b64 s[8:9], vcc, -1
	s_and_b64 s[8:9], exec, s[8:9]
	v_lshl_add_u64 v[0:1], v[0:1], 0, 32
	v_lshl_add_u64 v[2:3], v[2:3], 0, 32
	s_or_b64 s[12:13], s[8:9], s[12:13]
	v_add_u32_e32 v12, 64, v12
	s_andn2_b64 exec, exec, s[12:13]
	s_cbranch_execz .LBB91_21
.LBB91_14:                              ; =>This Inner Loop Header: Depth=1
	s_and_saveexec_b64 s[8:9], s[0:1]
	s_cbranch_execz .LBB91_16
; %bb.15:                               ;   in Loop: Header=BB91_14 Depth=1
	ds_read_b32 v5, v12
	ds_read_b32 v4, v12 offset:4224
.LBB91_16:                              ;   in Loop: Header=BB91_14 Depth=1
	s_or_b64 exec, exec, s[8:9]
	s_waitcnt lgkmcnt(1)
	ds_bpermute_b32 v15, v6, v5
	s_waitcnt lgkmcnt(1)
	ds_bpermute_b32 v14, v6, v4
	s_waitcnt lgkmcnt(0)
	v_pk_add_f32 v[4:5], v[4:5], v[14:15]
	ds_bpermute_b32 v15, v7, v5
	ds_bpermute_b32 v14, v7, v4
	s_waitcnt lgkmcnt(0)
	v_pk_add_f32 v[4:5], v[4:5], v[14:15]
	ds_bpermute_b32 v15, v8, v5
	ds_bpermute_b32 v14, v8, v4
	s_waitcnt lgkmcnt(0)
	v_pk_add_f32 v[4:5], v[4:5], v[14:15]
	ds_bpermute_b32 v15, v9, v5
	ds_bpermute_b32 v14, v9, v4
	s_waitcnt lgkmcnt(0)
	v_pk_add_f32 v[4:5], v[4:5], v[14:15]
	ds_bpermute_b32 v15, v10, v5
	ds_bpermute_b32 v14, v10, v4
	s_waitcnt lgkmcnt(0)
	v_pk_add_f32 v[4:5], v[4:5], v[14:15]
	s_and_saveexec_b64 s[8:9], s[4:5]
	s_cbranch_execz .LBB91_13
; %bb.17:                               ;   in Loop: Header=BB91_14 Depth=1
	s_and_b64 vcc, exec, s[2:3]
	s_cbranch_vccnz .LBB91_19
; %bb.18:                               ;   in Loop: Header=BB91_14 Depth=1
	v_cvt_f16_f32_e32 v13, v5
	global_store_short v[2:3], v13, off
.LBB91_19:                              ;   in Loop: Header=BB91_14 Depth=1
	s_and_b64 vcc, exec, s[6:7]
	s_cbranch_vccnz .LBB91_13
; %bb.20:                               ;   in Loop: Header=BB91_14 Depth=1
	v_cvt_f16_f32_e32 v13, v4
	global_store_short v[0:1], v13, off
	s_branch .LBB91_13
.LBB91_21:
	s_endpgm
	.section	.rodata,"a",@progbits
	.p2align	6, 0x0
	.amdhsa_kernel _ZN2at6native12_GLOBAL__N_135GammaBetaBackwardCUDAKernelTemplateIN3c104HalfEfLj32ELj32ELj256ELb0ELb1ELb0EEEvllPKT_S7_PKT0_SA_PS5_SB_
		.amdhsa_group_segment_fixed_size 0
		.amdhsa_private_segment_fixed_size 0
		.amdhsa_kernarg_size 320
		.amdhsa_user_sgpr_count 2
		.amdhsa_user_sgpr_dispatch_ptr 0
		.amdhsa_user_sgpr_queue_ptr 0
		.amdhsa_user_sgpr_kernarg_segment_ptr 1
		.amdhsa_user_sgpr_dispatch_id 0
		.amdhsa_user_sgpr_kernarg_preload_length 0
		.amdhsa_user_sgpr_kernarg_preload_offset 0
		.amdhsa_user_sgpr_private_segment_size 0
		.amdhsa_uses_dynamic_stack 0
		.amdhsa_enable_private_segment 0
		.amdhsa_system_sgpr_workgroup_id_x 1
		.amdhsa_system_sgpr_workgroup_id_y 1
		.amdhsa_system_sgpr_workgroup_id_z 0
		.amdhsa_system_sgpr_workgroup_info 0
		.amdhsa_system_vgpr_workitem_id 1
		.amdhsa_next_free_vgpr 56
		.amdhsa_next_free_sgpr 30
		.amdhsa_accum_offset 56
		.amdhsa_reserve_vcc 1
		.amdhsa_float_round_mode_32 0
		.amdhsa_float_round_mode_16_64 0
		.amdhsa_float_denorm_mode_32 3
		.amdhsa_float_denorm_mode_16_64 3
		.amdhsa_dx10_clamp 1
		.amdhsa_ieee_mode 1
		.amdhsa_fp16_overflow 0
		.amdhsa_tg_split 0
		.amdhsa_exception_fp_ieee_invalid_op 0
		.amdhsa_exception_fp_denorm_src 0
		.amdhsa_exception_fp_ieee_div_zero 0
		.amdhsa_exception_fp_ieee_overflow 0
		.amdhsa_exception_fp_ieee_underflow 0
		.amdhsa_exception_fp_ieee_inexact 0
		.amdhsa_exception_int_div_zero 0
	.end_amdhsa_kernel
	.section	.text._ZN2at6native12_GLOBAL__N_135GammaBetaBackwardCUDAKernelTemplateIN3c104HalfEfLj32ELj32ELj256ELb0ELb1ELb0EEEvllPKT_S7_PKT0_SA_PS5_SB_,"axG",@progbits,_ZN2at6native12_GLOBAL__N_135GammaBetaBackwardCUDAKernelTemplateIN3c104HalfEfLj32ELj32ELj256ELb0ELb1ELb0EEEvllPKT_S7_PKT0_SA_PS5_SB_,comdat
.Lfunc_end91:
	.size	_ZN2at6native12_GLOBAL__N_135GammaBetaBackwardCUDAKernelTemplateIN3c104HalfEfLj32ELj32ELj256ELb0ELb1ELb0EEEvllPKT_S7_PKT0_SA_PS5_SB_, .Lfunc_end91-_ZN2at6native12_GLOBAL__N_135GammaBetaBackwardCUDAKernelTemplateIN3c104HalfEfLj32ELj32ELj256ELb0ELb1ELb0EEEvllPKT_S7_PKT0_SA_PS5_SB_
                                        ; -- End function
	.section	.AMDGPU.csdata,"",@progbits
; Kernel info:
; codeLenInByte = 1760
; NumSgprs: 36
; NumVgprs: 56
; NumAgprs: 0
; TotalNumVgprs: 56
; ScratchSize: 0
; MemoryBound: 0
; FloatMode: 240
; IeeeMode: 1
; LDSByteSize: 0 bytes/workgroup (compile time only)
; SGPRBlocks: 4
; VGPRBlocks: 6
; NumSGPRsForWavesPerEU: 36
; NumVGPRsForWavesPerEU: 56
; AccumOffset: 56
; Occupancy: 8
; WaveLimiterHint : 0
; COMPUTE_PGM_RSRC2:SCRATCH_EN: 0
; COMPUTE_PGM_RSRC2:USER_SGPR: 2
; COMPUTE_PGM_RSRC2:TRAP_HANDLER: 0
; COMPUTE_PGM_RSRC2:TGID_X_EN: 1
; COMPUTE_PGM_RSRC2:TGID_Y_EN: 1
; COMPUTE_PGM_RSRC2:TGID_Z_EN: 0
; COMPUTE_PGM_RSRC2:TIDIG_COMP_CNT: 1
; COMPUTE_PGM_RSRC3_GFX90A:ACCUM_OFFSET: 13
; COMPUTE_PGM_RSRC3_GFX90A:TG_SPLIT: 0
	.section	.text._ZN2at6native12_GLOBAL__N_135GammaBetaBackwardCUDAKernelTemplateIN3c104HalfEfLj32ELj32ELj256ELb0ELb0ELb0EEEvllPKT_S7_PKT0_SA_PS5_SB_,"axG",@progbits,_ZN2at6native12_GLOBAL__N_135GammaBetaBackwardCUDAKernelTemplateIN3c104HalfEfLj32ELj32ELj256ELb0ELb0ELb0EEEvllPKT_S7_PKT0_SA_PS5_SB_,comdat
	.globl	_ZN2at6native12_GLOBAL__N_135GammaBetaBackwardCUDAKernelTemplateIN3c104HalfEfLj32ELj32ELj256ELb0ELb0ELb0EEEvllPKT_S7_PKT0_SA_PS5_SB_ ; -- Begin function _ZN2at6native12_GLOBAL__N_135GammaBetaBackwardCUDAKernelTemplateIN3c104HalfEfLj32ELj32ELj256ELb0ELb0ELb0EEEvllPKT_S7_PKT0_SA_PS5_SB_
	.p2align	8
	.type	_ZN2at6native12_GLOBAL__N_135GammaBetaBackwardCUDAKernelTemplateIN3c104HalfEfLj32ELj32ELj256ELb0ELb0ELb0EEEvllPKT_S7_PKT0_SA_PS5_SB_,@function
_ZN2at6native12_GLOBAL__N_135GammaBetaBackwardCUDAKernelTemplateIN3c104HalfEfLj32ELj32ELj256ELb0ELb0ELb0EEEvllPKT_S7_PKT0_SA_PS5_SB_: ; @_ZN2at6native12_GLOBAL__N_135GammaBetaBackwardCUDAKernelTemplateIN3c104HalfEfLj32ELj32ELj256ELb0ELb0ELb0EEEvllPKT_S7_PKT0_SA_PS5_SB_
; %bb.0:
	s_load_dwordx8 s[8:15], s[0:1], 0x0
	s_load_dwordx4 s[24:27], s[0:1], 0x20
	s_lshl_b32 s33, s2, 5
	s_mov_b32 s16, 0
	s_or_b32 s4, s33, 31
	s_mov_b32 s5, s16
	s_waitcnt lgkmcnt(0)
	v_mov_b64_e32 v[2:3], s[10:11]
	v_cmp_ge_i64_e32 vcc, s[4:5], v[2:3]
	s_lshl_b32 s28, s3, 8
	s_mov_b32 s29, s16
	v_mov_b64_e32 v[2:3], s[8:9]
	v_cmp_lt_i64_e64 s[4:5], s[28:29], v[2:3]
	s_nop 1
	v_cndmask_b32_e64 v1, 0, 1, s[4:5]
	v_cmp_ne_u32_e64 s[4:5], 1, v1
	s_cbranch_vccz .LBB92_48
; %bb.1:
	v_mov_b32_e32 v43, 0
	s_and_b64 vcc, exec, s[4:5]
	v_mov_b32_e32 v42, v43
	s_cbranch_vccnz .LBB92_49
; %bb.2:
	v_mov_b32_e32 v3, 0
	v_bfe_u32 v66, v0, 10, 10
	s_load_dword s3, s[0:1], 0x44
	v_lshlrev_b32_e32 v26, 3, v66
	v_mov_b32_e32 v27, v3
	v_and_b32_e32 v1, 0x3ff, v0
	v_lshl_add_u64 v[4:5], v[26:27], 0, s[28:29]
	v_add_u32_e32 v2, s33, v1
	v_lshl_add_u64 v[6:7], v[4:5], 0, 7
	s_add_u32 s30, s0, 64
	v_cmp_gt_i64_e64 s[6:7], s[10:11], v[2:3]
	v_lshlrev_b64 v[28:29], 1, v[2:3]
	v_mul_lo_u32 v2, s11, v6
	v_mul_lo_u32 v8, s10, v7
	v_mad_u64_u32 v[6:7], s[18:19], s10, v6, 0
	s_addc_u32 s31, s1, 0
	s_waitcnt lgkmcnt(0)
	s_lshl_b32 s3, s3, 8
	v_add3_u32 v7, v7, v8, v2
	v_lshlrev_b64 v[6:7], 1, v[6:7]
	s_mul_i32 s17, s11, s3
	s_mul_hi_u32 s18, s10, s3
	v_lshl_add_u64 v[30:31], s[12:13], 0, v[6:7]
	s_add_i32 s19, s18, s17
	s_mul_i32 s18, s10, s3
	v_lshl_add_u64 v[32:33], s[14:15], 0, v[6:7]
	v_lshl_add_u64 v[6:7], v[4:5], 0, 6
	s_lshl_b64 s[34:35], s[18:19], 1
	v_mul_lo_u32 v2, s11, v6
	v_mul_lo_u32 v8, s10, v7
	v_mad_u64_u32 v[6:7], s[18:19], s10, v6, 0
	v_add3_u32 v7, v7, v8, v2
	v_lshlrev_b64 v[6:7], 1, v[6:7]
	v_lshl_add_u64 v[34:35], s[12:13], 0, v[6:7]
	v_lshl_add_u64 v[36:37], s[14:15], 0, v[6:7]
	v_lshl_add_u64 v[6:7], v[4:5], 0, 5
	v_mul_lo_u32 v2, s11, v6
	v_mul_lo_u32 v8, s10, v7
	v_mad_u64_u32 v[6:7], s[18:19], s10, v6, 0
	v_add3_u32 v7, v7, v8, v2
	v_lshlrev_b64 v[6:7], 1, v[6:7]
	v_lshl_add_u64 v[38:39], s[12:13], 0, v[6:7]
	v_lshl_add_u64 v[40:41], s[14:15], 0, v[6:7]
	v_lshl_add_u64 v[6:7], v[4:5], 0, 4
	;; [unrolled: 8-line block ×4, first 2 shown]
	v_mul_lo_u32 v2, s11, v6
	v_mul_lo_u32 v8, s10, v7
	v_mad_u64_u32 v[6:7], s[18:19], s10, v6, 0
	v_add3_u32 v7, v7, v8, v2
	v_lshlrev_b64 v[6:7], 1, v[6:7]
	v_lshl_add_u64 v[52:53], s[12:13], 0, v[6:7]
	v_lshl_add_u64 v[54:55], s[14:15], 0, v[6:7]
	v_mov_b64_e32 v[6:7], s[10:11]
	v_mad_u64_u32 v[6:7], s[18:19], s10, v4, v[6:7]
	v_mul_lo_u32 v2, s10, v5
	v_mul_lo_u32 v8, s11, v4
	v_mad_u64_u32 v[4:5], s[18:19], s10, v4, 0
	v_add3_u32 v7, v8, v7, v2
	v_add3_u32 v5, v5, v2, v8
	v_mbcnt_lo_u32_b32 v2, -1, 0
	v_mbcnt_hi_u32_b32 v2, -1, v2
	v_lshlrev_b64 v[6:7], 1, v[6:7]
	s_add_u32 s36, s28, 0xff
	v_lshlrev_b64 v[4:5], 1, v[4:5]
	s_movk_i32 s38, 0xff01
	s_movk_i32 s40, 0xff02
	;; [unrolled: 1-line block ×8, first 2 shown]
	v_lshlrev_b32_e32 v2, 2, v2
	v_lshl_add_u64 v[56:57], s[12:13], 0, v[6:7]
	v_lshl_add_u64 v[58:59], s[14:15], 0, v[6:7]
	s_addc_u32 s37, 0, 0
	v_lshl_add_u64 v[60:61], s[12:13], 0, v[4:5]
	v_lshl_add_u64 v[62:63], s[14:15], 0, v[4:5]
	s_mov_b32 s39, -1
	s_mov_b32 s41, -1
	;; [unrolled: 1-line block ×8, first 2 shown]
	v_and_b32_e32 v67, 0x100, v2
	s_mov_b64 s[54:55], s[28:29]
	v_mov_b32_e32 v42, v3
	v_mov_b32_e32 v43, v3
	s_branch .LBB92_5
.LBB92_3:                               ;   in Loop: Header=BB92_5 Depth=1
	s_or_b64 exec, exec, s[18:19]
	s_waitcnt vmcnt(1)
	ds_bpermute_b32 v2, v67, v69
	ds_bpermute_b32 v4, v67, v69 offset:4
	s_waitcnt vmcnt(0)
	ds_bpermute_b32 v5, v67, v68
	ds_bpermute_b32 v6, v67, v68 offset:4
	ds_bpermute_b32 v8, v67, v68 offset:12
	s_waitcnt lgkmcnt(4)
	v_sub_f32_e32 v2, v10, v2
	v_mul_f32_e32 v2, v18, v2
	s_waitcnt lgkmcnt(3)
	v_sub_f32_e32 v4, v11, v4
	s_waitcnt lgkmcnt(2)
	v_mul_f32_e32 v5, v2, v5
	ds_bpermute_b32 v2, v67, v69 offset:8
	v_mul_f32_e32 v4, v19, v4
	s_waitcnt lgkmcnt(2)
	v_mul_f32_e32 v7, v4, v6
	ds_bpermute_b32 v4, v67, v68 offset:8
	ds_bpermute_b32 v6, v67, v69 offset:12
	s_waitcnt lgkmcnt(2)
	v_sub_f32_e32 v2, v12, v2
	v_mul_f32_e32 v2, v20, v2
	v_mov_b32_e32 v10, v21
	s_waitcnt lgkmcnt(1)
	v_mul_f32_e32 v9, v2, v4
	s_waitcnt lgkmcnt(0)
	v_sub_f32_e32 v2, v13, v6
	ds_bpermute_b32 v4, v67, v69 offset:16
	v_mul_f32_e32 v2, v21, v2
	v_mul_f32_e32 v11, v2, v8
	ds_bpermute_b32 v2, v67, v68 offset:16
	ds_bpermute_b32 v6, v67, v69 offset:20
	;; [unrolled: 1-line block ×3, first 2 shown]
	s_waitcnt lgkmcnt(3)
	v_sub_f32_e32 v4, v14, v4
	v_mul_f32_e32 v4, v22, v4
	s_waitcnt lgkmcnt(2)
	v_mul_f32_e32 v13, v4, v2
	s_waitcnt lgkmcnt(1)
	v_sub_f32_e32 v2, v15, v6
	v_mul_f32_e32 v2, v23, v2
	s_waitcnt lgkmcnt(0)
	v_mul_f32_e32 v15, v2, v8
	v_mov_b32_e32 v4, v18
	ds_bpermute_b32 v2, v67, v69 offset:24
	v_pk_add_f32 v[4:5], v[42:43], v[4:5]
	v_mov_b32_e32 v6, v19
	v_pk_add_f32 v[4:5], v[6:7], v[4:5]
	ds_bpermute_b32 v7, v67, v68 offset:24
	v_mov_b32_e32 v8, v20
	v_pk_add_f32 v[4:5], v[8:9], v[4:5]
	v_mov_b32_e32 v12, v22
	v_pk_add_f32 v[4:5], v[10:11], v[4:5]
	s_waitcnt lgkmcnt(1)
	v_sub_f32_e32 v8, v16, v2
	v_pk_add_f32 v[4:5], v[12:13], v[4:5]
	v_mov_b32_e32 v14, v23
	v_mul_f32_e32 v8, v24, v8
	v_pk_add_f32 v[4:5], v[14:15], v[4:5]
	s_waitcnt lgkmcnt(0)
	v_mul_f32_e32 v9, v8, v7
	v_mov_b32_e32 v8, v24
	ds_bpermute_b32 v2, v67, v68 offset:28
	ds_bpermute_b32 v6, v67, v69 offset:28
	v_pk_add_f32 v[4:5], v[8:9], v[4:5]
.LBB92_4:                               ;   in Loop: Header=BB92_5 Depth=1
	s_waitcnt lgkmcnt(0)
	v_sub_f32_e32 v6, v17, v6
	v_mul_f32_e32 v6, v25, v6
	v_mul_f32_e32 v7, v6, v2
	v_mov_b32_e32 v6, v25
	s_add_u32 s54, s54, s3
	v_pk_add_f32 v[42:43], v[4:5], v[6:7]
	s_addc_u32 s55, s55, 0
	v_mov_b64_e32 v[4:5], s[8:9]
	s_add_u32 s36, s36, s3
	v_cmp_lt_i64_e32 vcc, s[54:55], v[4:5]
	v_lshl_add_u64 v[30:31], v[30:31], 0, s[34:35]
	v_lshl_add_u64 v[32:33], v[32:33], 0, s[34:35]
	;; [unrolled: 1-line block ×14, first 2 shown]
	s_addc_u32 s37, s37, 0
	v_lshl_add_u64 v[60:61], v[60:61], 0, s[34:35]
	v_lshl_add_u64 v[62:63], v[62:63], 0, s[34:35]
	s_cbranch_vccz .LBB92_49
.LBB92_5:                               ; =>This Inner Loop Header: Depth=1
	v_mov_b64_e32 v[4:5], s[8:9]
	v_cmp_ge_i64_e32 vcc, s[36:37], v[4:5]
	v_lshl_add_u64 v[64:65], v[26:27], 0, s[36:37]
	s_cbranch_vccz .LBB92_27
; %bb.6:                                ;   in Loop: Header=BB92_5 Depth=1
	s_load_dword s17, s[30:31], 0xc
	v_mov_b32_e32 v68, 0
	v_mov_b32_e32 v69, 0
	s_waitcnt lgkmcnt(0)
	s_and_b32 s17, s17, 0xffff
	v_mad_u32_u24 v2, v66, s17, v1
	v_and_b32_e32 v2, 63, v2
	v_cmp_gt_u32_e32 vcc, 8, v2
	s_and_saveexec_b64 s[18:19], vcc
	s_cbranch_execz .LBB92_10
; %bb.7:                                ;   in Loop: Header=BB92_5 Depth=1
	v_lshl_add_u64 v[4:5], v[64:65], 0, v[2:3]
	v_lshl_add_u64 v[4:5], v[4:5], 0, s[38:39]
	v_cmp_gt_i64_e32 vcc, s[8:9], v[4:5]
	v_mov_b32_e32 v69, 0
	v_mov_b32_e32 v68, 0
	s_and_saveexec_b64 s[20:21], vcc
	s_cbranch_execz .LBB92_9
; %bb.8:                                ;   in Loop: Header=BB92_5 Depth=1
	v_lshlrev_b64 v[4:5], 2, v[4:5]
	v_lshl_add_u64 v[6:7], s[26:27], 0, v[4:5]
	v_lshl_add_u64 v[4:5], s[24:25], 0, v[4:5]
	global_load_dword v69, v[4:5], off
	global_load_dword v68, v[6:7], off
.LBB92_9:                               ;   in Loop: Header=BB92_5 Depth=1
	s_or_b64 exec, exec, s[20:21]
.LBB92_10:                              ;   in Loop: Header=BB92_5 Depth=1
	s_or_b64 exec, exec, s[18:19]
	s_mov_b32 s17, s16
	s_mov_b32 s18, s16
	;; [unrolled: 1-line block ×7, first 2 shown]
	v_mov_b64_e32 v[10:11], s[16:17]
	v_lshl_add_u64 v[4:5], v[64:65], 0, s[38:39]
	v_mov_b64_e32 v[16:17], s[22:23]
	v_cmp_gt_i64_e32 vcc, s[8:9], v[4:5]
	v_mov_b64_e32 v[12:13], s[18:19]
	v_mov_b64_e32 v[14:15], s[20:21]
	;; [unrolled: 1-line block ×3, first 2 shown]
	s_and_b64 s[56:57], s[6:7], vcc
	v_mov_b64_e32 v[22:23], v[14:15]
	v_mov_b64_e32 v[20:21], v[12:13]
	;; [unrolled: 1-line block ×3, first 2 shown]
	s_and_saveexec_b64 s[18:19], s[56:57]
	s_cbranch_execz .LBB92_12
; %bb.11:                               ;   in Loop: Header=BB92_5 Depth=1
	v_lshl_add_u64 v[4:5], v[60:61], 0, v[28:29]
	global_load_ushort v2, v[4:5], off
	v_lshl_add_u64 v[4:5], v[62:63], 0, v[28:29]
	global_load_ushort v10, v[4:5], off
	v_mov_b32_e32 v8, v3
	v_mov_b32_e32 v9, v3
	;; [unrolled: 1-line block ×13, first 2 shown]
	s_waitcnt vmcnt(1)
	v_cvt_f32_f16_e32 v2, v2
	v_mov_b64_e32 v[24:25], v[8:9]
	s_waitcnt vmcnt(0)
	v_cvt_f32_f16_e32 v10, v10
	v_mov_b64_e32 v[22:23], v[6:7]
	v_mov_b64_e32 v[20:21], v[4:5]
	;; [unrolled: 1-line block ×3, first 2 shown]
.LBB92_12:                              ;   in Loop: Header=BB92_5 Depth=1
	s_or_b64 exec, exec, s[18:19]
	v_lshl_add_u64 v[4:5], v[64:65], 0, s[40:41]
	v_cmp_gt_i64_e32 vcc, s[8:9], v[4:5]
	s_and_b64 s[20:21], s[6:7], vcc
	s_and_saveexec_b64 s[18:19], s[20:21]
	s_cbranch_execz .LBB92_14
; %bb.13:                               ;   in Loop: Header=BB92_5 Depth=1
	v_lshl_add_u64 v[4:5], v[56:57], 0, v[28:29]
	global_load_ushort v2, v[4:5], off
	v_lshl_add_u64 v[4:5], v[58:59], 0, v[28:29]
	global_load_ushort v4, v[4:5], off
	s_waitcnt vmcnt(1)
	v_cvt_f32_f16_e32 v19, v2
	s_waitcnt vmcnt(0)
	v_cvt_f32_f16_e32 v11, v4
.LBB92_14:                              ;   in Loop: Header=BB92_5 Depth=1
	s_or_b64 exec, exec, s[18:19]
	v_lshl_add_u64 v[4:5], v[64:65], 0, s[42:43]
	v_cmp_gt_i64_e32 vcc, s[8:9], v[4:5]
	s_and_b64 s[20:21], s[6:7], vcc
	s_and_saveexec_b64 s[18:19], s[20:21]
	s_cbranch_execz .LBB92_16
; %bb.15:                               ;   in Loop: Header=BB92_5 Depth=1
	v_lshl_add_u64 v[4:5], v[52:53], 0, v[28:29]
	global_load_ushort v2, v[4:5], off
	v_lshl_add_u64 v[4:5], v[54:55], 0, v[28:29]
	global_load_ushort v4, v[4:5], off
	s_waitcnt vmcnt(1)
	v_cvt_f32_f16_e32 v20, v2
	s_waitcnt vmcnt(0)
	v_cvt_f32_f16_e32 v12, v4
.LBB92_16:                              ;   in Loop: Header=BB92_5 Depth=1
	;; [unrolled: 16-line block ×7, first 2 shown]
	s_or_b64 exec, exec, s[18:19]
	s_waitcnt vmcnt(1)
	ds_bpermute_b32 v2, v67, v69
	ds_bpermute_b32 v4, v67, v69 offset:4
	s_waitcnt vmcnt(0)
	ds_bpermute_b32 v5, v67, v68
	ds_bpermute_b32 v6, v67, v68 offset:4
	ds_bpermute_b32 v8, v67, v68 offset:12
	s_waitcnt lgkmcnt(4)
	v_sub_f32_e32 v2, v10, v2
	v_mul_f32_e32 v2, v18, v2
	s_waitcnt lgkmcnt(3)
	v_sub_f32_e32 v4, v11, v4
	s_waitcnt lgkmcnt(2)
	v_mul_f32_e32 v5, v2, v5
	ds_bpermute_b32 v2, v67, v69 offset:8
	v_mul_f32_e32 v4, v19, v4
	s_waitcnt lgkmcnt(2)
	v_mul_f32_e32 v7, v4, v6
	ds_bpermute_b32 v4, v67, v68 offset:8
	ds_bpermute_b32 v6, v67, v69 offset:12
	s_waitcnt lgkmcnt(2)
	v_sub_f32_e32 v2, v12, v2
	v_mul_f32_e32 v2, v20, v2
	v_mov_b32_e32 v10, v21
	s_waitcnt lgkmcnt(1)
	v_mul_f32_e32 v9, v2, v4
	s_waitcnt lgkmcnt(0)
	v_sub_f32_e32 v2, v13, v6
	ds_bpermute_b32 v4, v67, v69 offset:16
	v_mul_f32_e32 v2, v21, v2
	v_mul_f32_e32 v11, v2, v8
	ds_bpermute_b32 v2, v67, v68 offset:16
	ds_bpermute_b32 v6, v67, v69 offset:20
	;; [unrolled: 1-line block ×3, first 2 shown]
	s_waitcnt lgkmcnt(3)
	v_sub_f32_e32 v4, v14, v4
	v_mul_f32_e32 v4, v22, v4
	s_waitcnt lgkmcnt(2)
	v_mul_f32_e32 v13, v4, v2
	s_waitcnt lgkmcnt(1)
	v_sub_f32_e32 v2, v15, v6
	v_mul_f32_e32 v2, v23, v2
	s_waitcnt lgkmcnt(0)
	v_mul_f32_e32 v15, v2, v8
	ds_bpermute_b32 v2, v67, v69 offset:24
	v_mov_b32_e32 v4, v18
	v_pk_add_f32 v[4:5], v[42:43], v[4:5]
	v_mov_b32_e32 v6, v19
	v_pk_add_f32 v[4:5], v[6:7], v[4:5]
	ds_bpermute_b32 v7, v67, v68 offset:24
	v_mov_b32_e32 v8, v20
	s_waitcnt lgkmcnt(1)
	v_sub_f32_e32 v2, v16, v2
	v_pk_add_f32 v[4:5], v[8:9], v[4:5]
	v_mul_f32_e32 v8, v24, v2
	ds_bpermute_b32 v2, v67, v68 offset:28
	ds_bpermute_b32 v6, v67, v69 offset:28
	v_pk_add_f32 v[4:5], v[10:11], v[4:5]
	v_mov_b32_e32 v12, v22
	v_pk_add_f32 v[4:5], v[12:13], v[4:5]
	v_mov_b32_e32 v14, v23
	v_pk_add_f32 v[4:5], v[14:15], v[4:5]
	s_waitcnt lgkmcnt(2)
	v_mul_f32_e32 v9, v8, v7
	v_mov_b32_e32 v8, v24
	v_pk_add_f32 v[4:5], v[8:9], v[4:5]
	s_branch .LBB92_4
.LBB92_27:                              ;   in Loop: Header=BB92_5 Depth=1
                                        ; implicit-def: $vgpr4_vgpr5
                                        ; implicit-def: $vgpr2
                                        ; implicit-def: $vgpr10_vgpr11_vgpr12_vgpr13_vgpr14_vgpr15_vgpr16_vgpr17
                                        ; implicit-def: $vgpr18_vgpr19_vgpr20_vgpr21_vgpr22_vgpr23_vgpr24_vgpr25
                                        ; implicit-def: $vgpr6
	s_cbranch_execz .LBB92_4
; %bb.28:                               ;   in Loop: Header=BB92_5 Depth=1
	s_load_dword s17, s[30:31], 0x0
	v_mov_b32_e32 v68, 0
	v_mov_b32_e32 v69, 0
	s_waitcnt lgkmcnt(0)
	s_cmp_lt_u32 s2, s17
	s_cselect_b32 s17, 12, 18
	s_add_u32 s18, s30, s17
	s_addc_u32 s19, s31, 0
	global_load_ushort v2, v3, s[18:19]
	s_waitcnt vmcnt(0)
	v_mad_u32_u24 v2, v66, v2, v1
	v_and_b32_e32 v2, 63, v2
	v_cmp_gt_u32_e32 vcc, 8, v2
	s_and_saveexec_b64 s[18:19], vcc
	s_cbranch_execz .LBB92_32
; %bb.29:                               ;   in Loop: Header=BB92_5 Depth=1
	v_lshl_add_u64 v[4:5], v[64:65], 0, v[2:3]
	v_lshl_add_u64 v[4:5], v[4:5], 0, s[38:39]
	v_cmp_gt_i64_e32 vcc, s[8:9], v[4:5]
	v_mov_b32_e32 v69, 0
	v_mov_b32_e32 v68, 0
	s_and_saveexec_b64 s[20:21], vcc
	s_cbranch_execz .LBB92_31
; %bb.30:                               ;   in Loop: Header=BB92_5 Depth=1
	v_lshlrev_b64 v[4:5], 2, v[4:5]
	v_lshl_add_u64 v[6:7], s[26:27], 0, v[4:5]
	v_lshl_add_u64 v[4:5], s[24:25], 0, v[4:5]
	global_load_dword v69, v[4:5], off
	global_load_dword v68, v[6:7], off
.LBB92_31:                              ;   in Loop: Header=BB92_5 Depth=1
	s_or_b64 exec, exec, s[20:21]
.LBB92_32:                              ;   in Loop: Header=BB92_5 Depth=1
	s_or_b64 exec, exec, s[18:19]
	s_mov_b32 s17, s16
	s_mov_b32 s18, s16
	;; [unrolled: 1-line block ×7, first 2 shown]
	v_mov_b64_e32 v[10:11], s[16:17]
	v_mov_b64_e32 v[16:17], s[22:23]
	;; [unrolled: 1-line block ×8, first 2 shown]
	s_and_saveexec_b64 s[18:19], s[6:7]
	s_cbranch_execnz .LBB92_40
; %bb.33:                               ;   in Loop: Header=BB92_5 Depth=1
	s_or_b64 exec, exec, s[18:19]
	s_and_saveexec_b64 s[18:19], s[6:7]
	s_cbranch_execnz .LBB92_41
.LBB92_34:                              ;   in Loop: Header=BB92_5 Depth=1
	s_or_b64 exec, exec, s[18:19]
	s_and_saveexec_b64 s[18:19], s[6:7]
	s_cbranch_execnz .LBB92_42
.LBB92_35:                              ;   in Loop: Header=BB92_5 Depth=1
	s_or_b64 exec, exec, s[18:19]
	s_and_saveexec_b64 s[18:19], s[6:7]
	s_cbranch_execnz .LBB92_43
.LBB92_36:                              ;   in Loop: Header=BB92_5 Depth=1
	s_or_b64 exec, exec, s[18:19]
	s_and_saveexec_b64 s[18:19], s[6:7]
	s_cbranch_execnz .LBB92_44
.LBB92_37:                              ;   in Loop: Header=BB92_5 Depth=1
	s_or_b64 exec, exec, s[18:19]
	s_and_saveexec_b64 s[18:19], s[6:7]
	s_cbranch_execnz .LBB92_45
.LBB92_38:                              ;   in Loop: Header=BB92_5 Depth=1
	s_or_b64 exec, exec, s[18:19]
	s_and_saveexec_b64 s[18:19], s[6:7]
	s_cbranch_execnz .LBB92_46
.LBB92_39:                              ;   in Loop: Header=BB92_5 Depth=1
	s_or_b64 exec, exec, s[18:19]
	s_and_saveexec_b64 s[18:19], s[6:7]
	s_cbranch_execz .LBB92_3
	s_branch .LBB92_47
.LBB92_40:                              ;   in Loop: Header=BB92_5 Depth=1
	v_lshl_add_u64 v[4:5], v[60:61], 0, v[28:29]
	global_load_ushort v2, v[4:5], off
	v_lshl_add_u64 v[4:5], v[62:63], 0, v[28:29]
	global_load_ushort v10, v[4:5], off
	v_mov_b32_e32 v8, v3
	v_mov_b32_e32 v9, v3
	;; [unrolled: 1-line block ×13, first 2 shown]
	s_waitcnt vmcnt(1)
	v_cvt_f32_f16_e32 v2, v2
	v_mov_b64_e32 v[24:25], v[8:9]
	s_waitcnt vmcnt(0)
	v_cvt_f32_f16_e32 v10, v10
	v_mov_b64_e32 v[22:23], v[6:7]
	v_mov_b64_e32 v[20:21], v[4:5]
	;; [unrolled: 1-line block ×3, first 2 shown]
	s_or_b64 exec, exec, s[18:19]
	s_and_saveexec_b64 s[18:19], s[6:7]
	s_cbranch_execz .LBB92_34
.LBB92_41:                              ;   in Loop: Header=BB92_5 Depth=1
	v_lshl_add_u64 v[4:5], v[56:57], 0, v[28:29]
	global_load_ushort v2, v[4:5], off
	v_lshl_add_u64 v[4:5], v[58:59], 0, v[28:29]
	global_load_ushort v4, v[4:5], off
	s_waitcnt vmcnt(1)
	v_cvt_f32_f16_e32 v19, v2
	s_waitcnt vmcnt(0)
	v_cvt_f32_f16_e32 v11, v4
	s_or_b64 exec, exec, s[18:19]
	s_and_saveexec_b64 s[18:19], s[6:7]
	s_cbranch_execz .LBB92_35
.LBB92_42:                              ;   in Loop: Header=BB92_5 Depth=1
	v_lshl_add_u64 v[4:5], v[52:53], 0, v[28:29]
	global_load_ushort v2, v[4:5], off
	v_lshl_add_u64 v[4:5], v[54:55], 0, v[28:29]
	global_load_ushort v4, v[4:5], off
	s_waitcnt vmcnt(1)
	v_cvt_f32_f16_e32 v20, v2
	s_waitcnt vmcnt(0)
	v_cvt_f32_f16_e32 v12, v4
	s_or_b64 exec, exec, s[18:19]
	s_and_saveexec_b64 s[18:19], s[6:7]
	s_cbranch_execz .LBB92_36
.LBB92_43:                              ;   in Loop: Header=BB92_5 Depth=1
	v_lshl_add_u64 v[4:5], v[48:49], 0, v[28:29]
	global_load_ushort v2, v[4:5], off
	v_lshl_add_u64 v[4:5], v[50:51], 0, v[28:29]
	global_load_ushort v4, v[4:5], off
	s_waitcnt vmcnt(1)
	v_cvt_f32_f16_e32 v21, v2
	s_waitcnt vmcnt(0)
	v_cvt_f32_f16_e32 v13, v4
	s_or_b64 exec, exec, s[18:19]
	s_and_saveexec_b64 s[18:19], s[6:7]
	s_cbranch_execz .LBB92_37
.LBB92_44:                              ;   in Loop: Header=BB92_5 Depth=1
	v_lshl_add_u64 v[4:5], v[44:45], 0, v[28:29]
	global_load_ushort v2, v[4:5], off
	v_lshl_add_u64 v[4:5], v[46:47], 0, v[28:29]
	global_load_ushort v4, v[4:5], off
	s_waitcnt vmcnt(1)
	v_cvt_f32_f16_e32 v22, v2
	s_waitcnt vmcnt(0)
	v_cvt_f32_f16_e32 v14, v4
	s_or_b64 exec, exec, s[18:19]
	s_and_saveexec_b64 s[18:19], s[6:7]
	s_cbranch_execz .LBB92_38
.LBB92_45:                              ;   in Loop: Header=BB92_5 Depth=1
	v_lshl_add_u64 v[4:5], v[38:39], 0, v[28:29]
	global_load_ushort v2, v[4:5], off
	v_lshl_add_u64 v[4:5], v[40:41], 0, v[28:29]
	global_load_ushort v4, v[4:5], off
	s_waitcnt vmcnt(1)
	v_cvt_f32_f16_e32 v23, v2
	s_waitcnt vmcnt(0)
	v_cvt_f32_f16_e32 v15, v4
	s_or_b64 exec, exec, s[18:19]
	s_and_saveexec_b64 s[18:19], s[6:7]
	s_cbranch_execz .LBB92_39
.LBB92_46:                              ;   in Loop: Header=BB92_5 Depth=1
	v_lshl_add_u64 v[4:5], v[34:35], 0, v[28:29]
	global_load_ushort v2, v[4:5], off
	v_lshl_add_u64 v[4:5], v[36:37], 0, v[28:29]
	global_load_ushort v4, v[4:5], off
	s_waitcnt vmcnt(1)
	v_cvt_f32_f16_e32 v24, v2
	s_waitcnt vmcnt(0)
	v_cvt_f32_f16_e32 v16, v4
	s_or_b64 exec, exec, s[18:19]
	s_and_saveexec_b64 s[18:19], s[6:7]
	s_cbranch_execz .LBB92_3
.LBB92_47:                              ;   in Loop: Header=BB92_5 Depth=1
	v_lshl_add_u64 v[4:5], v[30:31], 0, v[28:29]
	global_load_ushort v2, v[4:5], off
	v_lshl_add_u64 v[4:5], v[32:33], 0, v[28:29]
	global_load_ushort v4, v[4:5], off
	s_waitcnt vmcnt(1)
	v_cvt_f32_f16_e32 v25, v2
	s_waitcnt vmcnt(0)
	v_cvt_f32_f16_e32 v17, v4
	s_branch .LBB92_3
.LBB92_48:
                                        ; implicit-def: $vgpr43
	s_branch .LBB92_50
.LBB92_49:
	s_cbranch_execnz .LBB92_81
.LBB92_50:
	v_mov_b32_e32 v43, 0
	s_mov_b32 s16, 0
	s_and_b64 vcc, exec, s[4:5]
	v_mov_b32_e32 v42, v43
	s_cbranch_vccnz .LBB92_81
; %bb.51:
	v_and_b32_e32 v1, 0x3ff, v0
	v_add_u32_e32 v2, s33, v1
	v_mov_b32_e32 v3, 0
	v_bfe_u32 v96, v0, 10, 10
	v_lshlrev_b64 v[28:29], 1, v[2:3]
	v_lshlrev_b32_e32 v2, 4, v96
	v_lshl_add_u64 v[4:5], s[28:29], 1, v[2:3]
	v_lshl_add_u64 v[6:7], v[4:5], 0, 2
	v_mov_b64_e32 v[8:9], s[12:13]
	v_lshl_add_u64 v[10:11], v[4:5], 0, 4
	v_lshl_add_u64 v[12:13], v[4:5], 0, 6
	;; [unrolled: 1-line block ×6, first 2 shown]
	v_mad_u64_u32 v[30:31], s[4:5], s10, v6, v[8:9]
	v_mad_u64_u32 v[32:33], s[4:5], s10, v10, v[8:9]
	;; [unrolled: 1-line block ×7, first 2 shown]
	v_mov_b64_e32 v[8:9], s[14:15]
	v_lshlrev_b32_e32 v26, 3, v96
	v_mov_b32_e32 v27, v3
	v_mul_lo_u32 v2, s10, v7
	v_mul_lo_u32 v7, s11, v6
	v_mad_u64_u32 v[46:47], s[4:5], s10, v6, v[8:9]
	v_add3_u32 v31, v7, v31, v2
	v_mul_lo_u32 v5, s10, v5
	v_mul_lo_u32 v25, s11, v4
	v_add3_u32 v47, v7, v47, v2
	v_lshl_add_u64 v[6:7], v[26:27], 0, s[28:29]
	v_mad_u64_u32 v[58:59], s[4:5], s10, v4, v[8:9]
	v_add3_u32 v45, v25, v45, v5
	v_add3_u32 v59, v25, v59, v5
	v_lshl_add_u64 v[4:5], v[6:7], 0, 7
	v_mad_u64_u32 v[48:49], s[4:5], s10, v10, v[8:9]
	v_mad_u64_u32 v[50:51], s[4:5], s10, v12, v[8:9]
	;; [unrolled: 1-line block ×5, first 2 shown]
	v_mul_lo_u32 v8, s11, v4
	v_mul_lo_u32 v9, s10, v5
	v_mad_u64_u32 v[4:5], s[4:5], s10, v4, 0
	v_mul_lo_u32 v11, s10, v11
	v_mul_lo_u32 v20, s11, v10
	v_add3_u32 v5, v5, v9, v8
	v_lshl_add_u64 v[8:9], v[6:7], 0, 6
	v_add3_u32 v33, v20, v33, v11
	v_add3_u32 v49, v20, v49, v11
	v_mul_lo_u32 v10, s11, v8
	v_mul_lo_u32 v11, s10, v9
	v_mad_u64_u32 v[8:9], s[4:5], s10, v8, 0
	v_mul_lo_u32 v13, s10, v13
	v_mul_lo_u32 v21, s11, v12
	v_add3_u32 v9, v9, v11, v10
	v_lshl_add_u64 v[10:11], v[6:7], 0, 5
	v_add3_u32 v35, v21, v35, v13
	v_add3_u32 v51, v21, v51, v13
	;; [unrolled: 9-line block ×4, first 2 shown]
	v_mul_lo_u32 v16, s11, v14
	v_mul_lo_u32 v17, s10, v15
	v_mad_u64_u32 v[14:15], s[4:5], s10, v14, 0
	v_mul_lo_u32 v19, s10, v19
	v_mul_lo_u32 v24, s11, v18
	v_add3_u32 v15, v15, v17, v16
	v_lshl_add_u64 v[16:17], v[6:7], 0, 2
	s_load_dword s3, s[0:1], 0x44
	v_lshlrev_b64 v[4:5], 1, v[4:5]
	v_add3_u32 v41, v24, v41, v19
	v_add3_u32 v57, v24, v57, v19
	v_mul_lo_u32 v18, s11, v16
	v_mul_lo_u32 v19, s10, v17
	v_mad_u64_u32 v[16:17], s[4:5], s10, v16, 0
	v_lshl_add_u64 v[64:65], s[12:13], 0, v[4:5]
	v_lshl_add_u64 v[66:67], s[14:15], 0, v[4:5]
	v_lshlrev_b64 v[4:5], 1, v[8:9]
	v_add3_u32 v17, v17, v19, v18
	v_mov_b64_e32 v[18:19], s[10:11]
	v_lshl_add_u64 v[68:69], s[12:13], 0, v[4:5]
	v_lshl_add_u64 v[70:71], s[14:15], 0, v[4:5]
	v_lshlrev_b64 v[4:5], 1, v[10:11]
	v_mul_lo_u32 v2, s11, v6
	v_mad_u64_u32 v[18:19], s[4:5], s10, v6, v[18:19]
	v_mul_lo_u32 v20, s10, v7
	v_mad_u64_u32 v[6:7], s[4:5], s10, v6, 0
	v_lshl_add_u64 v[72:73], s[12:13], 0, v[4:5]
	v_lshl_add_u64 v[74:75], s[14:15], 0, v[4:5]
	v_lshlrev_b64 v[4:5], 1, v[12:13]
	s_add_u32 s4, s0, 64
	v_lshl_add_u64 v[76:77], s[12:13], 0, v[4:5]
	v_lshl_add_u64 v[78:79], s[14:15], 0, v[4:5]
	v_lshlrev_b64 v[4:5], 1, v[14:15]
	v_add3_u32 v7, v7, v20, v2
	v_add3_u32 v19, v2, v19, v20
	s_addc_u32 s5, s1, 0
	s_waitcnt lgkmcnt(0)
	s_lshl_b32 s3, s3, 8
	v_lshl_add_u64 v[80:81], s[12:13], 0, v[4:5]
	v_lshl_add_u64 v[82:83], s[14:15], 0, v[4:5]
	v_lshlrev_b64 v[4:5], 1, v[16:17]
	v_mbcnt_lo_u32_b32 v2, -1, 0
	s_add_u32 s6, s28, 0xff
	s_mul_i32 s17, s11, s3
	s_mul_hi_u32 s18, s10, s3
	v_lshlrev_b64 v[6:7], 1, v[6:7]
	v_lshl_add_u64 v[84:85], s[12:13], 0, v[4:5]
	v_lshl_add_u64 v[86:87], s[14:15], 0, v[4:5]
	v_lshlrev_b64 v[4:5], 1, v[18:19]
	v_mbcnt_hi_u32_b32 v2, -1, v2
	s_addc_u32 s7, 0, 0
	s_add_i32 s19, s18, s17
	s_mul_i32 s18, s10, s3
	v_lshl_add_u64 v[60:61], s[12:13], 0, v[6:7]
	v_lshl_add_u64 v[62:63], s[14:15], 0, v[6:7]
	v_lshl_add_u64 v[88:89], s[12:13], 0, v[4:5]
	v_lshl_add_u64 v[90:91], s[14:15], 0, v[4:5]
	s_movk_i32 s12, 0xff01
	s_movk_i32 s14, 0xff02
	;; [unrolled: 1-line block ×8, first 2 shown]
	v_lshlrev_b32_e32 v2, 2, v2
	s_lshl_b64 s[30:31], s[18:19], 1
	s_mov_b32 s13, -1
	s_mov_b32 s15, -1
	;; [unrolled: 1-line block ×8, first 2 shown]
	v_and_b32_e32 v97, 0x100, v2
	v_mov_b32_e32 v42, v3
	v_mov_b32_e32 v43, v3
	s_branch .LBB92_55
.LBB92_52:                              ;   in Loop: Header=BB92_55 Depth=1
	s_or_b64 exec, exec, s[20:21]
.LBB92_53:                              ;   in Loop: Header=BB92_55 Depth=1
	s_or_b64 exec, exec, s[18:19]
	v_lshl_add_u64 v[4:5], v[60:61], 0, v[28:29]
	global_load_ushort v2, v[4:5], off
	v_lshl_add_u64 v[4:5], v[62:63], 0, v[28:29]
	global_load_ushort v8, v[4:5], off
	;; [unrolled: 2-line block ×16, first 2 shown]
	s_waitcnt vmcnt(17)
	ds_bpermute_b32 v23, v97, v7
	ds_bpermute_b32 v25, v97, v7 offset:4
	ds_bpermute_b32 v43, v97, v7 offset:8
	;; [unrolled: 1-line block ×7, first 2 shown]
	s_waitcnt vmcnt(16)
	ds_bpermute_b32 v22, v97, v6
	ds_bpermute_b32 v24, v97, v6 offset:4
	ds_bpermute_b32 v42, v97, v6 offset:8
	;; [unrolled: 1-line block ×7, first 2 shown]
	s_waitcnt vmcnt(15)
	v_cvt_f32_f16_e32 v4, v2
	s_waitcnt vmcnt(14)
	v_cvt_f32_f16_e32 v2, v8
	;; [unrolled: 2-line block ×4, first 2 shown]
	s_waitcnt lgkmcnt(14)
	v_sub_f32_e32 v2, v2, v23
	s_waitcnt vmcnt(11)
	v_cvt_f32_f16_e32 v8, v11
	v_mul_f32_e32 v2, v2, v4
	s_waitcnt vmcnt(10)
	v_cvt_f32_f16_e32 v11, v12
	v_sub_f32_e32 v9, v9, v25
	s_waitcnt vmcnt(9)
	v_cvt_f32_f16_e32 v10, v13
	s_waitcnt vmcnt(8)
	v_cvt_f32_f16_e32 v13, v14
	s_waitcnt lgkmcnt(13)
	v_sub_f32_e32 v11, v11, v43
	s_waitcnt vmcnt(7)
	v_cvt_f32_f16_e32 v12, v15
	s_waitcnt vmcnt(6)
	v_cvt_f32_f16_e32 v15, v16
	s_waitcnt lgkmcnt(12)
	;; [unrolled: 6-line block ×5, first 2 shown]
	v_sub_f32_e32 v19, v19, v103
	s_waitcnt lgkmcnt(8)
	v_sub_f32_e32 v5, v5, v7
	v_mul_f32_e32 v7, v9, v6
	v_mul_f32_e32 v9, v11, v8
	;; [unrolled: 1-line block ×7, first 2 shown]
	s_waitcnt lgkmcnt(7)
	v_mul_f32_e32 v5, v2, v22
	s_waitcnt lgkmcnt(6)
	v_mul_f32_e32 v7, v7, v24
	v_pk_add_f32 v[4:5], v[92:93], v[4:5]
	s_waitcnt lgkmcnt(5)
	v_mul_f32_e32 v9, v9, v42
	v_pk_add_f32 v[4:5], v[4:5], v[6:7]
	;; [unrolled: 3-line block ×7, first 2 shown]
	s_nop 0
	v_pk_add_f32 v[42:43], v[4:5], v[18:19]
.LBB92_54:                              ;   in Loop: Header=BB92_55 Depth=1
	s_add_u32 s28, s28, s3
	s_addc_u32 s29, s29, 0
	v_mov_b64_e32 v[4:5], s[8:9]
	s_add_u32 s6, s6, s3
	v_cmp_ge_i64_e32 vcc, s[28:29], v[4:5]
	s_addc_u32 s7, s7, 0
	v_lshl_add_u64 v[30:31], v[30:31], 0, s[30:31]
	v_lshl_add_u64 v[32:33], v[32:33], 0, s[30:31]
	;; [unrolled: 1-line block ×30, first 2 shown]
	s_cbranch_vccnz .LBB92_81
.LBB92_55:                              ; =>This Inner Loop Header: Depth=1
	v_mov_b64_e32 v[4:5], s[8:9]
	v_cmp_ge_i64_e32 vcc, s[6:7], v[4:5]
	v_mov_b32_e32 v92, v42
	v_mov_b32_e32 v93, v43
	v_lshl_add_u64 v[94:95], v[26:27], 0, s[6:7]
	s_cbranch_vccz .LBB92_77
; %bb.56:                               ;   in Loop: Header=BB92_55 Depth=1
	s_load_dword s17, s[4:5], 0xc
	v_mov_b32_e32 v42, 0
	v_mov_b32_e32 v43, 0
	s_waitcnt lgkmcnt(0)
	s_and_b32 s17, s17, 0xffff
	v_mad_u32_u24 v2, v96, s17, v1
	v_and_b32_e32 v2, 63, v2
	v_cmp_gt_u32_e32 vcc, 8, v2
	s_and_saveexec_b64 s[18:19], vcc
	s_cbranch_execz .LBB92_60
; %bb.57:                               ;   in Loop: Header=BB92_55 Depth=1
	v_lshl_add_u64 v[4:5], v[94:95], 0, v[2:3]
	v_lshl_add_u64 v[4:5], v[4:5], 0, s[12:13]
	v_cmp_gt_i64_e32 vcc, s[8:9], v[4:5]
	v_mov_b32_e32 v43, 0
	v_mov_b32_e32 v42, 0
	s_and_saveexec_b64 s[20:21], vcc
	s_cbranch_execz .LBB92_59
; %bb.58:                               ;   in Loop: Header=BB92_55 Depth=1
	v_lshlrev_b64 v[4:5], 2, v[4:5]
	v_lshl_add_u64 v[6:7], s[26:27], 0, v[4:5]
	v_lshl_add_u64 v[4:5], s[24:25], 0, v[4:5]
	global_load_dword v43, v[4:5], off
	global_load_dword v42, v[6:7], off
.LBB92_59:                              ;   in Loop: Header=BB92_55 Depth=1
	s_or_b64 exec, exec, s[20:21]
.LBB92_60:                              ;   in Loop: Header=BB92_55 Depth=1
	s_or_b64 exec, exec, s[18:19]
	s_mov_b32 s17, s16
	s_mov_b32 s18, s16
	;; [unrolled: 1-line block ×7, first 2 shown]
	v_mov_b64_e32 v[10:11], s[16:17]
	v_mov_b64_e32 v[16:17], s[22:23]
	v_lshl_add_u64 v[4:5], v[94:95], 0, s[12:13]
	v_mov_b64_e32 v[12:13], s[18:19]
	v_mov_b64_e32 v[14:15], s[20:21]
	;; [unrolled: 1-line block ×3, first 2 shown]
	v_cmp_gt_i64_e32 vcc, s[8:9], v[4:5]
	v_mov_b64_e32 v[22:23], v[14:15]
	v_mov_b64_e32 v[20:21], v[12:13]
	;; [unrolled: 1-line block ×3, first 2 shown]
	s_and_saveexec_b64 s[18:19], vcc
	s_cbranch_execz .LBB92_62
; %bb.61:                               ;   in Loop: Header=BB92_55 Depth=1
	v_lshl_add_u64 v[4:5], v[60:61], 0, v[28:29]
	global_load_ushort v2, v[4:5], off
	v_lshl_add_u64 v[4:5], v[62:63], 0, v[28:29]
	global_load_ushort v10, v[4:5], off
	v_mov_b32_e32 v8, v3
	v_mov_b32_e32 v9, v3
	;; [unrolled: 1-line block ×13, first 2 shown]
	s_waitcnt vmcnt(1)
	v_cvt_f32_f16_e32 v2, v2
	v_mov_b64_e32 v[24:25], v[8:9]
	s_waitcnt vmcnt(0)
	v_cvt_f32_f16_e32 v10, v10
	v_mov_b64_e32 v[22:23], v[6:7]
	v_mov_b64_e32 v[20:21], v[4:5]
	;; [unrolled: 1-line block ×3, first 2 shown]
.LBB92_62:                              ;   in Loop: Header=BB92_55 Depth=1
	s_or_b64 exec, exec, s[18:19]
	v_lshl_add_u64 v[4:5], v[94:95], 0, s[14:15]
	v_cmp_gt_i64_e32 vcc, s[8:9], v[4:5]
	s_and_saveexec_b64 s[18:19], vcc
	s_cbranch_execz .LBB92_64
; %bb.63:                               ;   in Loop: Header=BB92_55 Depth=1
	v_lshl_add_u64 v[4:5], v[88:89], 0, v[28:29]
	global_load_ushort v2, v[4:5], off
	v_lshl_add_u64 v[4:5], v[90:91], 0, v[28:29]
	global_load_ushort v4, v[4:5], off
	s_waitcnt vmcnt(1)
	v_cvt_f32_f16_e32 v19, v2
	s_waitcnt vmcnt(0)
	v_cvt_f32_f16_e32 v11, v4
.LBB92_64:                              ;   in Loop: Header=BB92_55 Depth=1
	s_or_b64 exec, exec, s[18:19]
	v_lshl_add_u64 v[4:5], v[94:95], 0, s[34:35]
	v_cmp_gt_i64_e32 vcc, s[8:9], v[4:5]
	s_and_saveexec_b64 s[18:19], vcc
	s_cbranch_execz .LBB92_66
; %bb.65:                               ;   in Loop: Header=BB92_55 Depth=1
	v_lshl_add_u64 v[4:5], v[84:85], 0, v[28:29]
	global_load_ushort v2, v[4:5], off
	v_lshl_add_u64 v[4:5], v[86:87], 0, v[28:29]
	global_load_ushort v4, v[4:5], off
	s_waitcnt vmcnt(1)
	v_cvt_f32_f16_e32 v20, v2
	s_waitcnt vmcnt(0)
	v_cvt_f32_f16_e32 v12, v4
.LBB92_66:                              ;   in Loop: Header=BB92_55 Depth=1
	;; [unrolled: 15-line block ×7, first 2 shown]
	s_or_b64 exec, exec, s[18:19]
	s_waitcnt vmcnt(1)
	ds_bpermute_b32 v2, v97, v43
	s_waitcnt vmcnt(0)
	ds_bpermute_b32 v4, v97, v42
	ds_bpermute_b32 v7, v97, v43 offset:4
	ds_bpermute_b32 v6, v97, v42 offset:4
	;; [unrolled: 1-line block ×3, first 2 shown]
	s_waitcnt lgkmcnt(4)
	v_sub_f32_e32 v2, v10, v2
	v_mul_f32_e32 v2, v18, v2
	s_waitcnt lgkmcnt(3)
	v_mul_f32_e32 v5, v2, v4
	ds_bpermute_b32 v4, v97, v42 offset:8
	s_waitcnt lgkmcnt(3)
	v_sub_f32_e32 v2, v11, v7
	v_mul_f32_e32 v2, v19, v2
	s_waitcnt lgkmcnt(2)
	v_mul_f32_e32 v7, v2, v6
	s_waitcnt lgkmcnt(1)
	v_sub_f32_e32 v2, v12, v8
	ds_bpermute_b32 v6, v97, v43 offset:12
	v_mul_f32_e32 v2, v20, v2
	s_waitcnt lgkmcnt(1)
	v_mul_f32_e32 v9, v2, v4
	ds_bpermute_b32 v2, v97, v42 offset:12
	ds_bpermute_b32 v4, v97, v43 offset:16
	;; [unrolled: 1-line block ×3, first 2 shown]
	s_waitcnt lgkmcnt(3)
	v_sub_f32_e32 v6, v13, v6
	v_mul_f32_e32 v6, v21, v6
	s_waitcnt lgkmcnt(2)
	v_mul_f32_e32 v11, v6, v2
	s_waitcnt lgkmcnt(1)
	v_sub_f32_e32 v2, v14, v4
	ds_bpermute_b32 v4, v97, v43 offset:20
	v_mul_f32_e32 v2, v22, v2
	s_waitcnt lgkmcnt(1)
	v_mul_f32_e32 v13, v2, v8
	ds_bpermute_b32 v2, v97, v42 offset:20
	ds_bpermute_b32 v6, v97, v43 offset:24
	;; [unrolled: 1-line block ×3, first 2 shown]
	s_waitcnt lgkmcnt(3)
	v_sub_f32_e32 v4, v15, v4
	v_mul_f32_e32 v4, v23, v4
	s_waitcnt lgkmcnt(2)
	v_mul_f32_e32 v15, v4, v2
	s_waitcnt lgkmcnt(1)
	v_sub_f32_e32 v2, v16, v6
	v_mul_f32_e32 v2, v24, v2
	s_waitcnt lgkmcnt(0)
	v_mul_f32_e32 v99, v2, v8
	v_mov_b32_e32 v4, v18
	ds_bpermute_b32 v2, v97, v43 offset:28
	v_pk_add_f32 v[4:5], v[92:93], v[4:5]
	v_mov_b32_e32 v6, v19
	v_pk_add_f32 v[4:5], v[6:7], v[4:5]
	v_mov_b32_e32 v8, v20
	ds_bpermute_b32 v6, v97, v42 offset:28
	v_pk_add_f32 v[4:5], v[8:9], v[4:5]
	v_mov_b32_e32 v10, v21
	v_pk_add_f32 v[4:5], v[10:11], v[4:5]
	v_mov_b32_e32 v12, v22
	;; [unrolled: 2-line block ×3, first 2 shown]
	s_waitcnt lgkmcnt(1)
	v_sub_f32_e32 v2, v17, v2
	v_pk_add_f32 v[4:5], v[14:15], v[4:5]
	v_mov_b32_e32 v98, v24
	v_mul_f32_e32 v2, v25, v2
	v_pk_add_f32 v[4:5], v[98:99], v[4:5]
	s_waitcnt lgkmcnt(0)
	v_mul_f32_e32 v7, v2, v6
	v_mov_b32_e32 v6, v25
	v_pk_add_f32 v[42:43], v[6:7], v[4:5]
	s_branch .LBB92_54
.LBB92_77:                              ;   in Loop: Header=BB92_55 Depth=1
                                        ; implicit-def: $vgpr43
	s_cbranch_execz .LBB92_54
; %bb.78:                               ;   in Loop: Header=BB92_55 Depth=1
	s_load_dword s17, s[4:5], 0x0
	v_mov_b32_e32 v6, 0
	v_mov_b32_e32 v7, 0
	s_waitcnt lgkmcnt(0)
	s_cmp_lt_u32 s2, s17
	s_cselect_b32 s17, 12, 18
	s_add_u32 s18, s4, s17
	s_addc_u32 s19, s5, 0
	global_load_ushort v2, v3, s[18:19]
	s_waitcnt vmcnt(0)
	v_mad_u32_u24 v2, v96, v2, v1
	v_and_b32_e32 v2, 63, v2
	v_cmp_gt_u32_e32 vcc, 8, v2
	s_and_saveexec_b64 s[18:19], vcc
	s_cbranch_execz .LBB92_53
; %bb.79:                               ;   in Loop: Header=BB92_55 Depth=1
	v_lshl_add_u64 v[4:5], v[94:95], 0, v[2:3]
	v_lshl_add_u64 v[4:5], v[4:5], 0, s[12:13]
	v_cmp_gt_i64_e32 vcc, s[8:9], v[4:5]
	v_mov_b32_e32 v7, 0
	v_mov_b32_e32 v6, 0
	s_and_saveexec_b64 s[20:21], vcc
	s_cbranch_execz .LBB92_52
; %bb.80:                               ;   in Loop: Header=BB92_55 Depth=1
	v_lshlrev_b64 v[4:5], 2, v[4:5]
	v_lshl_add_u64 v[8:9], s[26:27], 0, v[4:5]
	v_lshl_add_u64 v[4:5], s[24:25], 0, v[4:5]
	global_load_dword v7, v[4:5], off
	global_load_dword v6, v[8:9], off
	s_branch .LBB92_52
.LBB92_81:
	v_and_b32_e32 v2, 0x3ff, v0
	v_bfe_u32 v0, v0, 10, 10
	v_mad_u32_u24 v1, v0, 33, v2
	v_lshl_add_u32 v3, v1, 2, 0
	v_sub_u32_e32 v1, v1, v0
	s_movk_i32 s4, 0x800
	s_mov_b32 s3, 0
	v_cmp_gt_u32_e32 vcc, s4, v1
	ds_write_b32 v3, v43
	ds_write_b32 v3, v42 offset:4224
	s_waitcnt lgkmcnt(0)
	s_barrier
	s_and_saveexec_b64 s[4:5], vcc
	s_cbranch_execz .LBB92_91
; %bb.82:
	v_mbcnt_lo_u32_b32 v3, -1, 0
	v_mbcnt_hi_u32_b32 v3, -1, v3
	v_and_b32_e32 v4, 64, v3
	v_add_u32_e32 v4, 64, v4
	v_cmp_eq_u32_e64 s[4:5], 0, v2
	v_xor_b32_e32 v2, 16, v3
	v_cmp_lt_i32_e32 vcc, v2, v4
	s_load_dwordx4 s[16:19], s[0:1], 0x30
	s_lshl_b64 s[8:9], s[2:3], 5
	v_cndmask_b32_e32 v2, v3, v2, vcc
	v_lshlrev_b32_e32 v8, 2, v2
	v_xor_b32_e32 v2, 8, v3
	v_cmp_lt_i32_e32 vcc, v2, v4
	v_lshrrev_b32_e32 v0, 6, v1
	v_and_b32_e32 v6, 63, v1
	v_cndmask_b32_e32 v2, v3, v2, vcc
	v_lshlrev_b32_e32 v9, 2, v2
	v_xor_b32_e32 v2, 4, v3
	v_cmp_lt_i32_e32 vcc, v2, v4
	s_waitcnt lgkmcnt(0)
	s_cmp_lg_u64 s[16:17], 0
	v_cmp_gt_u32_e64 s[0:1], 32, v6
	v_cndmask_b32_e32 v2, v3, v2, vcc
	v_lshlrev_b32_e32 v10, 2, v2
	v_xor_b32_e32 v2, 2, v3
	v_cmp_lt_i32_e32 vcc, v2, v4
	v_mov_b32_e32 v1, 0
	s_cselect_b64 s[6:7], -1, 0
	v_cndmask_b32_e32 v2, v3, v2, vcc
	v_lshlrev_b32_e32 v11, 2, v2
	v_xor_b32_e32 v2, 1, v3
	v_cmp_lt_i32_e32 vcc, v2, v4
	s_cmp_lg_u64 s[18:19], 0
	v_mad_u32_u24 v6, v6, 33, v0
	v_cndmask_b32_e32 v2, v3, v2, vcc
	s_cselect_b64 s[14:15], -1, 0
	v_lshlrev_b32_e32 v12, 2, v2
	s_lshl_b64 s[2:3], s[2:3], 6
	v_lshlrev_b32_e32 v2, 1, v0
	v_mov_b32_e32 v3, v1
	v_lshl_add_u32 v13, v6, 2, 0
	v_cndmask_b32_e64 v6, 0, 1, s[6:7]
	v_lshl_add_u64 v[4:5], s[2:3], 0, v[2:3]
	v_cmp_ne_u32_e64 s[2:3], 1, v6
	v_cndmask_b32_e64 v6, 0, 1, s[14:15]
	s_mov_b64 s[12:13], 0
	v_lshl_add_u64 v[2:3], s[18:19], 0, v[4:5]
	v_lshl_add_u64 v[4:5], s[16:17], 0, v[4:5]
	v_cmp_ne_u32_e64 s[6:7], 1, v6
                                        ; implicit-def: $vgpr6
	s_branch .LBB92_84
.LBB92_83:                              ;   in Loop: Header=BB92_84 Depth=1
	s_or_b64 exec, exec, s[14:15]
	v_lshl_add_u64 v[0:1], v[0:1], 0, 16
	v_add_u32_e32 v14, -16, v0
	v_cmp_lt_u32_e32 vcc, 15, v14
	v_lshl_add_u64 v[2:3], v[2:3], 0, 32
	v_lshl_add_u64 v[4:5], v[4:5], 0, 32
	s_or_b64 s[12:13], vcc, s[12:13]
	v_add_u32_e32 v13, 64, v13
	s_andn2_b64 exec, exec, s[12:13]
	s_cbranch_execz .LBB92_91
.LBB92_84:                              ; =>This Inner Loop Header: Depth=1
	s_and_saveexec_b64 s[14:15], s[0:1]
	s_cbranch_execz .LBB92_86
; %bb.85:                               ;   in Loop: Header=BB92_84 Depth=1
	ds_read_b32 v7, v13
	ds_read_b32 v6, v13 offset:4224
.LBB92_86:                              ;   in Loop: Header=BB92_84 Depth=1
	s_or_b64 exec, exec, s[14:15]
	s_waitcnt lgkmcnt(1)
	ds_bpermute_b32 v15, v8, v7
	s_waitcnt lgkmcnt(1)
	ds_bpermute_b32 v14, v8, v6
	v_lshl_add_u64 v[16:17], s[8:9], 0, v[0:1]
	v_cmp_gt_i64_e32 vcc, s[10:11], v[16:17]
	s_and_b64 s[16:17], s[4:5], vcc
	s_waitcnt lgkmcnt(0)
	v_pk_add_f32 v[6:7], v[6:7], v[14:15]
	ds_bpermute_b32 v15, v9, v7
	ds_bpermute_b32 v14, v9, v6
	s_waitcnt lgkmcnt(0)
	v_pk_add_f32 v[6:7], v[6:7], v[14:15]
	ds_bpermute_b32 v15, v10, v7
	ds_bpermute_b32 v14, v10, v6
	;; [unrolled: 4-line block ×4, first 2 shown]
	s_waitcnt lgkmcnt(0)
	v_pk_add_f32 v[6:7], v[6:7], v[14:15]
	s_and_saveexec_b64 s[14:15], s[16:17]
	s_cbranch_execz .LBB92_83
; %bb.87:                               ;   in Loop: Header=BB92_84 Depth=1
	s_and_b64 vcc, exec, s[2:3]
	s_cbranch_vccnz .LBB92_89
; %bb.88:                               ;   in Loop: Header=BB92_84 Depth=1
	v_cvt_f16_f32_e32 v14, v7
	global_store_short v[4:5], v14, off
.LBB92_89:                              ;   in Loop: Header=BB92_84 Depth=1
	s_and_b64 vcc, exec, s[6:7]
	s_cbranch_vccnz .LBB92_83
; %bb.90:                               ;   in Loop: Header=BB92_84 Depth=1
	v_cvt_f16_f32_e32 v14, v6
	global_store_short v[2:3], v14, off
	s_branch .LBB92_83
.LBB92_91:
	s_endpgm
	.section	.rodata,"a",@progbits
	.p2align	6, 0x0
	.amdhsa_kernel _ZN2at6native12_GLOBAL__N_135GammaBetaBackwardCUDAKernelTemplateIN3c104HalfEfLj32ELj32ELj256ELb0ELb0ELb0EEEvllPKT_S7_PKT0_SA_PS5_SB_
		.amdhsa_group_segment_fixed_size 0
		.amdhsa_private_segment_fixed_size 0
		.amdhsa_kernarg_size 320
		.amdhsa_user_sgpr_count 2
		.amdhsa_user_sgpr_dispatch_ptr 0
		.amdhsa_user_sgpr_queue_ptr 0
		.amdhsa_user_sgpr_kernarg_segment_ptr 1
		.amdhsa_user_sgpr_dispatch_id 0
		.amdhsa_user_sgpr_kernarg_preload_length 0
		.amdhsa_user_sgpr_kernarg_preload_offset 0
		.amdhsa_user_sgpr_private_segment_size 0
		.amdhsa_uses_dynamic_stack 0
		.amdhsa_enable_private_segment 0
		.amdhsa_system_sgpr_workgroup_id_x 1
		.amdhsa_system_sgpr_workgroup_id_y 1
		.amdhsa_system_sgpr_workgroup_id_z 0
		.amdhsa_system_sgpr_workgroup_info 0
		.amdhsa_system_vgpr_workitem_id 1
		.amdhsa_next_free_vgpr 105
		.amdhsa_next_free_sgpr 58
		.amdhsa_accum_offset 108
		.amdhsa_reserve_vcc 1
		.amdhsa_float_round_mode_32 0
		.amdhsa_float_round_mode_16_64 0
		.amdhsa_float_denorm_mode_32 3
		.amdhsa_float_denorm_mode_16_64 3
		.amdhsa_dx10_clamp 1
		.amdhsa_ieee_mode 1
		.amdhsa_fp16_overflow 0
		.amdhsa_tg_split 0
		.amdhsa_exception_fp_ieee_invalid_op 0
		.amdhsa_exception_fp_denorm_src 0
		.amdhsa_exception_fp_ieee_div_zero 0
		.amdhsa_exception_fp_ieee_overflow 0
		.amdhsa_exception_fp_ieee_underflow 0
		.amdhsa_exception_fp_ieee_inexact 0
		.amdhsa_exception_int_div_zero 0
	.end_amdhsa_kernel
	.section	.text._ZN2at6native12_GLOBAL__N_135GammaBetaBackwardCUDAKernelTemplateIN3c104HalfEfLj32ELj32ELj256ELb0ELb0ELb0EEEvllPKT_S7_PKT0_SA_PS5_SB_,"axG",@progbits,_ZN2at6native12_GLOBAL__N_135GammaBetaBackwardCUDAKernelTemplateIN3c104HalfEfLj32ELj32ELj256ELb0ELb0ELb0EEEvllPKT_S7_PKT0_SA_PS5_SB_,comdat
.Lfunc_end92:
	.size	_ZN2at6native12_GLOBAL__N_135GammaBetaBackwardCUDAKernelTemplateIN3c104HalfEfLj32ELj32ELj256ELb0ELb0ELb0EEEvllPKT_S7_PKT0_SA_PS5_SB_, .Lfunc_end92-_ZN2at6native12_GLOBAL__N_135GammaBetaBackwardCUDAKernelTemplateIN3c104HalfEfLj32ELj32ELj256ELb0ELb0ELb0EEEvllPKT_S7_PKT0_SA_PS5_SB_
                                        ; -- End function
	.section	.AMDGPU.csdata,"",@progbits
; Kernel info:
; codeLenInByte = 7668
; NumSgprs: 64
; NumVgprs: 105
; NumAgprs: 0
; TotalNumVgprs: 105
; ScratchSize: 0
; MemoryBound: 0
; FloatMode: 240
; IeeeMode: 1
; LDSByteSize: 0 bytes/workgroup (compile time only)
; SGPRBlocks: 7
; VGPRBlocks: 13
; NumSGPRsForWavesPerEU: 64
; NumVGPRsForWavesPerEU: 105
; AccumOffset: 108
; Occupancy: 4
; WaveLimiterHint : 0
; COMPUTE_PGM_RSRC2:SCRATCH_EN: 0
; COMPUTE_PGM_RSRC2:USER_SGPR: 2
; COMPUTE_PGM_RSRC2:TRAP_HANDLER: 0
; COMPUTE_PGM_RSRC2:TGID_X_EN: 1
; COMPUTE_PGM_RSRC2:TGID_Y_EN: 1
; COMPUTE_PGM_RSRC2:TGID_Z_EN: 0
; COMPUTE_PGM_RSRC2:TIDIG_COMP_CNT: 1
; COMPUTE_PGM_RSRC3_GFX90A:ACCUM_OFFSET: 26
; COMPUTE_PGM_RSRC3_GFX90A:TG_SPLIT: 0
	.section	.text._ZN2at6native12_GLOBAL__N_118cuComputeGradInputIN3c108BFloat16EfLb0EEEvPKT_S7_llPKT0_SA_S7_PS5_,"axG",@progbits,_ZN2at6native12_GLOBAL__N_118cuComputeGradInputIN3c108BFloat16EfLb0EEEvPKT_S7_llPKT0_SA_S7_PS5_,comdat
	.globl	_ZN2at6native12_GLOBAL__N_118cuComputeGradInputIN3c108BFloat16EfLb0EEEvPKT_S7_llPKT0_SA_S7_PS5_ ; -- Begin function _ZN2at6native12_GLOBAL__N_118cuComputeGradInputIN3c108BFloat16EfLb0EEEvPKT_S7_llPKT0_SA_S7_PS5_
	.p2align	8
	.type	_ZN2at6native12_GLOBAL__N_118cuComputeGradInputIN3c108BFloat16EfLb0EEEvPKT_S7_llPKT0_SA_S7_PS5_,@function
_ZN2at6native12_GLOBAL__N_118cuComputeGradInputIN3c108BFloat16EfLb0EEEvPKT_S7_llPKT0_SA_S7_PS5_: ; @_ZN2at6native12_GLOBAL__N_118cuComputeGradInputIN3c108BFloat16EfLb0EEEvPKT_S7_llPKT0_SA_S7_PS5_
; %bb.0:
	s_load_dwordx4 s[24:27], s[0:1], 0x10
	s_mov_b32 s14, s3
	s_ashr_i32 s15, s3, 31
	s_waitcnt lgkmcnt(0)
	v_mov_b64_e32 v[2:3], s[24:25]
	v_cmp_ge_i64_e32 vcc, s[14:15], v[2:3]
	s_cbranch_vccnz .LBB93_47
; %bb.1:
	s_load_dword s2, s[0:1], 0x4c
	s_load_dword s33, s[0:1], 0x44
	s_load_dwordx4 s[28:31], s[0:1], 0x0
	s_load_dwordx8 s[16:23], s[0:1], 0x20
	s_flbit_i32 s0, s27
	s_waitcnt lgkmcnt(0)
	s_lshr_b32 s46, s2, 16
	s_and_b32 s47, s2, 0xffff
	v_cmp_gt_u16_e64 s[34:35], s2, 1
	s_cmp_lg_u64 s[20:21], 0
	s_cselect_b64 s[6:7], -1, 0
	s_xor_b32 s1, s26, s27
	s_ashr_i32 s1, s1, 31
	s_add_i32 s0, s0, -1
	s_add_i32 s1, s1, 32
	s_min_u32 s2, s0, s1
	s_lshl_b64 s[0:1], s[26:27], s2
	s_min_u32 s0, s0, 1
	s_or_b32 s0, s1, s0
	v_cvt_f32_i32_e32 v1, s0
	s_sub_i32 s0, 32, s2
	v_and_b32_e32 v14, 0x3ff, v0
	v_bfe_u32 v15, v0, 10, 10
	v_ldexp_f32 v2, v1, s0
	v_div_scale_f32 v1, s[0:1], v2, v2, 1.0
	v_rcp_f32_e32 v4, v1
	v_mad_u32_u24 v0, v15, s47, v14
	v_lshlrev_b32_e32 v3, 3, v0
	s_mul_i32 s48, s46, s47
	v_fma_f32 v5, -v1, v4, 1.0
	v_fmac_f32_e32 v4, v5, v4
	v_div_scale_f32 v5, vcc, 1.0, v2, 1.0
	v_mul_f32_e32 v6, v5, v4
	v_fma_f32 v7, -v1, v6, v5
	v_fmac_f32_e32 v6, v7, v4
	v_fma_f32 v1, -v1, v6, v5
	v_div_fmas_f32 v1, v1, v4, v6
	v_cndmask_b32_e64 v4, 0, 1, s[6:7]
	v_cmp_gt_i64_e64 s[6:7], s[26:27], 0
	v_lshlrev_b32_e32 v8, 3, v14
	v_div_fixup_f32 v16, v1, v2, 1.0
	v_mov_b32_e32 v1, 0
	v_cndmask_b32_e64 v5, 0, 1, s[6:7]
	v_add_u32_e32 v18, 0, v3
	v_mbcnt_lo_u32_b32 v3, -1, 0
	v_cmp_gt_u16_e64 s[36:37], s46, 1
	s_mov_b32 s38, 0
	v_cmp_eq_u32_e64 s[0:1], 0, v15
	v_cmp_ne_u32_e64 s[2:3], 0, v15
	v_cmp_gt_i64_e64 s[4:5], s[26:27], v[0:1]
	v_add_u32_e32 v17, s48, v0
	s_movk_i32 s49, 0x7fff
	v_cmp_ne_u32_e64 s[6:7], 1, v4
	v_cmp_ne_u32_e64 s[8:9], 1, v5
	v_mov_b64_e32 v[4:5], s[26:27]
	v_mov_b64_e32 v[6:7], s[26:27]
	v_mbcnt_hi_u32_b32 v19, -1, v3
	v_add_u32_e32 v20, 0, v8
	v_mov_b32_e32 v21, 0x7fc0
	s_branch .LBB93_4
.LBB93_2:                               ;   in Loop: Header=BB93_4 Depth=1
	s_or_b64 exec, exec, s[12:13]
.LBB93_3:                               ;   in Loop: Header=BB93_4 Depth=1
	s_add_i32 s14, s33, s14
	s_ashr_i32 s15, s14, 31
	v_mov_b64_e32 v[8:9], s[24:25]
	v_cmp_ge_i64_e32 vcc, s[14:15], v[8:9]
	s_barrier
	s_cbranch_vccnz .LBB93_47
.LBB93_4:                               ; =>This Loop Header: Depth=1
                                        ;     Child Loop BB93_8 Depth 2
                                        ;     Child Loop BB93_19 Depth 2
                                        ;     Child Loop BB93_25 Depth 2
                                        ;     Child Loop BB93_27 Depth 2
                                        ;     Child Loop BB93_41 Depth 2
                                        ;     Child Loop BB93_46 Depth 2
	s_mul_i32 s10, s14, s27
	s_mul_hi_u32 s11, s14, s26
	s_add_i32 s10, s11, s10
	s_mul_i32 s11, s15, s26
	s_add_i32 s11, s10, s11
	s_lshl_b64 s[12:13], s[14:15], 2
	s_add_u32 s40, s16, s12
	s_addc_u32 s41, s17, s13
	s_add_u32 s12, s18, s12
	s_mul_i32 s10, s14, s26
	s_addc_u32 s13, s19, s13
	s_load_dword s15, s[40:41], 0x0
	s_load_dword s50, s[12:13], 0x0
	s_lshl_b64 s[44:45], s[10:11], 1
	s_add_u32 s40, s30, s44
	s_addc_u32 s41, s31, s45
	s_add_u32 s42, s28, s44
	s_addc_u32 s43, s29, s45
	s_and_b64 vcc, exec, s[6:7]
	s_cbranch_vccnz .LBB93_15
; %bb.5:                                ;   in Loop: Header=BB93_4 Depth=1
	s_mov_b32 s39, s38
	s_and_b64 vcc, exec, s[8:9]
	v_mov_b64_e32 v[8:9], s[38:39]
	s_cbranch_vccnz .LBB93_14
; %bb.6:                                ;   in Loop: Header=BB93_4 Depth=1
	v_mov_b32_e32 v8, 0
	s_mov_b32 s10, 0
	v_mov_b32_e32 v9, v8
	s_branch .LBB93_8
.LBB93_7:                               ;   in Loop: Header=BB93_8 Depth=2
	s_or_b64 exec, exec, s[12:13]
	s_waitcnt vmcnt(0)
	v_lshlrev_b32_e32 v10, 16, v12
	v_lshlrev_b32_e32 v3, 16, v3
	;; [unrolled: 1-line block ×3, first 2 shown]
	s_waitcnt lgkmcnt(0)
	v_subrev_f32_e32 v12, s15, v10
	v_mul_f32_e32 v10, v3, v11
	s_add_i32 s10, s10, s48
	v_mul_f32_e32 v3, v12, v10
	s_ashr_i32 s11, s10, 31
	v_mul_f32_e32 v11, s50, v3
	v_cmp_ge_i64_e32 vcc, s[10:11], v[4:5]
	v_pk_add_f32 v[8:9], v[8:9], v[10:11]
	s_cbranch_vccnz .LBB93_14
.LBB93_8:                               ;   Parent Loop BB93_4 Depth=1
                                        ; =>  This Inner Loop Header: Depth=2
	v_add_u32_e32 v10, s10, v0
	v_ashrrev_i32_e32 v11, 31, v10
	v_cmp_gt_i64_e32 vcc, s[26:27], v[10:11]
	v_mov_b32_e32 v3, 0
	s_and_saveexec_b64 s[12:13], vcc
	s_cbranch_execnz .LBB93_11
; %bb.9:                                ;   in Loop: Header=BB93_8 Depth=2
	s_or_b64 exec, exec, s[12:13]
	v_mov_b32_e32 v12, 0
	s_and_saveexec_b64 s[12:13], vcc
	s_cbranch_execnz .LBB93_12
.LBB93_10:                              ;   in Loop: Header=BB93_8 Depth=2
	s_or_b64 exec, exec, s[12:13]
	v_mov_b32_e32 v13, 0
	s_and_saveexec_b64 s[12:13], vcc
	s_cbranch_execz .LBB93_7
	s_branch .LBB93_13
.LBB93_11:                              ;   in Loop: Header=BB93_8 Depth=2
	v_lshl_add_u64 v[12:13], v[10:11], 1, s[20:21]
	global_load_ushort v3, v[12:13], off
	s_or_b64 exec, exec, s[12:13]
	v_mov_b32_e32 v12, 0
	s_and_saveexec_b64 s[12:13], vcc
	s_cbranch_execz .LBB93_10
.LBB93_12:                              ;   in Loop: Header=BB93_8 Depth=2
	v_lshl_add_u64 v[12:13], v[10:11], 1, s[40:41]
	global_load_ushort v12, v[12:13], off
	s_or_b64 exec, exec, s[12:13]
	v_mov_b32_e32 v13, 0
	s_and_saveexec_b64 s[12:13], vcc
	s_cbranch_execz .LBB93_7
.LBB93_13:                              ;   in Loop: Header=BB93_8 Depth=2
	v_lshl_add_u64 v[10:11], v[10:11], 1, s[42:43]
	global_load_ushort v13, v[10:11], off
	s_branch .LBB93_7
.LBB93_14:                              ;   in Loop: Header=BB93_4 Depth=1
	s_cbranch_execz .LBB93_16
	s_branch .LBB93_23
.LBB93_15:                              ;   in Loop: Header=BB93_4 Depth=1
                                        ; implicit-def: $vgpr8_vgpr9
.LBB93_16:                              ;   in Loop: Header=BB93_4 Depth=1
	s_mov_b32 s39, s38
	s_and_b64 vcc, exec, s[8:9]
	v_mov_b64_e32 v[8:9], s[38:39]
	s_cbranch_vccnz .LBB93_23
; %bb.17:                               ;   in Loop: Header=BB93_4 Depth=1
	v_mov_b32_e32 v8, 0
	s_mov_b32 s10, 0
	v_mov_b32_e32 v9, v8
	s_branch .LBB93_19
.LBB93_18:                              ;   in Loop: Header=BB93_19 Depth=2
	s_or_b64 exec, exec, s[12:13]
	s_waitcnt vmcnt(0)
	v_lshlrev_b32_e32 v3, 16, v3
	v_lshlrev_b32_e32 v10, 16, v12
	s_waitcnt lgkmcnt(0)
	v_subrev_f32_e32 v3, s15, v3
	s_add_i32 s10, s10, s48
	v_mul_f32_e32 v3, v3, v10
	s_ashr_i32 s11, s10, 31
	v_mul_f32_e32 v11, s50, v3
	v_cmp_ge_i64_e32 vcc, s[10:11], v[6:7]
	v_pk_add_f32 v[8:9], v[8:9], v[10:11]
	s_cbranch_vccnz .LBB93_23
.LBB93_19:                              ;   Parent Loop BB93_4 Depth=1
                                        ; =>  This Inner Loop Header: Depth=2
	v_add_u32_e32 v10, s10, v0
	v_ashrrev_i32_e32 v11, 31, v10
	v_cmp_gt_i64_e32 vcc, s[26:27], v[10:11]
	v_mov_b32_e32 v3, 0
	s_and_saveexec_b64 s[12:13], vcc
	s_cbranch_execz .LBB93_21
; %bb.20:                               ;   in Loop: Header=BB93_19 Depth=2
	v_lshl_add_u64 v[12:13], v[10:11], 1, s[40:41]
	global_load_ushort v3, v[12:13], off
.LBB93_21:                              ;   in Loop: Header=BB93_19 Depth=2
	s_or_b64 exec, exec, s[12:13]
	v_mov_b32_e32 v12, 0
	s_and_saveexec_b64 s[12:13], vcc
	s_cbranch_execz .LBB93_18
; %bb.22:                               ;   in Loop: Header=BB93_19 Depth=2
	v_lshl_add_u64 v[10:11], v[10:11], 1, s[42:43]
	global_load_ushort v12, v[10:11], off
	s_branch .LBB93_18
.LBB93_23:                              ;   in Loop: Header=BB93_4 Depth=1
	s_andn2_b64 vcc, exec, s[34:35]
	s_cbranch_vccnz .LBB93_26
; %bb.24:                               ;   in Loop: Header=BB93_4 Depth=1
	v_and_b32_e32 v3, 64, v19
	v_add_u32_e32 v3, 64, v3
	s_mov_b32 s10, s47
.LBB93_25:                              ;   Parent Loop BB93_4 Depth=1
                                        ; =>  This Inner Loop Header: Depth=2
	s_lshr_b32 s11, s10, 1
	v_xor_b32_e32 v10, s11, v19
	v_cmp_lt_i32_e32 vcc, v10, v3
	s_cmp_lt_u32 s10, 4
	s_mov_b32 s10, s11
	v_cndmask_b32_e32 v10, v19, v10, vcc
	v_lshlrev_b32_e32 v11, 2, v10
	ds_bpermute_b32 v10, v11, v8
	ds_bpermute_b32 v11, v11, v9
	s_waitcnt lgkmcnt(0)
	v_pk_add_f32 v[8:9], v[8:9], v[10:11]
	s_cbranch_scc0 .LBB93_25
.LBB93_26:                              ;   in Loop: Header=BB93_4 Depth=1
	s_andn2_b64 vcc, exec, s[36:37]
	s_mov_b32 s39, s46
	s_cbranch_vccnz .LBB93_38
.LBB93_27:                              ;   Parent Loop BB93_4 Depth=1
                                        ; =>  This Inner Loop Header: Depth=2
	s_lshr_b32 s51, s39, 1
	s_and_b32 s12, s39, 0xfffe
	v_cmp_le_u32_e64 s[10:11], s51, v15
	v_cmp_gt_u32_e64 s[12:13], s12, v15
	v_cmp_gt_u32_e32 vcc, s51, v15
	s_and_b64 s[12:13], s[10:11], s[12:13]
	s_and_saveexec_b64 s[10:11], s[12:13]
	s_cbranch_execz .LBB93_29
; %bb.28:                               ;   in Loop: Header=BB93_27 Depth=2
	v_subrev_u32_e32 v3, s51, v15
	v_mad_i32_i24 v3, v3, s47, v14
	v_lshl_add_u32 v3, v3, 3, 0
	ds_write_b64 v3, v[8:9]
.LBB93_29:                              ;   in Loop: Header=BB93_27 Depth=2
	s_or_b64 exec, exec, s[10:11]
	s_waitcnt lgkmcnt(0)
	s_barrier
	s_and_saveexec_b64 s[10:11], vcc
	s_cbranch_execz .LBB93_31
; %bb.30:                               ;   in Loop: Header=BB93_27 Depth=2
	ds_read_b64 v[10:11], v18
	s_waitcnt lgkmcnt(0)
	v_pk_add_f32 v[8:9], v[8:9], v[10:11]
.LBB93_31:                              ;   in Loop: Header=BB93_27 Depth=2
	s_or_b64 exec, exec, s[10:11]
	s_cmp_lt_u32 s39, 4
	s_barrier
	s_cbranch_scc1 .LBB93_33
; %bb.32:                               ;   in Loop: Header=BB93_27 Depth=2
	s_mov_b32 s39, s51
	s_branch .LBB93_27
.LBB93_33:                              ;   in Loop: Header=BB93_4 Depth=1
	s_and_saveexec_b64 s[10:11], s[0:1]
	s_cbranch_execz .LBB93_35
; %bb.34:                               ;   in Loop: Header=BB93_4 Depth=1
	ds_write_b64 v20, v[8:9]
.LBB93_35:                              ;   in Loop: Header=BB93_4 Depth=1
	s_or_b64 exec, exec, s[10:11]
	s_waitcnt lgkmcnt(0)
	s_barrier
	s_and_saveexec_b64 s[10:11], s[2:3]
	s_cbranch_execz .LBB93_37
; %bb.36:                               ;   in Loop: Header=BB93_4 Depth=1
	ds_read_b64 v[8:9], v20
.LBB93_37:                              ;   in Loop: Header=BB93_4 Depth=1
	s_or_b64 exec, exec, s[10:11]
.LBB93_38:                              ;   in Loop: Header=BB93_4 Depth=1
	s_add_u32 s10, s22, s44
	s_addc_u32 s11, s23, s45
	s_and_b64 vcc, exec, s[6:7]
	s_waitcnt lgkmcnt(0)
	v_mul_f32_e32 v22, s50, v16
	s_cbranch_vccnz .LBB93_43
; %bb.39:                               ;   in Loop: Header=BB93_4 Depth=1
	s_and_saveexec_b64 s[12:13], s[4:5]
	s_cbranch_execz .LBB93_42
; %bb.40:                               ;   in Loop: Header=BB93_4 Depth=1
	s_mov_b64 s[44:45], 0
	v_mov_b64_e32 v[10:11], v[0:1]
.LBB93_41:                              ;   Parent Loop BB93_4 Depth=1
                                        ; =>  This Inner Loop Header: Depth=2
	v_lshlrev_b64 v[12:13], 1, v[10:11]
	v_lshl_add_u64 v[24:25], s[40:41], 0, v[12:13]
	v_lshl_add_u64 v[26:27], s[42:43], 0, v[12:13]
	v_lshl_add_u64 v[28:29], s[20:21], 0, v[12:13]
	global_load_ushort v3, v[24:25], off
	global_load_ushort v23, v[26:27], off
	;; [unrolled: 1-line block ×3, first 2 shown]
	v_add_u32_e32 v10, s48, v10
	v_ashrrev_i32_e32 v11, 31, v10
	v_cmp_le_i64_e32 vcc, s[26:27], v[10:11]
	s_or_b64 s[44:45], vcc, s[44:45]
	v_lshl_add_u64 v[12:13], s[10:11], 0, v[12:13]
	s_waitcnt vmcnt(2)
	v_lshlrev_b32_e32 v3, 16, v3
	s_waitcnt vmcnt(1)
	v_lshlrev_b32_e32 v23, 16, v23
	;; [unrolled: 2-line block ×3, first 2 shown]
	v_mul_f32_e32 v23, v2, v23
	v_subrev_f32_e32 v3, s15, v3
	v_fma_f32 v23, v23, v24, -v8
	v_mul_f32_e32 v3, s50, v3
	v_fma_f32 v3, -v9, v3, v23
	v_mul_f32_e32 v3, v22, v3
	v_bfe_u32 v23, v3, 16, 1
	v_add3_u32 v23, v3, v23, s49
	v_lshrrev_b32_e32 v23, 16, v23
	v_cmp_o_f32_e32 vcc, v3, v3
	s_nop 1
	v_cndmask_b32_e32 v3, v21, v23, vcc
	global_store_short v[12:13], v3, off
	s_andn2_b64 exec, exec, s[44:45]
	s_cbranch_execnz .LBB93_41
.LBB93_42:                              ;   in Loop: Header=BB93_4 Depth=1
	s_or_b64 exec, exec, s[12:13]
	s_cbranch_execnz .LBB93_3
	s_branch .LBB93_44
.LBB93_43:                              ;   in Loop: Header=BB93_4 Depth=1
.LBB93_44:                              ;   in Loop: Header=BB93_4 Depth=1
	s_and_saveexec_b64 s[12:13], s[4:5]
	s_cbranch_execz .LBB93_2
; %bb.45:                               ;   in Loop: Header=BB93_4 Depth=1
	v_mov_b32_e32 v3, s50
	s_mov_b64 s[44:45], 0
	v_mov_b32_e32 v10, v17
	v_mov_b64_e32 v[12:13], v[0:1]
.LBB93_46:                              ;   Parent Loop BB93_4 Depth=1
                                        ; =>  This Inner Loop Header: Depth=2
	v_lshlrev_b64 v[12:13], 1, v[12:13]
	v_lshl_add_u64 v[24:25], s[40:41], 0, v[12:13]
	v_lshl_add_u64 v[26:27], s[42:43], 0, v[12:13]
	global_load_ushort v23, v[24:25], off
	global_load_ushort v28, v[26:27], off
	v_ashrrev_i32_e32 v11, 31, v10
	v_lshl_add_u64 v[24:25], s[10:11], 0, v[12:13]
	v_mov_b64_e32 v[12:13], v[10:11]
	v_cmp_le_i64_e32 vcc, s[26:27], v[10:11]
	s_or_b64 s[44:45], vcc, s[44:45]
	v_add_u32_e32 v10, s48, v10
	s_waitcnt vmcnt(1)
	v_lshlrev_b32_e32 v11, 16, v23
	s_waitcnt vmcnt(0)
	v_lshlrev_b32_e32 v26, 16, v28
	v_subrev_f32_e32 v27, s15, v11
	v_pk_mul_f32 v[26:27], v[2:3], v[26:27]
	s_nop 0
	v_sub_f32_e32 v11, v26, v8
	v_fma_f32 v11, -v27, v9, v11
	v_mul_f32_e32 v11, v22, v11
	v_bfe_u32 v23, v11, 16, 1
	v_add3_u32 v23, v11, v23, s49
	v_lshrrev_b32_e32 v23, 16, v23
	v_cmp_o_f32_e32 vcc, v11, v11
	s_nop 1
	v_cndmask_b32_e32 v11, v21, v23, vcc
	global_store_short v[24:25], v11, off
	s_andn2_b64 exec, exec, s[44:45]
	s_cbranch_execnz .LBB93_46
	s_branch .LBB93_2
.LBB93_47:
	s_endpgm
	.section	.rodata,"a",@progbits
	.p2align	6, 0x0
	.amdhsa_kernel _ZN2at6native12_GLOBAL__N_118cuComputeGradInputIN3c108BFloat16EfLb0EEEvPKT_S7_llPKT0_SA_S7_PS5_
		.amdhsa_group_segment_fixed_size 0
		.amdhsa_private_segment_fixed_size 0
		.amdhsa_kernarg_size 320
		.amdhsa_user_sgpr_count 2
		.amdhsa_user_sgpr_dispatch_ptr 0
		.amdhsa_user_sgpr_queue_ptr 0
		.amdhsa_user_sgpr_kernarg_segment_ptr 1
		.amdhsa_user_sgpr_dispatch_id 0
		.amdhsa_user_sgpr_kernarg_preload_length 0
		.amdhsa_user_sgpr_kernarg_preload_offset 0
		.amdhsa_user_sgpr_private_segment_size 0
		.amdhsa_uses_dynamic_stack 0
		.amdhsa_enable_private_segment 0
		.amdhsa_system_sgpr_workgroup_id_x 1
		.amdhsa_system_sgpr_workgroup_id_y 1
		.amdhsa_system_sgpr_workgroup_id_z 0
		.amdhsa_system_sgpr_workgroup_info 0
		.amdhsa_system_vgpr_workitem_id 1
		.amdhsa_next_free_vgpr 31
		.amdhsa_next_free_sgpr 52
		.amdhsa_accum_offset 32
		.amdhsa_reserve_vcc 1
		.amdhsa_float_round_mode_32 0
		.amdhsa_float_round_mode_16_64 0
		.amdhsa_float_denorm_mode_32 3
		.amdhsa_float_denorm_mode_16_64 3
		.amdhsa_dx10_clamp 1
		.amdhsa_ieee_mode 1
		.amdhsa_fp16_overflow 0
		.amdhsa_tg_split 0
		.amdhsa_exception_fp_ieee_invalid_op 0
		.amdhsa_exception_fp_denorm_src 0
		.amdhsa_exception_fp_ieee_div_zero 0
		.amdhsa_exception_fp_ieee_overflow 0
		.amdhsa_exception_fp_ieee_underflow 0
		.amdhsa_exception_fp_ieee_inexact 0
		.amdhsa_exception_int_div_zero 0
	.end_amdhsa_kernel
	.section	.text._ZN2at6native12_GLOBAL__N_118cuComputeGradInputIN3c108BFloat16EfLb0EEEvPKT_S7_llPKT0_SA_S7_PS5_,"axG",@progbits,_ZN2at6native12_GLOBAL__N_118cuComputeGradInputIN3c108BFloat16EfLb0EEEvPKT_S7_llPKT0_SA_S7_PS5_,comdat
.Lfunc_end93:
	.size	_ZN2at6native12_GLOBAL__N_118cuComputeGradInputIN3c108BFloat16EfLb0EEEvPKT_S7_llPKT0_SA_S7_PS5_, .Lfunc_end93-_ZN2at6native12_GLOBAL__N_118cuComputeGradInputIN3c108BFloat16EfLb0EEEvPKT_S7_llPKT0_SA_S7_PS5_
                                        ; -- End function
	.section	.AMDGPU.csdata,"",@progbits
; Kernel info:
; codeLenInByte = 1624
; NumSgprs: 58
; NumVgprs: 31
; NumAgprs: 0
; TotalNumVgprs: 31
; ScratchSize: 0
; MemoryBound: 0
; FloatMode: 240
; IeeeMode: 1
; LDSByteSize: 0 bytes/workgroup (compile time only)
; SGPRBlocks: 7
; VGPRBlocks: 3
; NumSGPRsForWavesPerEU: 58
; NumVGPRsForWavesPerEU: 31
; AccumOffset: 32
; Occupancy: 8
; WaveLimiterHint : 0
; COMPUTE_PGM_RSRC2:SCRATCH_EN: 0
; COMPUTE_PGM_RSRC2:USER_SGPR: 2
; COMPUTE_PGM_RSRC2:TRAP_HANDLER: 0
; COMPUTE_PGM_RSRC2:TGID_X_EN: 1
; COMPUTE_PGM_RSRC2:TGID_Y_EN: 1
; COMPUTE_PGM_RSRC2:TGID_Z_EN: 0
; COMPUTE_PGM_RSRC2:TIDIG_COMP_CNT: 1
; COMPUTE_PGM_RSRC3_GFX90A:ACCUM_OFFSET: 7
; COMPUTE_PGM_RSRC3_GFX90A:TG_SPLIT: 0
	.section	.text._ZN2at6native12_GLOBAL__N_128layer_norm_grad_input_kernelIN3c108BFloat16EfLb0EEEvPKT_S7_PKT0_SA_S7_PS5_i,"axG",@progbits,_ZN2at6native12_GLOBAL__N_128layer_norm_grad_input_kernelIN3c108BFloat16EfLb0EEEvPKT_S7_PKT0_SA_S7_PS5_i,comdat
	.globl	_ZN2at6native12_GLOBAL__N_128layer_norm_grad_input_kernelIN3c108BFloat16EfLb0EEEvPKT_S7_PKT0_SA_S7_PS5_i ; -- Begin function _ZN2at6native12_GLOBAL__N_128layer_norm_grad_input_kernelIN3c108BFloat16EfLb0EEEvPKT_S7_PKT0_SA_S7_PS5_i
	.p2align	8
	.type	_ZN2at6native12_GLOBAL__N_128layer_norm_grad_input_kernelIN3c108BFloat16EfLb0EEEvPKT_S7_PKT0_SA_S7_PS5_i,@function
_ZN2at6native12_GLOBAL__N_128layer_norm_grad_input_kernelIN3c108BFloat16EfLb0EEEvPKT_S7_PKT0_SA_S7_PS5_i: ; @_ZN2at6native12_GLOBAL__N_128layer_norm_grad_input_kernelIN3c108BFloat16EfLb0EEEvPKT_S7_PKT0_SA_S7_PS5_i
; %bb.0:
	s_load_dword s30, s[0:1], 0x30
	s_load_dwordx2 s[12:13], s[0:1], 0x20
	s_load_dwordx8 s[4:11], s[0:1], 0x0
	s_mov_b32 s3, 0
	v_lshlrev_b32_e32 v4, 2, v0
	s_waitcnt lgkmcnt(0)
	s_ashr_i32 s14, s30, 31
	s_mul_hi_u32 s15, s30, s2
	s_mul_i32 s14, s14, s2
	s_add_i32 s17, s15, s14
	s_lshl_b64 s[14:15], s[2:3], 2
	s_add_u32 s8, s8, s14
	s_addc_u32 s9, s9, s15
	s_load_dword s31, s[8:9], 0x0
	s_add_u32 s8, s10, s14
	s_mul_i32 s16, s30, s2
	s_addc_u32 s9, s11, s15
	s_load_dword s33, s[8:9], 0x0
	s_lshl_b64 s[14:15], s[16:17], 1
	s_add_u32 s8, s6, s14
	s_addc_u32 s9, s7, s15
	s_add_u32 s10, s4, s14
	v_or_b32_e32 v1, 3, v4
	s_mov_b32 s2, s3
	s_addc_u32 s11, s5, s15
	v_cmp_gt_u32_e32 vcc, s30, v1
	v_mov_b64_e32 v[2:3], s[2:3]
	s_and_saveexec_b64 s[18:19], vcc
	s_cbranch_execz .LBB94_12
; %bb.1:
	s_load_dword s2, s[0:1], 0x44
	s_cmp_lg_u64 s[12:13], 0
	s_cselect_b64 s[22:23], -1, 0
	v_mov_b32_e32 v2, 0
	v_cndmask_b32_e64 v1, 0, 1, s[22:23]
	s_waitcnt lgkmcnt(0)
	s_and_b32 s2, s2, 0xffff
	s_lshl_b32 s34, s2, 2
	s_add_u32 s24, s12, 2
	s_addc_u32 s25, s13, 0
	s_add_u32 s26, s12, 4
	s_addc_u32 s27, s13, 0
	s_add_u32 s28, s12, 6
	s_mov_b64 s[20:21], 0
	s_addc_u32 s29, s13, 0
	v_mov_b32_e32 v5, 0
	v_cmp_ne_u32_e64 s[2:3], 1, v1
	v_mov_b32_e32 v3, v2
	s_branch .LBB94_3
.LBB94_2:                               ;   in Loop: Header=BB94_3 Depth=1
	global_load_ushort v19, v[6:7], off offset:6
	global_load_ushort v20, v[8:9], off offset:6
	s_waitcnt vmcnt(7)
	v_lshlrev_b32_e32 v6, 16, v12
	s_waitcnt vmcnt(6)
	v_lshlrev_b32_e32 v7, 16, v14
	;; [unrolled: 2-line block ×5, first 2 shown]
	v_subrev_f32_e32 v6, s31, v6
	v_mul_f32_e32 v7, v10, v7
	v_lshlrev_b32_e32 v8, 16, v15
	v_mul_f32_e32 v9, v1, v9
	v_subrev_f32_e32 v1, s31, v12
	v_mul_f32_e32 v13, v13, v14
	v_mul_f32_e32 v6, v6, v7
	v_subrev_f32_e32 v8, s31, v8
	v_mul_f32_e32 v1, v1, v13
	v_mul_f32_e32 v6, s33, v6
	;; [unrolled: 1-line block ×4, first 2 shown]
	v_pk_add_f32 v[2:3], v[2:3], v[6:7]
	v_add_u32_e32 v4, s34, v4
	v_mul_f32_e32 v8, s33, v8
	v_add_u32_e32 v10, 3, v4
	v_pk_add_f32 v[2:3], v[2:3], v[8:9]
	v_cmp_le_u32_e32 vcc, s30, v10
	v_pk_add_f32 v[2:3], v[2:3], v[12:13]
	s_or_b64 s[20:21], vcc, s[20:21]
	s_waitcnt vmcnt(1)
	v_lshlrev_b32_e32 v1, 16, v19
	s_waitcnt vmcnt(0)
	v_lshlrev_b32_e32 v6, 16, v20
	v_subrev_f32_e32 v1, s31, v1
	v_mul_f32_e32 v7, v11, v6
	v_mul_f32_e32 v1, v1, v7
	;; [unrolled: 1-line block ×3, first 2 shown]
	v_pk_add_f32 v[2:3], v[2:3], v[6:7]
	s_andn2_b64 exec, exec, s[20:21]
	s_cbranch_execz .LBB94_11
.LBB94_3:                               ; =>This Inner Loop Header: Depth=1
	s_and_b64 vcc, exec, s[22:23]
	v_mov_b32_e32 v1, 1.0
	v_mov_b32_e32 v10, 1.0
	s_cbranch_vccz .LBB94_5
; %bb.4:                                ;   in Loop: Header=BB94_3 Depth=1
	v_lshl_add_u64 v[6:7], v[4:5], 1, s[12:13]
	global_load_ushort v6, v[6:7], off
	s_waitcnt vmcnt(0)
	v_lshlrev_b32_e32 v10, 16, v6
.LBB94_5:                               ;   in Loop: Header=BB94_3 Depth=1
	v_lshlrev_b64 v[8:9], 1, v[4:5]
	v_lshl_add_u64 v[6:7], s[8:9], 0, v[8:9]
	v_lshl_add_u64 v[8:9], s[10:11], 0, v[8:9]
	global_load_ushort v12, v[6:7], off
	global_load_ushort v14, v[8:9], off
	s_and_b64 vcc, exec, s[2:3]
	s_cbranch_vccnz .LBB94_7
; %bb.6:                                ;   in Loop: Header=BB94_3 Depth=1
	v_lshl_add_u64 v[16:17], v[4:5], 1, s[24:25]
	global_load_ushort v1, v[16:17], off
	s_waitcnt vmcnt(0)
	v_lshlrev_b32_e32 v1, 16, v1
.LBB94_7:                               ;   in Loop: Header=BB94_3 Depth=1
	global_load_ushort v15, v[6:7], off offset:2
	global_load_ushort v16, v[8:9], off offset:2
	s_and_b64 vcc, exec, s[2:3]
	v_mov_b32_e32 v11, 1.0
	v_mov_b32_e32 v13, 1.0
	s_cbranch_vccnz .LBB94_9
; %bb.8:                                ;   in Loop: Header=BB94_3 Depth=1
	v_lshl_add_u64 v[18:19], v[4:5], 1, s[26:27]
	global_load_ushort v13, v[18:19], off
	s_waitcnt vmcnt(0)
	v_lshlrev_b32_e32 v13, 16, v13
.LBB94_9:                               ;   in Loop: Header=BB94_3 Depth=1
	global_load_ushort v17, v[6:7], off offset:4
	global_load_ushort v18, v[8:9], off offset:4
	s_and_b64 vcc, exec, s[2:3]
	s_cbranch_vccnz .LBB94_2
; %bb.10:                               ;   in Loop: Header=BB94_3 Depth=1
	v_lshl_add_u64 v[20:21], v[4:5], 1, s[28:29]
	global_load_ushort v11, v[20:21], off
	s_waitcnt vmcnt(0)
	v_lshlrev_b32_e32 v11, 16, v11
	s_branch .LBB94_2
.LBB94_11:
	s_or_b64 exec, exec, s[20:21]
.LBB94_12:
	s_or_b64 exec, exec, s[18:19]
	v_cmp_gt_u32_e32 vcc, s30, v4
	s_and_saveexec_b64 s[18:19], vcc
	s_cbranch_execz .LBB94_19
; %bb.13:
	s_cmp_lg_u64 s[12:13], 0
	v_mov_b32_e32 v5, 0
	v_lshlrev_b64 v[8:9], 1, v[4:5]
	s_cselect_b64 s[2:3], -1, 0
	v_lshl_add_u64 v[10:11], s[16:17], 1, v[8:9]
	v_cndmask_b32_e64 v1, 0, 1, s[2:3]
	s_mov_b64 s[20:21], 0
	v_lshl_add_u64 v[6:7], s[12:13], 0, v[8:9]
	v_lshl_add_u64 v[8:9], s[6:7], 0, v[10:11]
	v_lshl_add_u64 v[10:11], s[4:5], 0, v[10:11]
	v_cmp_ne_u32_e64 s[2:3], 1, v1
	s_branch .LBB94_16
.LBB94_14:                              ;   in Loop: Header=BB94_16 Depth=1
	global_load_ushort v1, v[6:7], off
	s_waitcnt vmcnt(0)
	v_lshlrev_b32_e32 v1, 16, v1
.LBB94_15:                              ;   in Loop: Header=BB94_16 Depth=1
	global_load_ushort v5, v[8:9], off
	global_load_ushort v12, v[10:11], off
	v_add_u32_e32 v4, 1, v4
	v_cmp_le_u32_e32 vcc, s30, v4
	v_lshl_add_u64 v[6:7], v[6:7], 0, 2
	v_lshl_add_u64 v[8:9], v[8:9], 0, 2
	s_or_b64 s[20:21], vcc, s[20:21]
	v_lshl_add_u64 v[10:11], v[10:11], 0, 2
	s_waitcnt vmcnt(1)
	v_lshlrev_b32_e32 v5, 16, v5
	s_waitcnt vmcnt(0)
	v_lshlrev_b32_e32 v12, 16, v12
	s_waitcnt lgkmcnt(0)
	v_subrev_f32_e32 v5, s31, v5
	v_mul_f32_e32 v13, v1, v12
	v_mul_f32_e32 v1, v5, v13
	;; [unrolled: 1-line block ×3, first 2 shown]
	v_pk_add_f32 v[2:3], v[2:3], v[12:13]
	s_andn2_b64 exec, exec, s[20:21]
	s_cbranch_execz .LBB94_18
.LBB94_16:                              ; =>This Inner Loop Header: Depth=1
	s_and_b64 vcc, exec, s[2:3]
	s_cbranch_vccz .LBB94_14
; %bb.17:                               ;   in Loop: Header=BB94_16 Depth=1
	v_mov_b32_e32 v1, 1.0
	s_branch .LBB94_15
.LBB94_18:
	s_or_b64 exec, exec, s[20:21]
.LBB94_19:
	s_or_b64 exec, exec, s[18:19]
	v_mbcnt_lo_u32_b32 v1, -1, 0
	v_mbcnt_hi_u32_b32 v5, -1, v1
	v_and_b32_e32 v9, 63, v5
	v_cmp_gt_u32_e32 vcc, 32, v9
	s_waitcnt lgkmcnt(0)
	s_barrier
	v_cndmask_b32_e64 v1, 0, 1, vcc
	v_lshlrev_b32_e32 v1, 5, v1
	v_add_lshl_u32 v1, v1, v5, 2
	ds_bpermute_b32 v4, v1, v3
	v_cmp_gt_u32_e32 vcc, 48, v9
	s_waitcnt lgkmcnt(0)
	v_add_f32_e32 v4, v3, v4
	v_cndmask_b32_e64 v6, 0, 1, vcc
	v_lshlrev_b32_e32 v6, 4, v6
	v_add_lshl_u32 v3, v6, v5, 2
	ds_bpermute_b32 v6, v3, v4
	v_cmp_gt_u32_e32 vcc, 56, v9
	s_waitcnt lgkmcnt(0)
	v_add_f32_e32 v4, v4, v6
	;; [unrolled: 7-line block ×4, first 2 shown]
	v_cndmask_b32_e64 v10, 0, 1, vcc
	v_lshlrev_b32_e32 v10, 1, v10
	v_add_lshl_u32 v8, v10, v5, 2
	ds_bpermute_b32 v11, v8, v4
	v_cmp_ne_u32_e32 vcc, 63, v9
	v_and_b32_e32 v10, 63, v0
	s_waitcnt lgkmcnt(0)
	v_add_f32_e32 v4, v4, v11
	v_addc_co_u32_e32 v5, vcc, 0, v5, vcc
	v_lshlrev_b32_e32 v9, 2, v5
	ds_bpermute_b32 v11, v9, v4
	v_cmp_eq_u32_e32 vcc, 0, v10
	v_lshrrev_b32_e32 v5, 4, v0
	s_and_saveexec_b64 s[2:3], vcc
	s_cbranch_execz .LBB94_21
; %bb.20:
	v_add_u32_e32 v12, 0, v5
	s_waitcnt lgkmcnt(0)
	v_add_f32_e32 v4, v4, v11
	ds_write_b32 v12, v4
.LBB94_21:
	s_or_b64 exec, exec, s[2:3]
	s_waitcnt lgkmcnt(0)
	s_barrier
	s_load_dword s16, s[0:1], 0x44
	v_mov_b32_e32 v4, 0
	v_lshl_add_u32 v10, v10, 2, 0
	s_waitcnt lgkmcnt(0)
	s_bfe_u32 s2, s16, 0xa0006
	v_cmp_gt_u32_e64 s[2:3], s2, v0
	s_and_saveexec_b64 s[4:5], s[2:3]
	s_cbranch_execz .LBB94_23
; %bb.22:
	ds_read_b32 v4, v10
.LBB94_23:
	s_or_b64 exec, exec, s[4:5]
	v_cmp_gt_u32_e64 s[4:5], 64, v0
	s_and_saveexec_b64 s[6:7], s[4:5]
	s_cbranch_execz .LBB94_25
; %bb.24:
	s_waitcnt lgkmcnt(0)
	ds_bpermute_b32 v11, v1, v4
	s_waitcnt lgkmcnt(0)
	v_add_f32_e32 v4, v4, v11
	ds_bpermute_b32 v11, v3, v4
	s_waitcnt lgkmcnt(0)
	v_add_f32_e32 v4, v4, v11
	;; [unrolled: 3-line block ×6, first 2 shown]
.LBB94_25:
	s_or_b64 exec, exec, s[6:7]
	ds_bpermute_b32 v11, v1, v2
	s_waitcnt lgkmcnt(0)
	s_barrier
	v_add_f32_e32 v2, v2, v11
	ds_bpermute_b32 v11, v3, v2
	s_waitcnt lgkmcnt(0)
	v_add_f32_e32 v2, v2, v11
	ds_bpermute_b32 v11, v6, v2
	s_waitcnt lgkmcnt(0)
	;; [unrolled: 3-line block ×4, first 2 shown]
	v_add_f32_e32 v2, v2, v11
	ds_bpermute_b32 v11, v9, v2
	s_and_saveexec_b64 s[6:7], vcc
	s_cbranch_execz .LBB94_27
; %bb.26:
	v_add_u32_e32 v5, 0, v5
	s_waitcnt lgkmcnt(0)
	v_add_f32_e32 v2, v2, v11
	ds_write_b32 v5, v2
.LBB94_27:
	s_or_b64 exec, exec, s[6:7]
	v_mov_b32_e32 v5, 0
	s_waitcnt lgkmcnt(0)
	s_barrier
	s_and_saveexec_b64 s[6:7], s[2:3]
	s_cbranch_execnz .LBB94_38
; %bb.28:
	s_or_b64 exec, exec, s[6:7]
	s_and_saveexec_b64 s[2:3], s[4:5]
	s_cbranch_execnz .LBB94_39
.LBB94_29:
	s_or_b64 exec, exec, s[2:3]
	v_cmp_eq_u32_e32 vcc, 0, v0
	s_and_saveexec_b64 s[2:3], vcc
	s_cbranch_execz .LBB94_31
.LBB94_30:
	v_mov_b32_e32 v1, 0
	s_waitcnt lgkmcnt(0)
	ds_write_b64 v1, v[4:5]
.LBB94_31:
	s_or_b64 exec, exec, s[2:3]
	v_cmp_gt_i32_e32 vcc, s30, v0
	s_waitcnt lgkmcnt(0)
	s_barrier
	s_and_saveexec_b64 s[2:3], vcc
	s_cbranch_execz .LBB94_37
; %bb.32:
	v_cvt_f32_i32_e32 v4, s30
	s_load_dwordx2 s[0:1], s[0:1], 0x28
	v_mov_b32_e32 v1, 0
	ds_read_b64 v[2:3], v1
	v_div_scale_f32 v5, s[2:3], v4, v4, 1.0
	v_rcp_f32_e32 v6, v5
	v_div_scale_f32 v1, vcc, 1.0, v4, 1.0
	s_and_b32 s6, s16, 0xffff
	v_fma_f32 v7, -v5, v6, 1.0
	v_fmac_f32_e32 v6, v7, v6
	v_mul_f32_e32 v7, v1, v6
	v_fma_f32 v8, -v5, v7, v1
	v_fmac_f32_e32 v7, v8, v6
	s_waitcnt lgkmcnt(0)
	s_add_u32 s2, s0, s14
	v_fma_f32 v1, -v5, v7, v1
	s_addc_u32 s3, s1, s15
	v_div_fmas_f32 v1, v1, v6, v7
	s_cmp_lg_u64 s[12:13], 0
	v_div_fixup_f32 v1, v1, v4, 1.0
	s_cselect_b64 s[0:1], -1, 0
	v_mul_f32_e32 v5, s33, v1
	v_cndmask_b32_e64 v1, 0, 1, s[0:1]
	s_mov_b64 s[4:5], 0
	v_cmp_ne_u32_e64 s[0:1], 1, v1
	s_movk_i32 s7, 0x7fff
	v_mov_b32_e32 v6, 0x7fc0
	s_branch .LBB94_35
.LBB94_33:                              ;   in Loop: Header=BB94_35 Depth=1
	v_lshl_add_u64 v[10:11], v[0:1], 1, s[12:13]
	global_load_ushort v9, v[10:11], off
	s_waitcnt vmcnt(0)
	v_lshlrev_b32_e32 v9, 16, v9
.LBB94_34:                              ;   in Loop: Header=BB94_35 Depth=1
	s_waitcnt vmcnt(1)
	v_lshlrev_b32_e32 v7, 16, v7
	v_subrev_f32_e32 v7, s31, v7
	v_mul_f32_e32 v7, s33, v7
	v_mul_f32_e32 v9, v9, v4
	s_waitcnt vmcnt(0)
	v_lshlrev_b32_e32 v8, 16, v8
	v_mul_f32_e32 v7, v3, v7
	v_fma_f32 v7, v9, v8, -v7
	v_sub_f32_e32 v7, v7, v2
	v_mul_f32_e32 v7, v5, v7
	v_bfe_u32 v8, v7, 16, 1
	v_add3_u32 v8, v7, v8, s7
	v_lshrrev_b32_e32 v8, 16, v8
	v_cmp_o_f32_e32 vcc, v7, v7
	s_nop 1
	v_cndmask_b32_e32 v7, v6, v8, vcc
	v_lshl_add_u64 v[8:9], v[0:1], 1, s[2:3]
	v_add_u32_e32 v0, s6, v0
	v_cmp_le_i32_e32 vcc, s30, v0
	s_or_b64 s[4:5], vcc, s[4:5]
	global_store_short v[8:9], v7, off
	s_andn2_b64 exec, exec, s[4:5]
	s_cbranch_execz .LBB94_37
.LBB94_35:                              ; =>This Inner Loop Header: Depth=1
	v_ashrrev_i32_e32 v1, 31, v0
	v_lshlrev_b64 v[8:9], 1, v[0:1]
	v_lshl_add_u64 v[10:11], s[8:9], 0, v[8:9]
	v_lshl_add_u64 v[8:9], s[10:11], 0, v[8:9]
	global_load_ushort v7, v[10:11], off
	s_and_b64 vcc, exec, s[0:1]
	global_load_ushort v8, v[8:9], off
	s_cbranch_vccz .LBB94_33
; %bb.36:                               ;   in Loop: Header=BB94_35 Depth=1
	v_mov_b32_e32 v9, 1.0
	s_branch .LBB94_34
.LBB94_37:
	s_endpgm
.LBB94_38:
	ds_read_b32 v5, v10
	s_or_b64 exec, exec, s[6:7]
	s_and_saveexec_b64 s[2:3], s[4:5]
	s_cbranch_execz .LBB94_29
.LBB94_39:
	s_waitcnt lgkmcnt(0)
	ds_bpermute_b32 v1, v1, v5
	s_waitcnt lgkmcnt(0)
	v_add_f32_e32 v1, v5, v1
	ds_bpermute_b32 v2, v3, v1
	s_waitcnt lgkmcnt(0)
	v_add_f32_e32 v1, v1, v2
	;; [unrolled: 3-line block ×6, first 2 shown]
	s_or_b64 exec, exec, s[2:3]
	v_cmp_eq_u32_e32 vcc, 0, v0
	s_and_saveexec_b64 s[2:3], vcc
	s_cbranch_execnz .LBB94_30
	s_branch .LBB94_31
	.section	.rodata,"a",@progbits
	.p2align	6, 0x0
	.amdhsa_kernel _ZN2at6native12_GLOBAL__N_128layer_norm_grad_input_kernelIN3c108BFloat16EfLb0EEEvPKT_S7_PKT0_SA_S7_PS5_i
		.amdhsa_group_segment_fixed_size 0
		.amdhsa_private_segment_fixed_size 0
		.amdhsa_kernarg_size 312
		.amdhsa_user_sgpr_count 2
		.amdhsa_user_sgpr_dispatch_ptr 0
		.amdhsa_user_sgpr_queue_ptr 0
		.amdhsa_user_sgpr_kernarg_segment_ptr 1
		.amdhsa_user_sgpr_dispatch_id 0
		.amdhsa_user_sgpr_kernarg_preload_length 0
		.amdhsa_user_sgpr_kernarg_preload_offset 0
		.amdhsa_user_sgpr_private_segment_size 0
		.amdhsa_uses_dynamic_stack 0
		.amdhsa_enable_private_segment 0
		.amdhsa_system_sgpr_workgroup_id_x 1
		.amdhsa_system_sgpr_workgroup_id_y 0
		.amdhsa_system_sgpr_workgroup_id_z 0
		.amdhsa_system_sgpr_workgroup_info 0
		.amdhsa_system_vgpr_workitem_id 0
		.amdhsa_next_free_vgpr 22
		.amdhsa_next_free_sgpr 35
		.amdhsa_accum_offset 24
		.amdhsa_reserve_vcc 1
		.amdhsa_float_round_mode_32 0
		.amdhsa_float_round_mode_16_64 0
		.amdhsa_float_denorm_mode_32 3
		.amdhsa_float_denorm_mode_16_64 3
		.amdhsa_dx10_clamp 1
		.amdhsa_ieee_mode 1
		.amdhsa_fp16_overflow 0
		.amdhsa_tg_split 0
		.amdhsa_exception_fp_ieee_invalid_op 0
		.amdhsa_exception_fp_denorm_src 0
		.amdhsa_exception_fp_ieee_div_zero 0
		.amdhsa_exception_fp_ieee_overflow 0
		.amdhsa_exception_fp_ieee_underflow 0
		.amdhsa_exception_fp_ieee_inexact 0
		.amdhsa_exception_int_div_zero 0
	.end_amdhsa_kernel
	.section	.text._ZN2at6native12_GLOBAL__N_128layer_norm_grad_input_kernelIN3c108BFloat16EfLb0EEEvPKT_S7_PKT0_SA_S7_PS5_i,"axG",@progbits,_ZN2at6native12_GLOBAL__N_128layer_norm_grad_input_kernelIN3c108BFloat16EfLb0EEEvPKT_S7_PKT0_SA_S7_PS5_i,comdat
.Lfunc_end94:
	.size	_ZN2at6native12_GLOBAL__N_128layer_norm_grad_input_kernelIN3c108BFloat16EfLb0EEEvPKT_S7_PKT0_SA_S7_PS5_i, .Lfunc_end94-_ZN2at6native12_GLOBAL__N_128layer_norm_grad_input_kernelIN3c108BFloat16EfLb0EEEvPKT_S7_PKT0_SA_S7_PS5_i
                                        ; -- End function
	.section	.AMDGPU.csdata,"",@progbits
; Kernel info:
; codeLenInByte = 2084
; NumSgprs: 41
; NumVgprs: 22
; NumAgprs: 0
; TotalNumVgprs: 22
; ScratchSize: 0
; MemoryBound: 0
; FloatMode: 240
; IeeeMode: 1
; LDSByteSize: 0 bytes/workgroup (compile time only)
; SGPRBlocks: 5
; VGPRBlocks: 2
; NumSGPRsForWavesPerEU: 41
; NumVGPRsForWavesPerEU: 22
; AccumOffset: 24
; Occupancy: 8
; WaveLimiterHint : 0
; COMPUTE_PGM_RSRC2:SCRATCH_EN: 0
; COMPUTE_PGM_RSRC2:USER_SGPR: 2
; COMPUTE_PGM_RSRC2:TRAP_HANDLER: 0
; COMPUTE_PGM_RSRC2:TGID_X_EN: 1
; COMPUTE_PGM_RSRC2:TGID_Y_EN: 0
; COMPUTE_PGM_RSRC2:TGID_Z_EN: 0
; COMPUTE_PGM_RSRC2:TIDIG_COMP_CNT: 0
; COMPUTE_PGM_RSRC3_GFX90A:ACCUM_OFFSET: 5
; COMPUTE_PGM_RSRC3_GFX90A:TG_SPLIT: 0
	.section	.text._ZN2at6native12_GLOBAL__N_133GammaBetaBackwardSimpleCUDAKernelIN3c108BFloat16EfLb0EEEvllPKT_S7_PKT0_SA_PS5_SB_,"axG",@progbits,_ZN2at6native12_GLOBAL__N_133GammaBetaBackwardSimpleCUDAKernelIN3c108BFloat16EfLb0EEEvllPKT_S7_PKT0_SA_PS5_SB_,comdat
	.globl	_ZN2at6native12_GLOBAL__N_133GammaBetaBackwardSimpleCUDAKernelIN3c108BFloat16EfLb0EEEvllPKT_S7_PKT0_SA_PS5_SB_ ; -- Begin function _ZN2at6native12_GLOBAL__N_133GammaBetaBackwardSimpleCUDAKernelIN3c108BFloat16EfLb0EEEvllPKT_S7_PKT0_SA_PS5_SB_
	.p2align	8
	.type	_ZN2at6native12_GLOBAL__N_133GammaBetaBackwardSimpleCUDAKernelIN3c108BFloat16EfLb0EEEvllPKT_S7_PKT0_SA_PS5_SB_,@function
_ZN2at6native12_GLOBAL__N_133GammaBetaBackwardSimpleCUDAKernelIN3c108BFloat16EfLb0EEEvllPKT_S7_PKT0_SA_PS5_SB_: ; @_ZN2at6native12_GLOBAL__N_133GammaBetaBackwardSimpleCUDAKernelIN3c108BFloat16EfLb0EEEvllPKT_S7_PKT0_SA_PS5_SB_
; %bb.0:
	s_load_dword s3, s[0:1], 0x4c
	s_load_dwordx16 s[4:19], s[0:1], 0x0
	v_mov_b32_e32 v1, 0
	v_mov_b32_e32 v2, s2
	s_waitcnt lgkmcnt(0)
	s_and_b32 s0, s3, 0xffff
	v_mad_u64_u32 v[2:3], s[0:1], s0, v2, v[0:1]
	v_cmp_gt_i64_e32 vcc, s[6:7], v[2:3]
	s_and_saveexec_b64 s[0:1], vcc
	s_cbranch_execz .LBB95_12
; %bb.1:
	v_cmp_lt_i64_e64 s[0:1], s[4:5], 1
	s_and_b64 vcc, exec, s[0:1]
	v_mov_b32_e32 v0, 0
	s_cbranch_vccnz .LBB95_8
; %bb.2:
	s_cmp_lg_u64 s[16:17], 0
	s_cselect_b64 s[0:1], -1, 0
	s_cmp_lg_u64 s[18:19], 0
	s_cselect_b64 s[2:3], -1, 0
	v_cndmask_b32_e64 v0, 0, 1, s[0:1]
	v_cmp_ne_u32_e64 s[0:1], 1, v0
	v_cndmask_b32_e64 v0, 0, 1, s[2:3]
	v_lshlrev_b64 v[4:5], 1, v[2:3]
	s_lshl_b64 s[6:7], s[6:7], 1
	v_mov_b32_e32 v1, 0
	v_cmp_ne_u32_e64 s[2:3], 1, v0
	v_mov_b32_e32 v0, 0
	s_branch .LBB95_4
.LBB95_3:                               ;   in Loop: Header=BB95_4 Depth=1
	s_add_u32 s4, s4, -1
	s_addc_u32 s5, s5, -1
	s_add_u32 s14, s14, 4
	s_addc_u32 s15, s15, 0
	s_add_u32 s12, s12, 4
	s_addc_u32 s13, s13, 0
	v_add_f32_e32 v1, v1, v8
	v_add_f32_e32 v0, v0, v9
	s_cmp_eq_u64 s[4:5], 0
	v_lshl_add_u64 v[4:5], v[4:5], 0, s[6:7]
	s_cbranch_scc1 .LBB95_8
.LBB95_4:                               ; =>This Inner Loop Header: Depth=1
	s_and_b64 vcc, exec, s[0:1]
	v_lshl_add_u64 v[6:7], s[8:9], 0, v[4:5]
	v_mov_b32_e32 v8, 0
	s_cbranch_vccnz .LBB95_6
; %bb.5:                                ;   in Loop: Header=BB95_4 Depth=1
	v_lshl_add_u64 v[8:9], s[10:11], 0, v[4:5]
	global_load_ushort v8, v[8:9], off
	s_waitcnt vmcnt(0)
	v_lshlrev_b32_e32 v8, 16, v8
	global_load_ushort v10, v[6:7], off
	s_load_dword s20, s[12:13], 0x0
	s_load_dword s21, s[14:15], 0x0
	s_waitcnt lgkmcnt(0)
	v_subrev_f32_e32 v8, s20, v8
	s_waitcnt vmcnt(0)
	v_lshlrev_b32_e32 v9, 16, v10
	v_mul_f32_e32 v8, v8, v9
	v_mul_f32_e32 v8, s21, v8
.LBB95_6:                               ;   in Loop: Header=BB95_4 Depth=1
	s_and_b64 vcc, exec, s[2:3]
	v_mov_b32_e32 v9, 0
	s_cbranch_vccnz .LBB95_3
; %bb.7:                                ;   in Loop: Header=BB95_4 Depth=1
	global_load_ushort v6, v[6:7], off
	s_waitcnt vmcnt(0)
	v_lshlrev_b32_e32 v9, 16, v6
	s_branch .LBB95_3
.LBB95_8:
	s_cmp_lg_u64 s[16:17], 0
	s_cbranch_scc0 .LBB95_10
; %bb.9:
	v_bfe_u32 v4, v1, 16, 1
	s_movk_i32 s0, 0x7fff
	v_add3_u32 v4, v1, v4, s0
	v_lshrrev_b32_e32 v4, 16, v4
	v_mov_b32_e32 v5, 0x7fc0
	v_cmp_o_f32_e32 vcc, v1, v1
	s_nop 1
	v_cndmask_b32_e32 v1, v5, v4, vcc
	v_lshl_add_u64 v[4:5], v[2:3], 1, s[16:17]
	global_store_short v[4:5], v1, off
.LBB95_10:
	s_cmp_eq_u64 s[18:19], 0
	s_cbranch_scc1 .LBB95_12
; %bb.11:
	v_bfe_u32 v1, v0, 16, 1
	s_movk_i32 s0, 0x7fff
	v_add3_u32 v1, v0, v1, s0
	v_lshrrev_b32_e32 v1, 16, v1
	v_mov_b32_e32 v4, 0x7fc0
	v_cmp_o_f32_e32 vcc, v0, v0
	s_nop 1
	v_cndmask_b32_e32 v4, v4, v1, vcc
	v_lshl_add_u64 v[0:1], v[2:3], 1, s[18:19]
	global_store_short v[0:1], v4, off
.LBB95_12:
	s_endpgm
	.section	.rodata,"a",@progbits
	.p2align	6, 0x0
	.amdhsa_kernel _ZN2at6native12_GLOBAL__N_133GammaBetaBackwardSimpleCUDAKernelIN3c108BFloat16EfLb0EEEvllPKT_S7_PKT0_SA_PS5_SB_
		.amdhsa_group_segment_fixed_size 0
		.amdhsa_private_segment_fixed_size 0
		.amdhsa_kernarg_size 320
		.amdhsa_user_sgpr_count 2
		.amdhsa_user_sgpr_dispatch_ptr 0
		.amdhsa_user_sgpr_queue_ptr 0
		.amdhsa_user_sgpr_kernarg_segment_ptr 1
		.amdhsa_user_sgpr_dispatch_id 0
		.amdhsa_user_sgpr_kernarg_preload_length 0
		.amdhsa_user_sgpr_kernarg_preload_offset 0
		.amdhsa_user_sgpr_private_segment_size 0
		.amdhsa_uses_dynamic_stack 0
		.amdhsa_enable_private_segment 0
		.amdhsa_system_sgpr_workgroup_id_x 1
		.amdhsa_system_sgpr_workgroup_id_y 0
		.amdhsa_system_sgpr_workgroup_id_z 0
		.amdhsa_system_sgpr_workgroup_info 0
		.amdhsa_system_vgpr_workitem_id 0
		.amdhsa_next_free_vgpr 11
		.amdhsa_next_free_sgpr 22
		.amdhsa_accum_offset 12
		.amdhsa_reserve_vcc 1
		.amdhsa_float_round_mode_32 0
		.amdhsa_float_round_mode_16_64 0
		.amdhsa_float_denorm_mode_32 3
		.amdhsa_float_denorm_mode_16_64 3
		.amdhsa_dx10_clamp 1
		.amdhsa_ieee_mode 1
		.amdhsa_fp16_overflow 0
		.amdhsa_tg_split 0
		.amdhsa_exception_fp_ieee_invalid_op 0
		.amdhsa_exception_fp_denorm_src 0
		.amdhsa_exception_fp_ieee_div_zero 0
		.amdhsa_exception_fp_ieee_overflow 0
		.amdhsa_exception_fp_ieee_underflow 0
		.amdhsa_exception_fp_ieee_inexact 0
		.amdhsa_exception_int_div_zero 0
	.end_amdhsa_kernel
	.section	.text._ZN2at6native12_GLOBAL__N_133GammaBetaBackwardSimpleCUDAKernelIN3c108BFloat16EfLb0EEEvllPKT_S7_PKT0_SA_PS5_SB_,"axG",@progbits,_ZN2at6native12_GLOBAL__N_133GammaBetaBackwardSimpleCUDAKernelIN3c108BFloat16EfLb0EEEvllPKT_S7_PKT0_SA_PS5_SB_,comdat
.Lfunc_end95:
	.size	_ZN2at6native12_GLOBAL__N_133GammaBetaBackwardSimpleCUDAKernelIN3c108BFloat16EfLb0EEEvllPKT_S7_PKT0_SA_PS5_SB_, .Lfunc_end95-_ZN2at6native12_GLOBAL__N_133GammaBetaBackwardSimpleCUDAKernelIN3c108BFloat16EfLb0EEEvllPKT_S7_PKT0_SA_PS5_SB_
                                        ; -- End function
	.section	.AMDGPU.csdata,"",@progbits
; Kernel info:
; codeLenInByte = 460
; NumSgprs: 28
; NumVgprs: 11
; NumAgprs: 0
; TotalNumVgprs: 11
; ScratchSize: 0
; MemoryBound: 0
; FloatMode: 240
; IeeeMode: 1
; LDSByteSize: 0 bytes/workgroup (compile time only)
; SGPRBlocks: 3
; VGPRBlocks: 1
; NumSGPRsForWavesPerEU: 28
; NumVGPRsForWavesPerEU: 11
; AccumOffset: 12
; Occupancy: 8
; WaveLimiterHint : 0
; COMPUTE_PGM_RSRC2:SCRATCH_EN: 0
; COMPUTE_PGM_RSRC2:USER_SGPR: 2
; COMPUTE_PGM_RSRC2:TRAP_HANDLER: 0
; COMPUTE_PGM_RSRC2:TGID_X_EN: 1
; COMPUTE_PGM_RSRC2:TGID_Y_EN: 0
; COMPUTE_PGM_RSRC2:TGID_Z_EN: 0
; COMPUTE_PGM_RSRC2:TIDIG_COMP_CNT: 0
; COMPUTE_PGM_RSRC3_GFX90A:ACCUM_OFFSET: 2
; COMPUTE_PGM_RSRC3_GFX90A:TG_SPLIT: 0
	.section	.text._ZN2at6native12_GLOBAL__N_135GammaBetaBackwardCUDAKernelTemplateIN3c108BFloat16EfLj64ELj1ELj32ELb1ELb1ELb0EEEvllPKT_S7_PKT0_SA_PS5_SB_,"axG",@progbits,_ZN2at6native12_GLOBAL__N_135GammaBetaBackwardCUDAKernelTemplateIN3c108BFloat16EfLj64ELj1ELj32ELb1ELb1ELb0EEEvllPKT_S7_PKT0_SA_PS5_SB_,comdat
	.globl	_ZN2at6native12_GLOBAL__N_135GammaBetaBackwardCUDAKernelTemplateIN3c108BFloat16EfLj64ELj1ELj32ELb1ELb1ELb0EEEvllPKT_S7_PKT0_SA_PS5_SB_ ; -- Begin function _ZN2at6native12_GLOBAL__N_135GammaBetaBackwardCUDAKernelTemplateIN3c108BFloat16EfLj64ELj1ELj32ELb1ELb1ELb0EEEvllPKT_S7_PKT0_SA_PS5_SB_
	.p2align	8
	.type	_ZN2at6native12_GLOBAL__N_135GammaBetaBackwardCUDAKernelTemplateIN3c108BFloat16EfLj64ELj1ELj32ELb1ELb1ELb0EEEvllPKT_S7_PKT0_SA_PS5_SB_,@function
_ZN2at6native12_GLOBAL__N_135GammaBetaBackwardCUDAKernelTemplateIN3c108BFloat16EfLj64ELj1ELj32ELb1ELb1ELb0EEEvllPKT_S7_PKT0_SA_PS5_SB_: ; @_ZN2at6native12_GLOBAL__N_135GammaBetaBackwardCUDAKernelTemplateIN3c108BFloat16EfLj64ELj1ELj32ELb1ELb1ELb0EEEvllPKT_S7_PKT0_SA_PS5_SB_
; %bb.0:
	s_load_dwordx4 s[16:19], s[0:1], 0x0
	s_lshl_b32 s6, s3, 5
	s_mov_b32 s7, 0
	s_mov_b32 s4, s3
	v_bfe_u32 v1, v0, 10, 10
	s_waitcnt lgkmcnt(0)
	v_mov_b64_e32 v[2:3], s[16:17]
	v_cmp_lt_i64_e32 vcc, s[6:7], v[2:3]
	s_cbranch_vccnz .LBB96_2
; %bb.1:
	s_add_u32 s24, s0, 64
	s_addc_u32 s25, s1, 0
	s_mov_b64 s[8:9], 0
	v_bfe_u32 v2, v0, 10, 10
	s_branch .LBB96_3
.LBB96_2:
	s_mov_b64 s[8:9], -1
                                        ; implicit-def: $sgpr24_sgpr25
                                        ; implicit-def: $vgpr2
.LBB96_3:
	s_load_dwordx4 s[20:23], s[0:1], 0x30
	v_and_b32_e32 v0, 0x3ff, v0
	s_andn2_b64 vcc, exec, s[8:9]
	v_mov_b32_e32 v9, s7
	v_mov_b32_e32 v8, s7
	s_cbranch_vccnz .LBB96_11
; %bb.4:
	s_load_dword s3, s[0:1], 0x4c
	s_load_dword s5, s[0:1], 0x44
	s_load_dwordx8 s[8:15], s[0:1], 0x10
	s_add_u32 s24, s0, 64
	s_addc_u32 s25, s1, 0
	s_waitcnt lgkmcnt(0)
	s_and_b32 s0, s3, 0xffff
	v_mad_u32_u24 v2, v1, s0, v0
	v_lshlrev_b32_e32 v8, 5, v1
	v_mov_b32_e32 v9, 0
	v_mbcnt_lo_u32_b32 v4, -1, 0
	v_and_b32_e32 v2, 63, v2
	v_mov_b32_e32 v3, v9
	v_mbcnt_hi_u32_b32 v4, -1, v4
	s_lshl_b32 s26, s5, 5
	v_lshl_add_u64 v[42:43], v[8:9], 0, s[6:7]
	v_cmp_gt_u32_e64 s[0:1], 32, v2
	v_lshl_add_u32 v6, s2, 6, v0
	v_mov_b32_e32 v7, v9
	v_lshlrev_b32_e32 v4, 2, v4
	v_lshl_add_u64 v[2:3], v[42:43], 0, v[2:3]
	v_mul_lo_u32 v8, s19, v42
	v_mul_lo_u32 v44, s18, v43
	v_mad_u64_u32 v[42:43], s[30:31], s18, v42, 0
	s_mul_i32 s3, s19, s26
	s_mul_hi_u32 s5, s18, s26
	s_mov_b32 s27, 0
	v_and_b32_e32 v10, 0x100, v4
	v_add3_u32 v43, v43, v44, v8
	v_lshlrev_b64 v[6:7], 1, v[6:7]
	s_add_i32 s31, s5, s3
	s_mul_i32 s30, s18, s26
	v_or_b32_e32 v11, 4, v10
	v_or_b32_e32 v12, 8, v10
	;; [unrolled: 1-line block ×31, first 2 shown]
	v_lshlrev_b64 v[4:5], 2, v[2:3]
	s_lshl_b64 s[28:29], s[26:27], 2
	v_lshl_add_u64 v[6:7], v[42:43], 1, v[6:7]
	s_lshl_b64 s[30:31], s[30:31], 1
	s_lshl_b64 s[34:35], s[18:19], 1
	v_mov_b32_e32 v8, v9
	s_branch .LBB96_7
.LBB96_5:                               ;   in Loop: Header=BB96_7 Depth=1
	s_or_b64 exec, exec, s[38:39]
.LBB96_6:                               ;   in Loop: Header=BB96_7 Depth=1
	s_or_b64 exec, exec, s[36:37]
	v_lshl_add_u64 v[44:45], s[10:11], 0, v[6:7]
	global_load_ushort v48, v[44:45], off
	v_lshl_add_u64 v[46:47], s[8:9], 0, v[6:7]
	global_load_ushort v49, v[46:47], off
	;; [unrolled: 2-line block ×18, first 2 shown]
	v_lshl_add_u64 v[44:45], v[44:45], 0, s[34:35]
	v_lshl_add_u64 v[46:47], v[46:47], 0, s[34:35]
	global_load_ushort v68, v[44:45], off
	global_load_ushort v69, v[46:47], off
	s_waitcnt vmcnt(21)
	ds_bpermute_b32 v64, v10, v43
	s_waitcnt vmcnt(20)
	ds_bpermute_b32 v67, v10, v42
	v_lshl_add_u64 v[44:45], v[44:45], 0, s[34:35]
	v_lshl_add_u64 v[46:47], v[46:47], 0, s[34:35]
	s_add_u32 s6, s6, s26
	s_addc_u32 s7, s7, 0
	v_lshl_add_u64 v[4:5], v[4:5], 0, s[28:29]
	v_lshl_add_u64 v[2:3], v[2:3], 0, s[26:27]
	;; [unrolled: 1-line block ×3, first 2 shown]
	s_waitcnt vmcnt(19)
	v_lshlrev_b32_e32 v48, 16, v48
	s_waitcnt lgkmcnt(1)
	v_sub_f32_e32 v64, v48, v64
	s_waitcnt vmcnt(18)
	v_lshlrev_b32_e32 v48, 16, v49
	v_mul_f32_e32 v49, v64, v48
	ds_bpermute_b32 v64, v11, v43
	s_waitcnt vmcnt(17)
	v_lshlrev_b32_e32 v50, 16, v50
	s_waitcnt lgkmcnt(1)
	v_mul_f32_e32 v49, v49, v67
	ds_bpermute_b32 v67, v11, v42
	s_waitcnt vmcnt(15)
	v_lshlrev_b32_e32 v52, 16, v52
	s_waitcnt lgkmcnt(1)
	v_sub_f32_e32 v64, v50, v64
	v_lshlrev_b32_e32 v50, 16, v51
	v_mul_f32_e32 v51, v64, v50
	ds_bpermute_b32 v64, v12, v43
	s_waitcnt lgkmcnt(1)
	v_mul_f32_e32 v51, v51, v67
	ds_bpermute_b32 v67, v12, v42
	s_waitcnt vmcnt(13)
	v_lshlrev_b32_e32 v54, 16, v54
	s_waitcnt vmcnt(11)
	v_lshlrev_b32_e32 v56, 16, v56
	s_waitcnt lgkmcnt(1)
	v_sub_f32_e32 v64, v52, v64
	v_lshlrev_b32_e32 v52, 16, v53
	v_mul_f32_e32 v53, v64, v52
	ds_bpermute_b32 v64, v13, v43
	s_waitcnt lgkmcnt(1)
	v_mul_f32_e32 v53, v53, v67
	ds_bpermute_b32 v67, v13, v42
	s_waitcnt vmcnt(9)
	v_lshlrev_b32_e32 v58, 16, v58
	;; [unrolled: 12-line block ×4, first 2 shown]
	v_pk_add_f32 v[8:9], v[8:9], v[48:49]
	s_waitcnt lgkmcnt(1)
	v_sub_f32_e32 v64, v58, v64
	v_lshlrev_b32_e32 v58, 16, v59
	v_mul_f32_e32 v59, v64, v58
	ds_bpermute_b32 v64, v16, v43
	s_waitcnt lgkmcnt(1)
	v_mul_f32_e32 v59, v59, v67
	ds_bpermute_b32 v67, v16, v42
	v_pk_add_f32 v[8:9], v[8:9], v[50:51]
	ds_bpermute_b32 v48, v20, v43
	s_waitcnt lgkmcnt(2)
	v_sub_f32_e32 v64, v60, v64
	v_lshlrev_b32_e32 v60, 16, v61
	v_mul_f32_e32 v61, v64, v60
	ds_bpermute_b32 v64, v17, v43
	s_waitcnt lgkmcnt(2)
	v_mul_f32_e32 v61, v61, v67
	ds_bpermute_b32 v67, v17, v42
	v_pk_add_f32 v[8:9], v[8:9], v[52:53]
	ds_bpermute_b32 v49, v20, v42
	;; [unrolled: 10-line block ×3, first 2 shown]
	s_waitcnt lgkmcnt(2)
	v_sub_f32_e32 v65, v65, v64
	v_lshlrev_b32_e32 v64, 16, v66
	ds_bpermute_b32 v66, v19, v43
	v_mul_f32_e32 v65, v65, v64
	s_waitcnt lgkmcnt(2)
	v_mul_f32_e32 v65, v65, v67
	ds_bpermute_b32 v67, v19, v42
	v_pk_add_f32 v[8:9], v[8:9], v[56:57]
	s_waitcnt lgkmcnt(1)
	v_sub_f32_e32 v68, v68, v66
	s_waitcnt vmcnt(0)
	v_lshlrev_b32_e32 v66, 16, v69
	v_mul_f32_e32 v68, v68, v66
	s_waitcnt lgkmcnt(0)
	v_mul_f32_e32 v67, v68, v67
	global_load_ushort v68, v[44:45], off
	global_load_ushort v69, v[46:47], off
	v_lshl_add_u64 v[44:45], v[44:45], 0, s[34:35]
	global_load_ushort v70, v[44:45], off
	v_lshl_add_u64 v[46:47], v[46:47], 0, s[34:35]
	global_load_ushort v71, v[46:47], off
	v_lshl_add_u64 v[44:45], v[44:45], 0, s[34:35]
	global_load_ushort v72, v[44:45], off
	v_lshl_add_u64 v[46:47], v[46:47], 0, s[34:35]
	global_load_ushort v73, v[46:47], off
	v_lshl_add_u64 v[44:45], v[44:45], 0, s[34:35]
	global_load_ushort v74, v[44:45], off
	v_lshl_add_u64 v[46:47], v[46:47], 0, s[34:35]
	global_load_ushort v75, v[46:47], off
	v_lshl_add_u64 v[44:45], v[44:45], 0, s[34:35]
	global_load_ushort v76, v[44:45], off
	v_lshl_add_u64 v[46:47], v[46:47], 0, s[34:35]
	global_load_ushort v77, v[46:47], off
	v_lshl_add_u64 v[44:45], v[44:45], 0, s[34:35]
	global_load_ushort v78, v[44:45], off
	v_lshl_add_u64 v[46:47], v[46:47], 0, s[34:35]
	global_load_ushort v79, v[46:47], off
	v_lshl_add_u64 v[44:45], v[44:45], 0, s[34:35]
	global_load_ushort v80, v[44:45], off
	v_lshl_add_u64 v[46:47], v[46:47], 0, s[34:35]
	global_load_ushort v81, v[46:47], off
	v_lshl_add_u64 v[44:45], v[44:45], 0, s[34:35]
	global_load_ushort v82, v[44:45], off
	v_lshl_add_u64 v[46:47], v[46:47], 0, s[34:35]
	global_load_ushort v83, v[46:47], off
	v_pk_add_f32 v[8:9], v[8:9], v[58:59]
	v_lshl_add_u64 v[44:45], v[44:45], 0, s[34:35]
	v_pk_add_f32 v[8:9], v[8:9], v[60:61]
	v_lshl_add_u64 v[46:47], v[46:47], 0, s[34:35]
	v_pk_add_f32 v[8:9], v[8:9], v[62:63]
	ds_bpermute_b32 v53, v22, v42
	v_pk_add_f32 v[8:9], v[8:9], v[64:65]
	global_load_ushort v64, v[44:45], off
	global_load_ushort v65, v[46:47], off
	v_lshl_add_u64 v[44:45], v[44:45], 0, s[34:35]
	v_pk_add_f32 v[8:9], v[8:9], v[66:67]
	global_load_ushort v66, v[44:45], off
	v_lshl_add_u64 v[46:47], v[46:47], 0, s[34:35]
	global_load_ushort v67, v[46:47], off
	ds_bpermute_b32 v55, v23, v42
	ds_bpermute_b32 v57, v24, v42
	;; [unrolled: 1-line block ×5, first 2 shown]
	v_lshl_add_u64 v[44:45], v[44:45], 0, s[34:35]
	v_lshl_add_u64 v[46:47], v[46:47], 0, s[34:35]
	s_waitcnt vmcnt(19)
	v_lshlrev_b32_e32 v50, 16, v68
	v_sub_f32_e32 v50, v50, v48
	s_waitcnt vmcnt(18)
	v_lshlrev_b32_e32 v48, 16, v69
	v_mul_f32_e32 v50, v50, v48
	v_mul_f32_e32 v49, v50, v49
	ds_bpermute_b32 v50, v21, v43
	s_waitcnt vmcnt(17)
	v_lshlrev_b32_e32 v52, 16, v70
	s_waitcnt vmcnt(15)
	v_lshlrev_b32_e32 v54, 16, v72
	ds_bpermute_b32 v69, v28, v42
	v_pk_add_f32 v[8:9], v[8:9], v[48:49]
	s_waitcnt lgkmcnt(1)
	v_sub_f32_e32 v52, v52, v50
	v_lshlrev_b32_e32 v50, 16, v71
	v_mul_f32_e32 v52, v52, v50
	v_mul_f32_e32 v51, v52, v51
	ds_bpermute_b32 v52, v22, v43
	s_waitcnt vmcnt(13)
	v_lshlrev_b32_e32 v56, 16, v74
	s_waitcnt vmcnt(11)
	v_lshlrev_b32_e32 v58, 16, v76
	v_pk_add_f32 v[8:9], v[8:9], v[50:51]
	ds_bpermute_b32 v70, v30, v42
	s_waitcnt lgkmcnt(1)
	v_sub_f32_e32 v54, v54, v52
	v_lshlrev_b32_e32 v52, 16, v73
	v_mul_f32_e32 v54, v54, v52
	v_mul_f32_e32 v53, v54, v53
	ds_bpermute_b32 v54, v23, v43
	s_waitcnt vmcnt(9)
	v_lshlrev_b32_e32 v60, 16, v78
	s_waitcnt vmcnt(7)
	v_lshlrev_b32_e32 v62, 16, v80
	v_pk_add_f32 v[8:9], v[8:9], v[52:53]
	s_waitcnt vmcnt(5)
	v_lshlrev_b32_e32 v68, 16, v82
	s_waitcnt lgkmcnt(0)
	v_sub_f32_e32 v56, v56, v54
	v_lshlrev_b32_e32 v54, 16, v75
	v_mul_f32_e32 v56, v56, v54
	v_mul_f32_e32 v55, v56, v55
	ds_bpermute_b32 v56, v24, v43
	v_pk_add_f32 v[8:9], v[8:9], v[54:55]
	s_waitcnt lgkmcnt(0)
	v_sub_f32_e32 v58, v58, v56
	v_lshlrev_b32_e32 v56, 16, v77
	v_mul_f32_e32 v58, v58, v56
	v_mul_f32_e32 v57, v58, v57
	ds_bpermute_b32 v58, v25, v43
	s_waitcnt vmcnt(3)
	v_lshlrev_b32_e32 v64, 16, v64
	s_waitcnt vmcnt(1)
	v_lshlrev_b32_e32 v66, 16, v66
	v_pk_add_f32 v[8:9], v[8:9], v[56:57]
	s_waitcnt lgkmcnt(0)
	v_sub_f32_e32 v60, v60, v58
	v_lshlrev_b32_e32 v58, 16, v79
	v_mul_f32_e32 v60, v60, v58
	v_mul_f32_e32 v59, v60, v59
	ds_bpermute_b32 v60, v26, v43
	v_pk_add_f32 v[8:9], v[8:9], v[58:59]
	s_waitcnt lgkmcnt(0)
	v_sub_f32_e32 v62, v62, v60
	v_lshlrev_b32_e32 v60, 16, v81
	v_mul_f32_e32 v62, v62, v60
	v_mul_f32_e32 v61, v62, v61
	ds_bpermute_b32 v62, v27, v43
	;; [unrolled: 7-line block ×3, first 2 shown]
	v_pk_add_f32 v[8:9], v[8:9], v[62:63]
	s_waitcnt lgkmcnt(0)
	v_sub_f32_e32 v68, v64, v68
	v_lshlrev_b32_e32 v64, 16, v65
	v_mul_f32_e32 v65, v68, v64
	ds_bpermute_b32 v68, v29, v43
	v_mul_f32_e32 v65, v65, v69
	ds_bpermute_b32 v69, v29, v42
	v_pk_add_f32 v[8:9], v[8:9], v[64:65]
	s_waitcnt lgkmcnt(1)
	v_sub_f32_e32 v68, v66, v68
	s_waitcnt vmcnt(0)
	v_lshlrev_b32_e32 v66, 16, v67
	v_mul_f32_e32 v67, v68, v66
	global_load_ushort v68, v[44:45], off
	s_waitcnt lgkmcnt(0)
	v_mul_f32_e32 v67, v67, v69
	ds_bpermute_b32 v69, v30, v43
	v_lshl_add_u64 v[44:45], v[44:45], 0, s[34:35]
	global_load_ushort v48, v[44:45], off
	v_lshl_add_u64 v[44:45], v[44:45], 0, s[34:35]
	global_load_ushort v50, v[44:45], off
	;; [unrolled: 2-line block ×9, first 2 shown]
	v_lshl_add_u64 v[44:45], v[44:45], 0, s[34:35]
	v_pk_add_f32 v[8:9], v[8:9], v[66:67]
	global_load_ushort v66, v[44:45], off
	v_lshl_add_u64 v[44:45], v[44:45], 0, s[34:35]
	global_load_ushort v71, v[44:45], off
	ds_bpermute_b32 v44, v31, v43
	ds_bpermute_b32 v45, v31, v42
	s_waitcnt vmcnt(11)
	v_lshlrev_b32_e32 v68, 16, v68
	s_waitcnt lgkmcnt(2)
	v_sub_f32_e32 v69, v68, v69
	global_load_ushort v68, v[46:47], off
	v_lshl_add_u64 v[46:47], v[46:47], 0, s[34:35]
	global_load_ushort v49, v[46:47], off
	v_lshl_add_u64 v[46:47], v[46:47], 0, s[34:35]
	;; [unrolled: 2-line block ×11, first 2 shown]
	s_waitcnt vmcnt(10)
	v_lshlrev_b32_e32 v68, 16, v68
	v_mul_f32_e32 v69, v69, v68
	v_mul_f32_e32 v69, v69, v70
	global_load_ushort v70, v[46:47], off
	ds_bpermute_b32 v47, v32, v43
	v_lshlrev_b32_e32 v46, 16, v48
	s_waitcnt lgkmcnt(2)
	v_sub_f32_e32 v46, v46, v44
	s_waitcnt vmcnt(10)
	v_lshlrev_b32_e32 v44, 16, v49
	ds_bpermute_b32 v48, v32, v42
	v_mul_f32_e32 v46, v46, v44
	ds_bpermute_b32 v49, v33, v43
	s_waitcnt lgkmcnt(3)
	v_mul_f32_e32 v45, v46, v45
	v_lshlrev_b32_e32 v46, 16, v50
	s_waitcnt lgkmcnt(2)
	v_sub_f32_e32 v47, v46, v47
	s_waitcnt vmcnt(9)
	v_lshlrev_b32_e32 v46, 16, v51
	ds_bpermute_b32 v50, v33, v42
	v_mul_f32_e32 v47, v47, v46
	ds_bpermute_b32 v51, v34, v43
	s_waitcnt lgkmcnt(3)
	v_mul_f32_e32 v47, v47, v48
	;; [unrolled: 10-line block ×6, first 2 shown]
	v_lshlrev_b32_e32 v56, 16, v60
	s_waitcnt lgkmcnt(2)
	v_sub_f32_e32 v57, v56, v57
	s_waitcnt vmcnt(4)
	v_lshlrev_b32_e32 v56, 16, v61
	ds_bpermute_b32 v60, v38, v42
	v_mul_f32_e32 v57, v57, v56
	ds_bpermute_b32 v61, v39, v43
	v_pk_add_f32 v[8:9], v[8:9], v[68:69]
	s_waitcnt lgkmcnt(3)
	v_mul_f32_e32 v57, v57, v58
	v_lshlrev_b32_e32 v58, 16, v62
	s_waitcnt lgkmcnt(2)
	v_sub_f32_e32 v59, v58, v59
	s_waitcnt vmcnt(3)
	v_lshlrev_b32_e32 v58, 16, v63
	ds_bpermute_b32 v62, v39, v42
	v_pk_add_f32 v[8:9], v[8:9], v[44:45]
	v_mul_f32_e32 v59, v59, v58
	ds_bpermute_b32 v63, v40, v43
	v_pk_add_f32 v[8:9], v[8:9], v[46:47]
	ds_bpermute_b32 v43, v41, v43
	s_waitcnt lgkmcnt(4)
	v_mul_f32_e32 v59, v59, v60
	v_lshlrev_b32_e32 v60, 16, v64
	v_pk_add_f32 v[8:9], v[8:9], v[48:49]
	s_waitcnt lgkmcnt(3)
	v_sub_f32_e32 v61, v60, v61
	s_waitcnt vmcnt(2)
	v_lshlrev_b32_e32 v60, 16, v65
	ds_bpermute_b32 v64, v40, v42
	v_pk_add_f32 v[8:9], v[8:9], v[50:51]
	ds_bpermute_b32 v42, v41, v42
	v_mul_f32_e32 v61, v61, v60
	v_pk_add_f32 v[8:9], v[8:9], v[52:53]
	s_waitcnt lgkmcnt(4)
	v_mul_f32_e32 v61, v61, v62
	v_lshlrev_b32_e32 v62, 16, v66
	v_pk_add_f32 v[8:9], v[8:9], v[54:55]
	v_lshlrev_b32_e32 v45, 16, v71
	s_waitcnt lgkmcnt(3)
	v_sub_f32_e32 v63, v62, v63
	s_waitcnt vmcnt(1)
	v_lshlrev_b32_e32 v62, 16, v67
	v_pk_add_f32 v[8:9], v[8:9], v[56:57]
	s_waitcnt lgkmcnt(2)
	v_sub_f32_e32 v43, v45, v43
	v_mul_f32_e32 v63, v63, v62
	s_waitcnt vmcnt(0)
	v_lshlrev_b32_e32 v44, 16, v70
	v_pk_add_f32 v[8:9], v[8:9], v[58:59]
	v_mul_f32_e32 v43, v43, v44
	s_waitcnt lgkmcnt(1)
	v_mul_f32_e32 v63, v63, v64
	v_pk_add_f32 v[8:9], v[8:9], v[60:61]
	s_waitcnt lgkmcnt(0)
	v_mul_f32_e32 v45, v43, v42
	v_mov_b64_e32 v[42:43], s[16:17]
	v_pk_add_f32 v[8:9], v[8:9], v[62:63]
	v_cmp_lt_i64_e32 vcc, s[6:7], v[42:43]
	v_pk_add_f32 v[8:9], v[8:9], v[44:45]
	s_cbranch_vccz .LBB96_10
.LBB96_7:                               ; =>This Inner Loop Header: Depth=1
	v_mov_b32_e32 v42, 0
	v_mov_b32_e32 v43, 0
	s_and_saveexec_b64 s[36:37], s[0:1]
	s_cbranch_execz .LBB96_6
; %bb.8:                                ;   in Loop: Header=BB96_7 Depth=1
	v_cmp_gt_i64_e32 vcc, s[16:17], v[2:3]
	v_mov_b32_e32 v43, 0
	v_mov_b32_e32 v42, 0
	s_and_saveexec_b64 s[38:39], vcc
	s_cbranch_execz .LBB96_5
; %bb.9:                                ;   in Loop: Header=BB96_7 Depth=1
	v_lshl_add_u64 v[46:47], s[12:13], 0, v[4:5]
	v_lshl_add_u64 v[44:45], s[14:15], 0, v[4:5]
	global_load_dword v43, v[46:47], off
	global_load_dword v42, v[44:45], off
	s_branch .LBB96_5
.LBB96_10:
	v_mov_b32_e32 v2, v1
.LBB96_11:
	s_load_dword s5, s[24:25], 0xc
	s_mov_b32 s3, 0
	v_mov_b32_e32 v1, 0
	s_lshl_b64 s[0:1], s[2:3], 6
	v_lshl_add_u64 v[4:5], s[0:1], 0, v[0:1]
	s_waitcnt lgkmcnt(0)
	s_lshr_b32 s0, s5, 16
	v_mov_b32_e32 v3, v1
	v_mov_b32_e32 v0, s4
	v_mad_u64_u32 v[0:1], s[0:1], s0, v0, v[2:3]
	s_cmp_eq_u64 s[20:21], 0
	v_mul_lo_u32 v1, v1, s18
	v_mul_lo_u32 v2, v0, s19
	s_cbranch_scc1 .LBB96_13
; %bb.12:
	v_bfe_u32 v3, v9, 16, 1
	s_movk_i32 s0, 0x7fff
	v_add3_u32 v3, v9, v3, s0
	v_lshrrev_b32_e32 v3, 16, v3
	v_mov_b32_e32 v6, 0x7fc0
	v_cmp_o_f32_e32 vcc, v9, v9
	s_nop 1
	v_cndmask_b32_e32 v3, v6, v3, vcc
	v_mad_u64_u32 v[6:7], s[0:1], v0, s18, 0
	v_add3_u32 v7, v7, v2, v1
	v_lshl_add_u64 v[6:7], v[6:7], 1, s[20:21]
	v_lshl_add_u64 v[6:7], v[4:5], 1, v[6:7]
	global_store_short v[6:7], v3, off
.LBB96_13:
	s_cmp_eq_u64 s[22:23], 0
	s_cbranch_scc1 .LBB96_15
; %bb.14:
	v_bfe_u32 v3, v8, 16, 1
	s_movk_i32 s0, 0x7fff
	v_add3_u32 v3, v8, v3, s0
	v_lshrrev_b32_e32 v3, 16, v3
	v_mov_b32_e32 v6, 0x7fc0
	v_cmp_o_f32_e32 vcc, v8, v8
	s_nop 1
	v_cndmask_b32_e32 v3, v6, v3, vcc
	v_mad_u64_u32 v[6:7], s[0:1], v0, s18, 0
	v_add3_u32 v7, v7, v2, v1
	v_lshl_add_u64 v[0:1], v[6:7], 1, s[22:23]
	v_lshl_add_u64 v[0:1], v[4:5], 1, v[0:1]
	global_store_short v[0:1], v3, off
.LBB96_15:
	s_endpgm
	.section	.rodata,"a",@progbits
	.p2align	6, 0x0
	.amdhsa_kernel _ZN2at6native12_GLOBAL__N_135GammaBetaBackwardCUDAKernelTemplateIN3c108BFloat16EfLj64ELj1ELj32ELb1ELb1ELb0EEEvllPKT_S7_PKT0_SA_PS5_SB_
		.amdhsa_group_segment_fixed_size 0
		.amdhsa_private_segment_fixed_size 0
		.amdhsa_kernarg_size 320
		.amdhsa_user_sgpr_count 2
		.amdhsa_user_sgpr_dispatch_ptr 0
		.amdhsa_user_sgpr_queue_ptr 0
		.amdhsa_user_sgpr_kernarg_segment_ptr 1
		.amdhsa_user_sgpr_dispatch_id 0
		.amdhsa_user_sgpr_kernarg_preload_length 0
		.amdhsa_user_sgpr_kernarg_preload_offset 0
		.amdhsa_user_sgpr_private_segment_size 0
		.amdhsa_uses_dynamic_stack 0
		.amdhsa_enable_private_segment 0
		.amdhsa_system_sgpr_workgroup_id_x 1
		.amdhsa_system_sgpr_workgroup_id_y 1
		.amdhsa_system_sgpr_workgroup_id_z 0
		.amdhsa_system_sgpr_workgroup_info 0
		.amdhsa_system_vgpr_workitem_id 1
		.amdhsa_next_free_vgpr 84
		.amdhsa_next_free_sgpr 40
		.amdhsa_accum_offset 84
		.amdhsa_reserve_vcc 1
		.amdhsa_float_round_mode_32 0
		.amdhsa_float_round_mode_16_64 0
		.amdhsa_float_denorm_mode_32 3
		.amdhsa_float_denorm_mode_16_64 3
		.amdhsa_dx10_clamp 1
		.amdhsa_ieee_mode 1
		.amdhsa_fp16_overflow 0
		.amdhsa_tg_split 0
		.amdhsa_exception_fp_ieee_invalid_op 0
		.amdhsa_exception_fp_denorm_src 0
		.amdhsa_exception_fp_ieee_div_zero 0
		.amdhsa_exception_fp_ieee_overflow 0
		.amdhsa_exception_fp_ieee_underflow 0
		.amdhsa_exception_fp_ieee_inexact 0
		.amdhsa_exception_int_div_zero 0
	.end_amdhsa_kernel
	.section	.text._ZN2at6native12_GLOBAL__N_135GammaBetaBackwardCUDAKernelTemplateIN3c108BFloat16EfLj64ELj1ELj32ELb1ELb1ELb0EEEvllPKT_S7_PKT0_SA_PS5_SB_,"axG",@progbits,_ZN2at6native12_GLOBAL__N_135GammaBetaBackwardCUDAKernelTemplateIN3c108BFloat16EfLj64ELj1ELj32ELb1ELb1ELb0EEEvllPKT_S7_PKT0_SA_PS5_SB_,comdat
.Lfunc_end96:
	.size	_ZN2at6native12_GLOBAL__N_135GammaBetaBackwardCUDAKernelTemplateIN3c108BFloat16EfLj64ELj1ELj32ELb1ELb1ELb0EEEvllPKT_S7_PKT0_SA_PS5_SB_, .Lfunc_end96-_ZN2at6native12_GLOBAL__N_135GammaBetaBackwardCUDAKernelTemplateIN3c108BFloat16EfLj64ELj1ELj32ELb1ELb1ELb0EEEvllPKT_S7_PKT0_SA_PS5_SB_
                                        ; -- End function
	.section	.AMDGPU.csdata,"",@progbits
; Kernel info:
; codeLenInByte = 3704
; NumSgprs: 46
; NumVgprs: 84
; NumAgprs: 0
; TotalNumVgprs: 84
; ScratchSize: 0
; MemoryBound: 0
; FloatMode: 240
; IeeeMode: 1
; LDSByteSize: 0 bytes/workgroup (compile time only)
; SGPRBlocks: 5
; VGPRBlocks: 10
; NumSGPRsForWavesPerEU: 46
; NumVGPRsForWavesPerEU: 84
; AccumOffset: 84
; Occupancy: 5
; WaveLimiterHint : 0
; COMPUTE_PGM_RSRC2:SCRATCH_EN: 0
; COMPUTE_PGM_RSRC2:USER_SGPR: 2
; COMPUTE_PGM_RSRC2:TRAP_HANDLER: 0
; COMPUTE_PGM_RSRC2:TGID_X_EN: 1
; COMPUTE_PGM_RSRC2:TGID_Y_EN: 1
; COMPUTE_PGM_RSRC2:TGID_Z_EN: 0
; COMPUTE_PGM_RSRC2:TIDIG_COMP_CNT: 1
; COMPUTE_PGM_RSRC3_GFX90A:ACCUM_OFFSET: 20
; COMPUTE_PGM_RSRC3_GFX90A:TG_SPLIT: 0
	.section	.text._ZN2at6native12_GLOBAL__N_135GammaBetaBackwardCUDAKernelTemplateIN3c108BFloat16EfLj64ELj1ELj32ELb1ELb0ELb0EEEvllPKT_S7_PKT0_SA_PS5_SB_,"axG",@progbits,_ZN2at6native12_GLOBAL__N_135GammaBetaBackwardCUDAKernelTemplateIN3c108BFloat16EfLj64ELj1ELj32ELb1ELb0ELb0EEEvllPKT_S7_PKT0_SA_PS5_SB_,comdat
	.globl	_ZN2at6native12_GLOBAL__N_135GammaBetaBackwardCUDAKernelTemplateIN3c108BFloat16EfLj64ELj1ELj32ELb1ELb0ELb0EEEvllPKT_S7_PKT0_SA_PS5_SB_ ; -- Begin function _ZN2at6native12_GLOBAL__N_135GammaBetaBackwardCUDAKernelTemplateIN3c108BFloat16EfLj64ELj1ELj32ELb1ELb0ELb0EEEvllPKT_S7_PKT0_SA_PS5_SB_
	.p2align	8
	.type	_ZN2at6native12_GLOBAL__N_135GammaBetaBackwardCUDAKernelTemplateIN3c108BFloat16EfLj64ELj1ELj32ELb1ELb0ELb0EEEvllPKT_S7_PKT0_SA_PS5_SB_,@function
_ZN2at6native12_GLOBAL__N_135GammaBetaBackwardCUDAKernelTemplateIN3c108BFloat16EfLj64ELj1ELj32ELb1ELb0ELb0EEEvllPKT_S7_PKT0_SA_PS5_SB_: ; @_ZN2at6native12_GLOBAL__N_135GammaBetaBackwardCUDAKernelTemplateIN3c108BFloat16EfLj64ELj1ELj32ELb1ELb0ELb0EEEvllPKT_S7_PKT0_SA_PS5_SB_
; %bb.0:
	s_load_dwordx8 s[12:19], s[0:1], 0x0
	s_load_dwordx4 s[20:23], s[0:1], 0x20
	s_mov_b32 s8, s3
	s_lshl_b32 s3, s2, 6
	v_mov_b32_e32 v212, v0
	s_or_b32 s10, s3, 63
	s_mov_b32 s11, 0
	s_waitcnt lgkmcnt(0)
	v_mov_b64_e32 v[0:1], s[14:15]
	v_cmp_ge_i64_e32 vcc, s[10:11], v[0:1]
	s_lshl_b32 s10, s8, 5
	v_mov_b64_e32 v[0:1], s[12:13]
	v_cmp_lt_i64_e64 s[4:5], s[10:11], v[0:1]
	s_nop 1
	v_cndmask_b32_e64 v0, 0, 1, s[4:5]
	v_cmp_ne_u32_e64 s[4:5], 1, v0
	s_cbranch_vccz .LBB97_144
; %bb.1:
	s_mov_b32 s6, s11
	s_mov_b32 s7, s11
	s_and_b64 vcc, exec, s[4:5]
	v_mov_b64_e32 v[66:67], s[6:7]
	s_cbranch_vccnz .LBB97_145
; %bb.2:
	v_mov_b32_e32 v1, 0
	v_bfe_u32 v202, v212, 10, 10
	v_lshlrev_b32_e32 v2, 5, v202
	v_mov_b32_e32 v3, v1
	v_and_b32_e32 v144, 0x3ff, v212
	v_lshl_add_u64 v[66:67], v[2:3], 0, s[10:11]
	v_add_u32_e32 v0, s3, v144
	v_lshl_add_u64 v[6:7], v[66:67], 0, 31
	v_cmp_gt_i64_e64 s[6:7], s[14:15], v[0:1]
	v_lshlrev_b64 v[4:5], 1, v[0:1]
	v_mul_lo_u32 v0, s15, v6
	v_mul_lo_u32 v8, s14, v7
	v_mad_u64_u32 v[6:7], s[30:31], s14, v6, 0
	v_lshl_add_u64 v[10:11], v[66:67], 0, 30
	v_add3_u32 v7, v7, v8, v0
	v_mul_lo_u32 v0, s15, v10
	v_mul_lo_u32 v12, s14, v11
	v_mad_u64_u32 v[10:11], s[34:35], s14, v10, 0
	v_lshl_add_u64 v[14:15], v[66:67], 0, 29
	v_add3_u32 v11, v11, v12, v0
	;; [unrolled: 5-line block ×25, first 2 shown]
	v_mul_lo_u32 v0, s15, v108
	v_mul_lo_u32 v110, s14, v109
	v_mad_u64_u32 v[108:109], s[34:35], s14, v108, 0
	v_lshl_add_u64 v[112:113], v[66:67], 0, 5
	s_load_dword s9, s[0:1], 0x44
	v_add3_u32 v109, v109, v110, v0
	v_mul_lo_u32 v0, s15, v112
	v_mul_lo_u32 v114, s14, v113
	v_mad_u64_u32 v[112:113], s[34:35], s14, v112, 0
	v_lshl_add_u64 v[116:117], v[66:67], 0, 4
	v_add3_u32 v113, v113, v114, v0
	v_mul_lo_u32 v0, s15, v116
	v_mul_lo_u32 v118, s14, v117
	v_mad_u64_u32 v[116:117], s[34:35], s14, v116, 0
	v_lshl_add_u64 v[120:121], v[66:67], 0, 3
	;; [unrolled: 5-line block ×3, first 2 shown]
	v_add3_u32 v121, v121, v122, v0
	v_mul_lo_u32 v0, s15, v124
	v_mul_lo_u32 v126, s14, v125
	v_mad_u64_u32 v[124:125], s[34:35], s14, v124, 0
	v_mov_b64_e32 v[128:129], s[14:15]
	s_add_u32 s26, s0, 64
	v_add3_u32 v125, v125, v126, v0
	v_mad_u64_u32 v[128:129], s[34:35], s14, v66, v[128:129]
	v_mul_lo_u32 v0, s14, v67
	v_mul_lo_u32 v132, s15, v66
	v_mad_u64_u32 v[66:67], s[34:35], s14, v66, 0
	s_addc_u32 s27, s1, 0
	s_waitcnt lgkmcnt(0)
	s_lshl_b32 s24, s9, 5
	v_add3_u32 v129, v132, v129, v0
	v_add3_u32 v67, v67, v0, v132
	v_mbcnt_lo_u32_b32 v0, -1, 0
	s_mul_i32 s9, s15, s24
	s_mul_hi_u32 s30, s14, s24
	v_mbcnt_hi_u32_b32 v0, -1, v0
	v_lshlrev_b64 v[8:9], 1, v[6:7]
	s_add_i32 s31, s30, s9
	s_mul_i32 s30, s14, s24
	v_lshlrev_b64 v[12:13], 1, v[10:11]
	v_lshlrev_b64 v[16:17], 1, v[14:15]
	;; [unrolled: 1-line block ×31, first 2 shown]
	v_lshlrev_b32_e32 v0, 2, v0
	s_mov_b32 s25, 0
	s_mov_b64 s[28:29], 31
	v_lshl_add_u64 v[6:7], s[16:17], 0, v[8:9]
	s_lshl_b64 s[30:31], s[30:31], 1
	v_lshl_add_u64 v[8:9], s[18:19], 0, v[8:9]
	v_lshl_add_u64 v[10:11], s[16:17], 0, v[12:13]
	;; [unrolled: 1-line block ×63, first 2 shown]
	v_and_b32_e32 v203, 0x100, v0
	v_mov_b32_e32 v66, v1
	v_mov_b32_e32 v67, v1
	s_mov_b64 s[34:35], s[10:11]
	s_branch .LBB97_5
.LBB97_3:                               ;   in Loop: Header=BB97_5 Depth=1
	s_or_b64 exec, exec, s[36:37]
	s_waitcnt vmcnt(1)
	ds_bpermute_b32 v137, v203, v200
	ds_bpermute_b32 v207, v203, v200 offset:4
	s_waitcnt vmcnt(0)
	ds_bpermute_b32 v159, v203, v199
	ds_bpermute_b32 v208, v203, v200 offset:8
	ds_bpermute_b32 v167, v203, v199 offset:4
	s_waitcnt lgkmcnt(4)
	v_sub_f32_e32 v137, v139, v137
	s_waitcnt lgkmcnt(3)
	v_sub_f32_e32 v139, v143, v207
	ds_bpermute_b32 v143, v203, v199 offset:8
	v_mul_f32_e32 v137, v136, v137
	s_waitcnt lgkmcnt(3)
	v_mul_f32_e32 v137, v137, v159
	ds_bpermute_b32 v159, v203, v200 offset:12
	s_waitcnt lgkmcnt(3)
	v_sub_f32_e32 v141, v141, v208
	v_mul_f32_e32 v139, v138, v139
	v_mul_f32_e32 v141, v140, v141
	s_waitcnt lgkmcnt(2)
	v_mul_f32_e32 v139, v139, v167
	s_waitcnt lgkmcnt(1)
	v_mul_f32_e32 v141, v141, v143
	ds_bpermute_b32 v143, v203, v199 offset:12
	ds_bpermute_b32 v167, v203, v200 offset:16
	s_waitcnt lgkmcnt(2)
	v_sub_f32_e32 v149, v149, v159
	ds_bpermute_b32 v159, v203, v199 offset:16
	v_mul_f32_e32 v149, v142, v149
	s_waitcnt lgkmcnt(2)
	v_mul_f32_e32 v143, v149, v143
	s_waitcnt lgkmcnt(1)
	v_sub_f32_e32 v147, v147, v167
	ds_bpermute_b32 v149, v203, v200 offset:20
	v_mul_f32_e32 v147, v146, v147
	s_waitcnt lgkmcnt(1)
	v_mul_f32_e32 v147, v147, v159
	ds_bpermute_b32 v159, v203, v199 offset:20
	ds_bpermute_b32 v167, v203, v200 offset:24
	s_waitcnt lgkmcnt(2)
	v_sub_f32_e32 v149, v153, v149
	ds_bpermute_b32 v153, v203, v199 offset:24
	v_mul_f32_e32 v149, v148, v149
	s_waitcnt lgkmcnt(2)
	v_mul_f32_e32 v149, v149, v159
	ds_bpermute_b32 v159, v203, v200 offset:28
	s_waitcnt lgkmcnt(2)
	v_sub_f32_e32 v151, v151, v167
	v_mul_f32_e32 v151, v152, v151
	s_waitcnt lgkmcnt(1)
	v_mul_f32_e32 v153, v151, v153
	ds_bpermute_b32 v151, v203, v199 offset:28
	ds_bpermute_b32 v167, v203, v200 offset:32
	s_waitcnt lgkmcnt(2)
	v_sub_f32_e32 v157, v157, v159
	ds_bpermute_b32 v159, v203, v199 offset:32
	v_mul_f32_e32 v157, v156, v157
	s_waitcnt lgkmcnt(2)
	v_mul_f32_e32 v157, v157, v151
	s_waitcnt lgkmcnt(1)
	v_sub_f32_e32 v151, v155, v167
	ds_bpermute_b32 v155, v203, v200 offset:36
	v_mul_f32_e32 v151, v158, v151
	s_waitcnt lgkmcnt(1)
	v_mul_f32_e32 v159, v151, v159
	ds_bpermute_b32 v151, v203, v199 offset:36
	ds_bpermute_b32 v167, v203, v200 offset:40
	v_pk_add_f32 v[66:67], v[66:67], v[136:137]
	ds_bpermute_b32 v136, v203, v200 offset:44
	ds_bpermute_b32 v207, v203, v199 offset:40
	;; [unrolled: 1-line block ×3, first 2 shown]
	s_waitcnt lgkmcnt(5)
	v_sub_f32_e32 v155, v163, v155
	v_mul_f32_e32 v155, v162, v155
	s_waitcnt lgkmcnt(4)
	v_mul_f32_e32 v163, v155, v151
	s_waitcnt lgkmcnt(3)
	v_sub_f32_e32 v151, v165, v167
	v_pk_add_f32 v[66:67], v[66:67], v[138:139]
	s_waitcnt lgkmcnt(2)
	v_sub_f32_e32 v136, v169, v136
	ds_bpermute_b32 v138, v203, v200 offset:48
	v_mul_f32_e32 v151, v166, v151
	v_mul_f32_e32 v136, v150, v136
	s_waitcnt lgkmcnt(2)
	v_mul_f32_e32 v167, v151, v207
	s_waitcnt lgkmcnt(1)
	v_mul_f32_e32 v151, v136, v137
	ds_bpermute_b32 v136, v203, v199 offset:48
	ds_bpermute_b32 v137, v203, v200 offset:52
	ds_bpermute_b32 v139, v203, v199 offset:52
	s_waitcnt lgkmcnt(3)
	v_sub_f32_e32 v138, v161, v138
	v_mul_f32_e32 v138, v154, v138
	s_waitcnt lgkmcnt(2)
	v_mul_f32_e32 v155, v138, v136
	s_waitcnt lgkmcnt(1)
	v_sub_f32_e32 v136, v173, v137
	ds_bpermute_b32 v137, v203, v200 offset:56
	v_mul_f32_e32 v136, v160, v136
	s_waitcnt lgkmcnt(1)
	v_mul_f32_e32 v161, v136, v139
	ds_bpermute_b32 v136, v203, v199 offset:56
	ds_bpermute_b32 v138, v203, v200 offset:60
	ds_bpermute_b32 v139, v203, v199 offset:60
	s_waitcnt lgkmcnt(3)
	v_sub_f32_e32 v137, v171, v137
	v_mul_f32_e32 v137, v164, v137
	s_waitcnt lgkmcnt(2)
	v_mul_f32_e32 v165, v137, v136
	s_waitcnt lgkmcnt(1)
	v_sub_f32_e32 v136, v177, v138
	ds_bpermute_b32 v137, v203, v200 offset:64
	;; [unrolled: 14-line block ×4, first 2 shown]
	v_mul_f32_e32 v136, v178, v136
	s_waitcnt lgkmcnt(1)
	v_mul_f32_e32 v179, v136, v139
	ds_bpermute_b32 v136, v203, v199 offset:80
	ds_bpermute_b32 v138, v203, v200 offset:84
	;; [unrolled: 1-line block ×3, first 2 shown]
	s_waitcnt lgkmcnt(3)
	v_sub_f32_e32 v137, v183, v137
	v_mul_f32_e32 v137, v182, v137
	s_waitcnt lgkmcnt(2)
	v_mul_f32_e32 v183, v137, v136
	s_waitcnt lgkmcnt(1)
	v_sub_f32_e32 v136, v193, v138
	v_mul_f32_e32 v136, v186, v136
	s_waitcnt lgkmcnt(0)
	v_mul_f32_e32 v187, v136, v139
	ds_bpermute_b32 v136, v203, v200 offset:88
	ds_bpermute_b32 v137, v203, v199 offset:88
	;; [unrolled: 1-line block ×4, first 2 shown]
	v_pk_add_f32 v[66:67], v[66:67], v[140:141]
	s_waitcnt lgkmcnt(3)
	v_sub_f32_e32 v136, v185, v136
	v_mul_f32_e32 v136, v176, v136
	s_waitcnt lgkmcnt(2)
	v_mul_f32_e32 v177, v136, v137
	s_waitcnt lgkmcnt(1)
	v_sub_f32_e32 v136, v191, v138
	ds_bpermute_b32 v137, v203, v200 offset:96
	v_mul_f32_e32 v136, v180, v136
	s_waitcnt lgkmcnt(1)
	v_mul_f32_e32 v181, v136, v139
	ds_bpermute_b32 v136, v203, v199 offset:96
	ds_bpermute_b32 v138, v203, v200 offset:100
	v_pk_add_f32 v[66:67], v[66:67], v[142:143]
	ds_bpermute_b32 v139, v203, v199 offset:100
	v_pk_add_f32 v[66:67], v[66:67], v[146:147]
	s_waitcnt lgkmcnt(3)
	v_sub_f32_e32 v137, v189, v137
	v_pk_add_f32 v[66:67], v[66:67], v[148:149]
	v_mul_f32_e32 v137, v184, v137
	v_pk_add_f32 v[66:67], v[66:67], v[152:153]
	s_waitcnt lgkmcnt(2)
	v_mul_f32_e32 v185, v137, v136
	s_waitcnt lgkmcnt(1)
	v_sub_f32_e32 v136, v197, v138
	ds_bpermute_b32 v137, v203, v200 offset:104
	v_pk_add_f32 v[66:67], v[66:67], v[156:157]
	v_mul_f32_e32 v136, v188, v136
	v_pk_add_f32 v[66:67], v[66:67], v[158:159]
	s_waitcnt lgkmcnt(1)
	v_mul_f32_e32 v189, v136, v139
	ds_bpermute_b32 v136, v203, v199 offset:104
	ds_bpermute_b32 v138, v203, v200 offset:108
	v_pk_add_f32 v[66:67], v[66:67], v[162:163]
	ds_bpermute_b32 v139, v203, v199 offset:108
	v_pk_add_f32 v[66:67], v[66:67], v[166:167]
	s_waitcnt lgkmcnt(3)
	v_sub_f32_e32 v137, v195, v137
	v_pk_add_f32 v[66:67], v[66:67], v[150:151]
	v_mul_f32_e32 v137, v190, v137
	v_pk_add_f32 v[66:67], v[66:67], v[154:155]
	s_waitcnt lgkmcnt(2)
	v_mul_f32_e32 v191, v137, v136
	v_pk_add_f32 v[66:67], v[66:67], v[160:161]
	s_waitcnt lgkmcnt(1)
	v_sub_f32_e32 v136, v205, v138
	ds_bpermute_b32 v137, v203, v200 offset:112
	v_pk_add_f32 v[66:67], v[66:67], v[164:165]
	v_mul_f32_e32 v136, v192, v136
	v_pk_add_f32 v[66:67], v[66:67], v[168:169]
	s_waitcnt lgkmcnt(1)
	v_mul_f32_e32 v193, v136, v139
	ds_bpermute_b32 v136, v203, v199 offset:112
	ds_bpermute_b32 v138, v203, v200 offset:116
	v_pk_add_f32 v[66:67], v[66:67], v[170:171]
	ds_bpermute_b32 v139, v203, v199 offset:116
	v_pk_add_f32 v[66:67], v[66:67], v[172:173]
	s_waitcnt lgkmcnt(3)
	v_sub_f32_e32 v137, v201, v137
	v_pk_add_f32 v[66:67], v[66:67], v[174:175]
	v_mul_f32_e32 v137, v194, v137
	v_pk_add_f32 v[66:67], v[66:67], v[178:179]
	s_waitcnt lgkmcnt(2)
	v_mul_f32_e32 v195, v137, v136
	v_pk_add_f32 v[66:67], v[66:67], v[182:183]
	s_waitcnt lgkmcnt(1)
	v_sub_f32_e32 v136, v206, v138
	v_pk_add_f32 v[66:67], v[66:67], v[186:187]
	v_mul_f32_e32 v136, v196, v136
	s_waitcnt lgkmcnt(0)
	v_mul_f32_e32 v197, v136, v139
	v_pk_add_f32 v[66:67], v[66:67], v[176:177]
	ds_bpermute_b32 v136, v203, v200 offset:120
	v_pk_add_f32 v[66:67], v[66:67], v[180:181]
	ds_bpermute_b32 v137, v203, v199 offset:120
	v_pk_add_f32 v[66:67], v[66:67], v[184:185]
	ds_bpermute_b32 v140, v203, v199 offset:124
	v_pk_add_f32 v[66:67], v[66:67], v[188:189]
	s_waitcnt lgkmcnt(2)
	v_sub_f32_e32 v136, v204, v136
	v_pk_add_f32 v[66:67], v[66:67], v[190:191]
	v_mul_f32_e32 v136, v198, v136
	v_pk_add_f32 v[66:67], v[66:67], v[192:193]
	s_waitcnt lgkmcnt(1)
	v_mul_f32_e32 v199, v136, v137
	v_pk_add_f32 v[66:67], v[66:67], v[194:195]
	ds_bpermute_b32 v141, v203, v200 offset:124
	v_pk_add_f32 v[66:67], v[66:67], v[196:197]
	s_nop 0
	v_pk_add_f32 v[138:139], v[66:67], v[198:199]
.LBB97_4:                               ;   in Loop: Header=BB97_5 Depth=1
	s_waitcnt lgkmcnt(0)
	v_sub_f32_e32 v0, v0, v141
	s_add_u32 s34, s34, s24
	v_mul_f32_e32 v0, v145, v0
	s_addc_u32 s35, s35, 0
	v_mov_b64_e32 v[136:137], s[12:13]
	v_mul_f32_e32 v67, v0, v140
	v_mov_b32_e32 v66, v145
	s_add_u32 s28, s28, s24
	v_cmp_lt_i64_e32 vcc, s[34:35], v[136:137]
	v_pk_add_f32 v[66:67], v[138:139], v[66:67]
	v_lshl_add_u64 v[6:7], v[6:7], 0, s[30:31]
	v_lshl_add_u64 v[8:9], v[8:9], 0, s[30:31]
	;; [unrolled: 1-line block ×65, first 2 shown]
	s_addc_u32 s29, s29, 0
	s_cbranch_vccz .LBB97_145
.LBB97_5:                               ; =>This Inner Loop Header: Depth=1
	s_add_u32 s36, s10, s28
	s_addc_u32 s37, 0, s29
	v_mov_b64_e32 v[136:137], s[12:13]
	v_cmp_ge_i64_e32 vcc, s[36:37], v[136:137]
	v_lshl_add_u64 v[136:137], s[10:11], 0, v[2:3]
	s_cbranch_vccz .LBB97_75
; %bb.6:                                ;   in Loop: Header=BB97_5 Depth=1
	s_load_dword s9, s[26:27], 0xc
	v_mov_b32_e32 v141, 0
	v_mov_b32_e32 v201, 0
	;; [unrolled: 1-line block ×3, first 2 shown]
	s_waitcnt lgkmcnt(0)
	s_and_b32 s9, s9, 0xffff
	v_mad_u32_u24 v0, v202, s9, v144
	v_and_b32_e32 v0, 63, v0
	v_cmp_gt_u32_e32 vcc, 32, v0
	s_and_saveexec_b64 s[36:37], vcc
	s_cbranch_execz .LBB97_10
; %bb.7:                                ;   in Loop: Header=BB97_5 Depth=1
	v_lshl_add_u64 v[138:139], v[136:137], 0, v[0:1]
	v_cmp_gt_i64_e32 vcc, s[12:13], v[138:139]
	v_mov_b32_e32 v204, 0
	v_mov_b32_e32 v201, 0
	s_and_saveexec_b64 s[38:39], vcc
	s_cbranch_execz .LBB97_9
; %bb.8:                                ;   in Loop: Header=BB97_5 Depth=1
	v_lshlrev_b64 v[138:139], 2, v[138:139]
	v_lshl_add_u64 v[142:143], s[22:23], 0, v[138:139]
	v_lshl_add_u64 v[138:139], s[20:21], 0, v[138:139]
	global_load_dword v204, v[138:139], off
	global_load_dword v201, v[142:143], off
.LBB97_9:                               ;   in Loop: Header=BB97_5 Depth=1
	s_or_b64 exec, exec, s[38:39]
.LBB97_10:                              ;   in Loop: Header=BB97_5 Depth=1
	s_or_b64 exec, exec, s[36:37]
	v_cmp_gt_i64_e32 vcc, s[12:13], v[136:137]
	s_and_b64 s[38:39], s[6:7], vcc
	v_mov_b32_e32 v138, 0
	s_and_saveexec_b64 s[36:37], s[38:39]
	s_cbranch_execz .LBB97_12
; %bb.11:                               ;   in Loop: Header=BB97_5 Depth=1
	v_lshl_add_u64 v[138:139], v[132:133], 0, v[4:5]
	v_lshl_add_u64 v[140:141], v[134:135], 0, v[4:5]
	global_load_ushort v0, v[140:141], off
	s_nop 0
	global_load_ushort v138, v[138:139], off
	s_waitcnt vmcnt(1)
	v_lshlrev_b32_e32 v141, 16, v0
	s_waitcnt vmcnt(0)
	v_lshlrev_b32_e32 v138, 16, v138
.LBB97_12:                              ;   in Loop: Header=BB97_5 Depth=1
	s_or_b64 exec, exec, s[36:37]
	v_lshl_add_u64 v[142:143], v[136:137], 0, 1
	v_cmp_gt_i64_e32 vcc, s[12:13], v[142:143]
	s_and_b64 s[38:39], s[6:7], vcc
	v_mov_b32_e32 v143, 0
	v_mov_b32_e32 v147, 0
	v_mov_b32_e32 v140, 0
	s_and_saveexec_b64 s[36:37], s[38:39]
	s_cbranch_execz .LBB97_14
; %bb.13:                               ;   in Loop: Header=BB97_5 Depth=1
	v_lshl_add_u64 v[148:149], v[130:131], 0, v[4:5]
	v_lshl_add_u64 v[146:147], v[128:129], 0, v[4:5]
	global_load_ushort v0, v[148:149], off
	global_load_ushort v139, v[146:147], off
	s_waitcnt vmcnt(1)
	v_lshlrev_b32_e32 v147, 16, v0
	s_waitcnt vmcnt(0)
	v_lshlrev_b32_e32 v140, 16, v139
.LBB97_14:                              ;   in Loop: Header=BB97_5 Depth=1
	s_or_b64 exec, exec, s[36:37]
	v_lshl_add_u64 v[148:149], v[136:137], 0, 2
	v_cmp_gt_i64_e32 vcc, s[12:13], v[148:149]
	s_and_b64 s[38:39], s[6:7], vcc
	v_mov_b32_e32 v142, 0
	s_and_saveexec_b64 s[36:37], s[38:39]
	s_cbranch_execz .LBB97_16
; %bb.15:                               ;   in Loop: Header=BB97_5 Depth=1
	v_lshl_add_u64 v[148:149], v[126:127], 0, v[4:5]
	v_lshl_add_u64 v[142:143], v[124:125], 0, v[4:5]
	global_load_ushort v0, v[148:149], off
	global_load_ushort v139, v[142:143], off
	s_waitcnt vmcnt(1)
	v_lshlrev_b32_e32 v143, 16, v0
	s_waitcnt vmcnt(0)
	v_lshlrev_b32_e32 v142, 16, v139
.LBB97_16:                              ;   in Loop: Header=BB97_5 Depth=1
	s_or_b64 exec, exec, s[36:37]
	v_lshl_add_u64 v[148:149], v[136:137], 0, 3
	v_cmp_gt_i64_e32 vcc, s[12:13], v[148:149]
	s_and_b64 s[38:39], s[6:7], vcc
	v_mov_b32_e32 v149, 0
	v_mov_b32_e32 v151, 0
	v_mov_b32_e32 v146, 0
	s_and_saveexec_b64 s[36:37], s[38:39]
	s_cbranch_execz .LBB97_18
; %bb.17:                               ;   in Loop: Header=BB97_5 Depth=1
	v_lshl_add_u64 v[152:153], v[122:123], 0, v[4:5]
	v_lshl_add_u64 v[150:151], v[120:121], 0, v[4:5]
	global_load_ushort v0, v[152:153], off
	global_load_ushort v139, v[150:151], off
	s_waitcnt vmcnt(1)
	v_lshlrev_b32_e32 v151, 16, v0
	s_waitcnt vmcnt(0)
	v_lshlrev_b32_e32 v146, 16, v139
.LBB97_18:                              ;   in Loop: Header=BB97_5 Depth=1
	s_or_b64 exec, exec, s[36:37]
	v_lshl_add_u64 v[152:153], v[136:137], 0, 4
	v_cmp_gt_i64_e32 vcc, s[12:13], v[152:153]
	s_and_b64 s[38:39], s[6:7], vcc
	v_mov_b32_e32 v148, 0
	s_and_saveexec_b64 s[36:37], s[38:39]
	s_cbranch_execz .LBB97_20
; %bb.19:                               ;   in Loop: Header=BB97_5 Depth=1
	v_lshl_add_u64 v[152:153], v[118:119], 0, v[4:5]
	v_lshl_add_u64 v[148:149], v[116:117], 0, v[4:5]
	global_load_ushort v0, v[152:153], off
	global_load_ushort v139, v[148:149], off
	s_waitcnt vmcnt(1)
	v_lshlrev_b32_e32 v149, 16, v0
	s_waitcnt vmcnt(0)
	v_lshlrev_b32_e32 v148, 16, v139
.LBB97_20:                              ;   in Loop: Header=BB97_5 Depth=1
	;; [unrolled: 36-line block ×15, first 2 shown]
	s_or_b64 exec, exec, s[36:37]
	v_lshl_add_u64 v[208:209], v[136:137], 0, 31
	v_cmp_gt_i64_e32 vcc, s[12:13], v[208:209]
	s_and_b64 s[38:39], s[6:7], vcc
	v_mov_b32_e32 v0, 0
	v_mov_b32_e32 v145, 0
	s_and_saveexec_b64 s[36:37], s[38:39]
	s_cbranch_execz .LBB97_74
; %bb.73:                               ;   in Loop: Header=BB97_5 Depth=1
	v_lshl_add_u64 v[210:211], v[8:9], 0, v[4:5]
	v_lshl_add_u64 v[208:209], v[6:7], 0, v[4:5]
	global_load_ushort v0, v[210:211], off
	global_load_ushort v139, v[208:209], off
	s_waitcnt vmcnt(1)
	v_lshlrev_b32_e32 v0, 16, v0
	s_waitcnt vmcnt(0)
	v_lshlrev_b32_e32 v145, 16, v139
.LBB97_74:                              ;   in Loop: Header=BB97_5 Depth=1
	s_or_b64 exec, exec, s[36:37]
	s_waitcnt vmcnt(1)
	ds_bpermute_b32 v139, v203, v204
	ds_bpermute_b32 v209, v203, v204 offset:4
	s_waitcnt vmcnt(0)
	ds_bpermute_b32 v169, v203, v201
	ds_bpermute_b32 v210, v203, v204 offset:8
	ds_bpermute_b32 v208, v203, v201 offset:4
	s_waitcnt lgkmcnt(4)
	v_sub_f32_e32 v139, v141, v139
	s_waitcnt lgkmcnt(3)
	v_sub_f32_e32 v141, v147, v209
	ds_bpermute_b32 v147, v203, v201 offset:8
	v_mul_f32_e32 v139, v138, v139
	s_waitcnt lgkmcnt(3)
	v_mul_f32_e32 v139, v139, v169
	s_waitcnt lgkmcnt(2)
	v_sub_f32_e32 v143, v143, v210
	ds_bpermute_b32 v169, v203, v204 offset:12
	v_mul_f32_e32 v143, v142, v143
	v_mul_f32_e32 v141, v140, v141
	s_waitcnt lgkmcnt(1)
	v_mul_f32_e32 v143, v143, v147
	ds_bpermute_b32 v147, v203, v201 offset:12
	v_mul_f32_e32 v141, v141, v208
	ds_bpermute_b32 v208, v203, v204 offset:16
	s_waitcnt lgkmcnt(2)
	v_sub_f32_e32 v151, v151, v169
	ds_bpermute_b32 v169, v203, v201 offset:16
	v_mul_f32_e32 v151, v146, v151
	s_waitcnt lgkmcnt(2)
	v_mul_f32_e32 v147, v151, v147
	ds_bpermute_b32 v151, v203, v204 offset:20
	s_waitcnt lgkmcnt(2)
	v_sub_f32_e32 v149, v149, v208
	v_mul_f32_e32 v149, v148, v149
	s_waitcnt lgkmcnt(1)
	v_mul_f32_e32 v149, v149, v169
	ds_bpermute_b32 v169, v203, v201 offset:20
	ds_bpermute_b32 v208, v203, v204 offset:24
	s_waitcnt lgkmcnt(2)
	v_sub_f32_e32 v151, v155, v151
	ds_bpermute_b32 v155, v203, v201 offset:24
	v_mul_f32_e32 v151, v150, v151
	s_waitcnt lgkmcnt(2)
	v_mul_f32_e32 v151, v151, v169
	s_waitcnt lgkmcnt(1)
	v_sub_f32_e32 v153, v153, v208
	ds_bpermute_b32 v169, v203, v204 offset:28
	v_mul_f32_e32 v153, v152, v153
	s_waitcnt lgkmcnt(1)
	v_mul_f32_e32 v153, v153, v155
	ds_bpermute_b32 v155, v203, v201 offset:28
	ds_bpermute_b32 v208, v203, v204 offset:32
	s_waitcnt lgkmcnt(2)
	v_sub_f32_e32 v157, v157, v169
	ds_bpermute_b32 v169, v203, v201 offset:32
	v_mul_f32_e32 v157, v156, v157
	s_waitcnt lgkmcnt(2)
	v_mul_f32_e32 v157, v157, v155
	s_waitcnt lgkmcnt(1)
	v_sub_f32_e32 v155, v159, v208
	ds_bpermute_b32 v208, v203, v204 offset:36
	v_mul_f32_e32 v155, v158, v155
	v_pk_add_f32 v[138:139], v[66:67], v[138:139]
	s_waitcnt lgkmcnt(1)
	v_mul_f32_e32 v159, v155, v169
	ds_bpermute_b32 v155, v203, v201 offset:36
	ds_bpermute_b32 v169, v203, v204 offset:40
	v_pk_add_f32 v[138:139], v[138:139], v[140:141]
	ds_bpermute_b32 v140, v203, v204 offset:44
	s_waitcnt lgkmcnt(3)
	v_sub_f32_e32 v165, v165, v208
	ds_bpermute_b32 v208, v203, v201 offset:40
	ds_bpermute_b32 v141, v203, v201 offset:44
	v_mul_f32_e32 v165, v164, v165
	s_waitcnt lgkmcnt(4)
	v_mul_f32_e32 v165, v165, v155
	s_waitcnt lgkmcnt(3)
	v_sub_f32_e32 v155, v163, v169
	v_pk_add_f32 v[138:139], v[138:139], v[142:143]
	s_waitcnt lgkmcnt(2)
	v_sub_f32_e32 v140, v167, v140
	ds_bpermute_b32 v142, v203, v204 offset:48
	v_mul_f32_e32 v155, v168, v155
	v_mul_f32_e32 v140, v154, v140
	s_waitcnt lgkmcnt(2)
	v_mul_f32_e32 v169, v155, v208
	s_waitcnt lgkmcnt(1)
	v_mul_f32_e32 v155, v140, v141
	ds_bpermute_b32 v140, v203, v201 offset:48
	ds_bpermute_b32 v141, v203, v204 offset:52
	ds_bpermute_b32 v143, v203, v201 offset:52
	s_waitcnt lgkmcnt(3)
	v_sub_f32_e32 v142, v161, v142
	v_mul_f32_e32 v142, v160, v142
	s_waitcnt lgkmcnt(2)
	v_mul_f32_e32 v161, v142, v140
	s_waitcnt lgkmcnt(1)
	v_sub_f32_e32 v140, v173, v141
	ds_bpermute_b32 v141, v203, v204 offset:56
	v_mul_f32_e32 v140, v162, v140
	s_waitcnt lgkmcnt(1)
	v_mul_f32_e32 v163, v140, v143
	ds_bpermute_b32 v140, v203, v201 offset:56
	ds_bpermute_b32 v142, v203, v204 offset:60
	ds_bpermute_b32 v143, v203, v201 offset:60
	s_waitcnt lgkmcnt(3)
	v_sub_f32_e32 v141, v171, v141
	v_mul_f32_e32 v141, v166, v141
	s_waitcnt lgkmcnt(2)
	v_mul_f32_e32 v167, v141, v140
	s_waitcnt lgkmcnt(1)
	v_sub_f32_e32 v140, v177, v142
	ds_bpermute_b32 v141, v203, v204 offset:64
	;; [unrolled: 14-line block ×4, first 2 shown]
	v_mul_f32_e32 v140, v180, v140
	s_waitcnt lgkmcnt(1)
	v_mul_f32_e32 v181, v140, v143
	ds_bpermute_b32 v140, v203, v201 offset:80
	ds_bpermute_b32 v142, v203, v204 offset:84
	;; [unrolled: 1-line block ×3, first 2 shown]
	s_waitcnt lgkmcnt(3)
	v_sub_f32_e32 v141, v183, v141
	v_mul_f32_e32 v141, v182, v141
	s_waitcnt lgkmcnt(2)
	v_mul_f32_e32 v183, v141, v140
	s_waitcnt lgkmcnt(1)
	v_sub_f32_e32 v140, v189, v142
	v_mul_f32_e32 v140, v188, v140
	s_waitcnt lgkmcnt(0)
	v_mul_f32_e32 v189, v140, v143
	ds_bpermute_b32 v140, v203, v204 offset:88
	ds_bpermute_b32 v141, v203, v201 offset:88
	;; [unrolled: 1-line block ×4, first 2 shown]
	v_pk_add_f32 v[138:139], v[138:139], v[146:147]
	s_waitcnt lgkmcnt(3)
	v_sub_f32_e32 v140, v185, v140
	v_mul_f32_e32 v140, v178, v140
	s_waitcnt lgkmcnt(2)
	v_mul_f32_e32 v179, v140, v141
	s_waitcnt lgkmcnt(1)
	v_sub_f32_e32 v140, v193, v142
	ds_bpermute_b32 v141, v203, v204 offset:96
	v_mul_f32_e32 v140, v184, v140
	s_waitcnt lgkmcnt(1)
	v_mul_f32_e32 v185, v140, v143
	ds_bpermute_b32 v140, v203, v201 offset:96
	ds_bpermute_b32 v142, v203, v204 offset:100
	;; [unrolled: 1-line block ×3, first 2 shown]
	s_waitcnt lgkmcnt(3)
	v_sub_f32_e32 v141, v191, v141
	v_pk_add_f32 v[138:139], v[138:139], v[148:149]
	v_mul_f32_e32 v141, v186, v141
	v_pk_add_f32 v[138:139], v[138:139], v[150:151]
	s_waitcnt lgkmcnt(2)
	v_mul_f32_e32 v187, v141, v140
	s_waitcnt lgkmcnt(1)
	v_sub_f32_e32 v140, v197, v142
	ds_bpermute_b32 v141, v203, v204 offset:104
	v_pk_add_f32 v[138:139], v[138:139], v[152:153]
	v_mul_f32_e32 v140, v190, v140
	v_pk_add_f32 v[138:139], v[138:139], v[156:157]
	s_waitcnt lgkmcnt(1)
	v_mul_f32_e32 v191, v140, v143
	ds_bpermute_b32 v140, v203, v201 offset:104
	ds_bpermute_b32 v142, v203, v204 offset:108
	v_pk_add_f32 v[138:139], v[138:139], v[158:159]
	ds_bpermute_b32 v143, v203, v201 offset:108
	v_pk_add_f32 v[138:139], v[138:139], v[164:165]
	s_waitcnt lgkmcnt(3)
	v_sub_f32_e32 v141, v195, v141
	v_pk_add_f32 v[138:139], v[138:139], v[168:169]
	v_mul_f32_e32 v141, v192, v141
	v_pk_add_f32 v[138:139], v[138:139], v[154:155]
	s_waitcnt lgkmcnt(2)
	v_mul_f32_e32 v193, v141, v140
	v_pk_add_f32 v[138:139], v[138:139], v[160:161]
	s_waitcnt lgkmcnt(1)
	v_sub_f32_e32 v140, v206, v142
	ds_bpermute_b32 v141, v203, v204 offset:112
	v_pk_add_f32 v[138:139], v[138:139], v[162:163]
	v_mul_f32_e32 v140, v194, v140
	v_pk_add_f32 v[138:139], v[138:139], v[166:167]
	s_waitcnt lgkmcnt(1)
	v_mul_f32_e32 v195, v140, v143
	ds_bpermute_b32 v140, v203, v201 offset:112
	ds_bpermute_b32 v142, v203, v204 offset:116
	v_pk_add_f32 v[138:139], v[138:139], v[170:171]
	ds_bpermute_b32 v143, v203, v201 offset:116
	v_pk_add_f32 v[138:139], v[138:139], v[172:173]
	s_waitcnt lgkmcnt(3)
	v_sub_f32_e32 v141, v199, v141
	v_pk_add_f32 v[138:139], v[138:139], v[174:175]
	v_mul_f32_e32 v141, v196, v141
	v_pk_add_f32 v[138:139], v[138:139], v[176:177]
	s_waitcnt lgkmcnt(2)
	v_mul_f32_e32 v197, v141, v140
	v_pk_add_f32 v[138:139], v[138:139], v[180:181]
	s_waitcnt lgkmcnt(1)
	v_sub_f32_e32 v140, v207, v142
	v_pk_add_f32 v[138:139], v[138:139], v[182:183]
	v_mul_f32_e32 v140, v198, v140
	v_pk_add_f32 v[138:139], v[138:139], v[188:189]
	s_waitcnt lgkmcnt(0)
	v_mul_f32_e32 v199, v140, v143
	ds_bpermute_b32 v140, v203, v204 offset:120
	v_pk_add_f32 v[138:139], v[138:139], v[178:179]
	ds_bpermute_b32 v142, v203, v201 offset:120
	v_pk_add_f32 v[138:139], v[138:139], v[184:185]
	;; [unrolled: 2-line block ×3, first 2 shown]
	s_waitcnt lgkmcnt(2)
	v_sub_f32_e32 v143, v205, v140
	v_pk_add_f32 v[138:139], v[138:139], v[190:191]
	ds_bpermute_b32 v140, v203, v201 offset:124
	v_pk_add_f32 v[138:139], v[138:139], v[192:193]
	v_mul_f32_e32 v143, v200, v143
	v_pk_add_f32 v[138:139], v[138:139], v[194:195]
	s_waitcnt lgkmcnt(2)
	v_mul_f32_e32 v201, v143, v142
	v_pk_add_f32 v[138:139], v[138:139], v[196:197]
	s_nop 0
	v_pk_add_f32 v[138:139], v[138:139], v[198:199]
	s_nop 0
	v_pk_add_f32 v[138:139], v[138:139], v[200:201]
	s_branch .LBB97_4
.LBB97_75:                              ;   in Loop: Header=BB97_5 Depth=1
                                        ; implicit-def: $vgpr145
                                        ; implicit-def: $vgpr0
                                        ; implicit-def: $vgpr138_vgpr139
                                        ; implicit-def: $vgpr140
                                        ; implicit-def: $vgpr141
	s_cbranch_execz .LBB97_4
; %bb.76:                               ;   in Loop: Header=BB97_5 Depth=1
	s_load_dword s9, s[26:27], 0x0
	v_mov_b32_e32 v139, 0
	v_mov_b32_e32 v199, 0
	;; [unrolled: 1-line block ×3, first 2 shown]
	s_waitcnt lgkmcnt(0)
	s_cmp_lt_u32 s2, s9
	s_cselect_b32 s9, 12, 18
	s_add_u32 s36, s26, s9
	s_addc_u32 s37, s27, 0
	global_load_ushort v0, v1, s[36:37]
	s_waitcnt vmcnt(0)
	v_mad_u32_u24 v0, v202, v0, v144
	v_and_b32_e32 v0, 63, v0
	v_cmp_gt_u32_e32 vcc, 32, v0
	s_and_saveexec_b64 s[36:37], vcc
	s_cbranch_execz .LBB97_80
; %bb.77:                               ;   in Loop: Header=BB97_5 Depth=1
	v_lshl_add_u64 v[136:137], v[136:137], 0, v[0:1]
	v_cmp_gt_i64_e32 vcc, s[12:13], v[136:137]
	v_mov_b32_e32 v200, 0
	v_mov_b32_e32 v199, 0
	s_and_saveexec_b64 s[38:39], vcc
	s_cbranch_execz .LBB97_79
; %bb.78:                               ;   in Loop: Header=BB97_5 Depth=1
	v_lshlrev_b64 v[136:137], 2, v[136:137]
	v_lshl_add_u64 v[140:141], s[22:23], 0, v[136:137]
	v_lshl_add_u64 v[136:137], s[20:21], 0, v[136:137]
	global_load_dword v200, v[136:137], off
	global_load_dword v199, v[140:141], off
.LBB97_79:                              ;   in Loop: Header=BB97_5 Depth=1
	s_or_b64 exec, exec, s[38:39]
.LBB97_80:                              ;   in Loop: Header=BB97_5 Depth=1
	s_or_b64 exec, exec, s[36:37]
	v_mov_b32_e32 v136, 0
	s_and_saveexec_b64 s[36:37], s[6:7]
	s_cbranch_execz .LBB97_82
; %bb.81:                               ;   in Loop: Header=BB97_5 Depth=1
	v_lshl_add_u64 v[136:137], v[132:133], 0, v[4:5]
	v_lshl_add_u64 v[138:139], v[134:135], 0, v[4:5]
	global_load_ushort v0, v[138:139], off
	s_nop 0
	global_load_ushort v136, v[136:137], off
	s_waitcnt vmcnt(1)
	v_lshlrev_b32_e32 v139, 16, v0
	s_waitcnt vmcnt(0)
	v_lshlrev_b32_e32 v136, 16, v136
.LBB97_82:                              ;   in Loop: Header=BB97_5 Depth=1
	s_or_b64 exec, exec, s[36:37]
	v_mov_b32_e32 v141, 0
	v_mov_b32_e32 v143, 0
	v_mov_b32_e32 v138, 0
	s_and_saveexec_b64 s[36:37], s[6:7]
	s_cbranch_execz .LBB97_84
; %bb.83:                               ;   in Loop: Header=BB97_5 Depth=1
	v_lshl_add_u64 v[146:147], v[130:131], 0, v[4:5]
	v_lshl_add_u64 v[142:143], v[128:129], 0, v[4:5]
	global_load_ushort v0, v[146:147], off
	global_load_ushort v137, v[142:143], off
	s_waitcnt vmcnt(1)
	v_lshlrev_b32_e32 v143, 16, v0
	s_waitcnt vmcnt(0)
	v_lshlrev_b32_e32 v138, 16, v137
.LBB97_84:                              ;   in Loop: Header=BB97_5 Depth=1
	s_or_b64 exec, exec, s[36:37]
	v_mov_b32_e32 v140, 0
	s_and_saveexec_b64 s[36:37], s[6:7]
	s_cbranch_execz .LBB97_86
; %bb.85:                               ;   in Loop: Header=BB97_5 Depth=1
	v_lshl_add_u64 v[146:147], v[126:127], 0, v[4:5]
	v_lshl_add_u64 v[140:141], v[124:125], 0, v[4:5]
	global_load_ushort v0, v[146:147], off
	global_load_ushort v137, v[140:141], off
	s_waitcnt vmcnt(1)
	v_lshlrev_b32_e32 v141, 16, v0
	s_waitcnt vmcnt(0)
	v_lshlrev_b32_e32 v140, 16, v137
.LBB97_86:                              ;   in Loop: Header=BB97_5 Depth=1
	s_or_b64 exec, exec, s[36:37]
	v_mov_b32_e32 v147, 0
	v_mov_b32_e32 v149, 0
	v_mov_b32_e32 v142, 0
	s_and_saveexec_b64 s[36:37], s[6:7]
	s_cbranch_execz .LBB97_88
; %bb.87:                               ;   in Loop: Header=BB97_5 Depth=1
	v_lshl_add_u64 v[150:151], v[122:123], 0, v[4:5]
	v_lshl_add_u64 v[148:149], v[120:121], 0, v[4:5]
	global_load_ushort v0, v[150:151], off
	global_load_ushort v137, v[148:149], off
	s_waitcnt vmcnt(1)
	v_lshlrev_b32_e32 v149, 16, v0
	s_waitcnt vmcnt(0)
	v_lshlrev_b32_e32 v142, 16, v137
.LBB97_88:                              ;   in Loop: Header=BB97_5 Depth=1
	s_or_b64 exec, exec, s[36:37]
	v_mov_b32_e32 v146, 0
	s_and_saveexec_b64 s[36:37], s[6:7]
	s_cbranch_execz .LBB97_90
; %bb.89:                               ;   in Loop: Header=BB97_5 Depth=1
	v_lshl_add_u64 v[150:151], v[118:119], 0, v[4:5]
	v_lshl_add_u64 v[146:147], v[116:117], 0, v[4:5]
	global_load_ushort v0, v[150:151], off
	global_load_ushort v137, v[146:147], off
	s_waitcnt vmcnt(1)
	v_lshlrev_b32_e32 v147, 16, v0
	s_waitcnt vmcnt(0)
	v_lshlrev_b32_e32 v146, 16, v137
.LBB97_90:                              ;   in Loop: Header=BB97_5 Depth=1
	;; [unrolled: 30-line block ×4, first 2 shown]
	s_or_b64 exec, exec, s[36:37]
	v_mov_b32_e32 v165, 0
	v_mov_b32_e32 v163, 0
	;; [unrolled: 1-line block ×3, first 2 shown]
	s_and_saveexec_b64 s[36:37], s[6:7]
	s_cbranch_execz .LBB97_100
; %bb.99:                               ;   in Loop: Header=BB97_5 Depth=1
	v_lshl_add_u64 v[162:163], v[98:99], 0, v[4:5]
	v_lshl_add_u64 v[160:161], v[96:97], 0, v[4:5]
	global_load_ushort v0, v[162:163], off
	global_load_ushort v137, v[160:161], off
	s_waitcnt vmcnt(1)
	v_lshlrev_b32_e32 v163, 16, v0
	s_waitcnt vmcnt(0)
	v_lshlrev_b32_e32 v162, 16, v137
.LBB97_100:                             ;   in Loop: Header=BB97_5 Depth=1
	s_or_b64 exec, exec, s[36:37]
	v_mov_b32_e32 v166, 0
	s_and_saveexec_b64 s[36:37], s[6:7]
	s_cbranch_execz .LBB97_102
; %bb.101:                              ;   in Loop: Header=BB97_5 Depth=1
	v_lshl_add_u64 v[164:165], v[94:95], 0, v[4:5]
	v_lshl_add_u64 v[160:161], v[92:93], 0, v[4:5]
	global_load_ushort v0, v[164:165], off
	global_load_ushort v137, v[160:161], off
	s_waitcnt vmcnt(1)
	v_lshlrev_b32_e32 v165, 16, v0
	s_waitcnt vmcnt(0)
	v_lshlrev_b32_e32 v166, 16, v137
.LBB97_102:                             ;   in Loop: Header=BB97_5 Depth=1
	s_or_b64 exec, exec, s[36:37]
	v_mov_b32_e32 v161, 0
	v_mov_b32_e32 v169, 0
	v_mov_b32_e32 v150, 0
	s_and_saveexec_b64 s[36:37], s[6:7]
	s_cbranch_execz .LBB97_104
; %bb.103:                              ;   in Loop: Header=BB97_5 Depth=1
	v_lshl_add_u64 v[170:171], v[90:91], 0, v[4:5]
	v_lshl_add_u64 v[168:169], v[88:89], 0, v[4:5]
	global_load_ushort v0, v[170:171], off
	global_load_ushort v137, v[168:169], off
	s_waitcnt vmcnt(1)
	v_lshlrev_b32_e32 v169, 16, v0
	s_waitcnt vmcnt(0)
	v_lshlrev_b32_e32 v150, 16, v137
.LBB97_104:                             ;   in Loop: Header=BB97_5 Depth=1
	s_or_b64 exec, exec, s[36:37]
	v_mov_b32_e32 v154, 0
	s_and_saveexec_b64 s[36:37], s[6:7]
	s_cbranch_execz .LBB97_106
; %bb.105:                              ;   in Loop: Header=BB97_5 Depth=1
	v_lshl_add_u64 v[170:171], v[86:87], 0, v[4:5]
	v_lshl_add_u64 v[160:161], v[84:85], 0, v[4:5]
	global_load_ushort v0, v[170:171], off
	global_load_ushort v137, v[160:161], off
	s_waitcnt vmcnt(1)
	v_lshlrev_b32_e32 v161, 16, v0
	s_waitcnt vmcnt(0)
	v_lshlrev_b32_e32 v154, 16, v137
.LBB97_106:                             ;   in Loop: Header=BB97_5 Depth=1
	s_or_b64 exec, exec, s[36:37]
	v_mov_b32_e32 v171, 0
	v_mov_b32_e32 v173, 0
	v_mov_b32_e32 v160, 0
	s_and_saveexec_b64 s[36:37], s[6:7]
	s_cbranch_execz .LBB97_108
; %bb.107:                              ;   in Loop: Header=BB97_5 Depth=1
	v_lshl_add_u64 v[174:175], v[82:83], 0, v[4:5]
	v_lshl_add_u64 v[172:173], v[80:81], 0, v[4:5]
	global_load_ushort v0, v[174:175], off
	global_load_ushort v137, v[172:173], off
	s_waitcnt vmcnt(1)
	v_lshlrev_b32_e32 v173, 16, v0
	s_waitcnt vmcnt(0)
	v_lshlrev_b32_e32 v160, 16, v137
.LBB97_108:                             ;   in Loop: Header=BB97_5 Depth=1
	;; [unrolled: 30-line block ×10, first 2 shown]
	s_or_b64 exec, exec, s[36:37]
	v_mov_b32_e32 v198, 0
	s_and_saveexec_b64 s[36:37], s[6:7]
	s_cbranch_execz .LBB97_142
; %bb.141:                              ;   in Loop: Header=BB97_5 Depth=1
	v_lshl_add_u64 v[210:211], v[12:13], 0, v[4:5]
	v_lshl_add_u64 v[208:209], v[10:11], 0, v[4:5]
	global_load_ushort v0, v[210:211], off
	global_load_ushort v137, v[208:209], off
	s_waitcnt vmcnt(1)
	v_lshlrev_b32_e32 v204, 16, v0
	s_waitcnt vmcnt(0)
	v_lshlrev_b32_e32 v198, 16, v137
.LBB97_142:                             ;   in Loop: Header=BB97_5 Depth=1
	s_or_b64 exec, exec, s[36:37]
	v_mov_b32_e32 v0, 0
	v_mov_b32_e32 v145, 0
	s_and_saveexec_b64 s[36:37], s[6:7]
	s_cbranch_execz .LBB97_3
; %bb.143:                              ;   in Loop: Header=BB97_5 Depth=1
	v_lshl_add_u64 v[210:211], v[8:9], 0, v[4:5]
	v_lshl_add_u64 v[208:209], v[6:7], 0, v[4:5]
	global_load_ushort v0, v[210:211], off
	global_load_ushort v137, v[208:209], off
	s_waitcnt vmcnt(1)
	v_lshlrev_b32_e32 v0, 16, v0
	s_waitcnt vmcnt(0)
	v_lshlrev_b32_e32 v145, 16, v137
	s_branch .LBB97_3
.LBB97_144:
                                        ; implicit-def: $vgpr66_vgpr67
	s_branch .LBB97_146
.LBB97_145:
	s_cbranch_execnz .LBB97_226
.LBB97_146:
	s_mov_b32 s7, 0
	s_mov_b32 s6, s7
	s_and_b64 vcc, exec, s[4:5]
	v_mov_b64_e32 v[66:67], s[6:7]
	s_cbranch_vccnz .LBB97_226
; %bb.147:
	v_and_b32_e32 v0, 0x3ff, v212
	v_accvgpr_write_b32 a1, v0
	v_add_u32_e32 v74, s3, v0
	v_mov_b32_e32 v75, 0
	v_bfe_u32 v0, v212, 10, 10
	v_lshlrev_b64 v[6:7], 1, v[74:75]
	v_lshlrev_b32_e32 v74, 6, v0
	v_lshlrev_b32_e32 v72, 5, v0
	v_accvgpr_write_b32 a4, v0
	v_lshl_add_u64 v[0:1], s[10:11], 1, v[74:75]
	v_lshl_add_u64 v[42:43], v[0:1], 0, 2
	v_mov_b64_e32 v[10:11], s[16:17]
	v_mad_u64_u32 v[2:3], s[24:25], s14, v42, v[10:11]
	v_mul_lo_u32 v4, s14, v43
	v_mul_lo_u32 v5, s15, v42
	v_add3_u32 v3, v5, v3, v4
	v_accvgpr_write_b32 a9, v3
	v_lshl_add_u64 v[50:51], v[0:1], 0, 4
	v_accvgpr_write_b32 a8, v2
	v_mad_u64_u32 v[2:3], s[26:27], s14, v50, v[10:11]
	v_mul_lo_u32 v43, s14, v51
	v_mul_lo_u32 v51, s15, v50
	v_add3_u32 v3, v51, v3, v43
	v_accvgpr_write_b32 a11, v3
	v_lshl_add_u64 v[52:53], v[0:1], 0, 6
	v_accvgpr_write_b32 a10, v2
	;; [unrolled: 7-line block ×29, first 2 shown]
	v_mad_u64_u32 v[2:3], s[26:27], s14, v8, v[10:11]
	v_mul_lo_u32 v132, s14, v9
	v_mul_lo_u32 v133, s15, v8
	v_add3_u32 v3, v133, v3, v132
	v_accvgpr_write_b32 a67, v3
	v_accvgpr_write_b32 a66, v2
	v_lshl_add_u64 v[2:3], v[0:1], 0, 62
	v_mad_u64_u32 v[0:1], s[26:27], s14, v2, v[10:11]
	v_mul_lo_u32 v134, s14, v3
	v_mul_lo_u32 v135, s15, v2
	v_add3_u32 v1, v135, v1, v134
	v_mov_b32_e32 v73, v75
	v_accvgpr_write_b32 a69, v1
	v_accvgpr_write_b32 a68, v0
	v_lshl_add_u64 v[0:1], v[72:73], 0, s[10:11]
	v_mul_lo_u32 v3, s15, v0
	v_mul_lo_u32 v9, s14, v1
	v_mad_u64_u32 v[10:11], s[26:27], s14, v0, 0
	v_add3_u32 v11, v11, v9, v3
	v_lshlrev_b64 v[10:11], 1, v[10:11]
	v_lshl_add_u64 v[70:71], s[16:17], 0, v[10:11]
	v_accvgpr_write_b32 a70, v70
	v_accvgpr_write_b32 a71, v71
	v_mov_b64_e32 v[70:71], s[18:19]
	v_mad_u64_u32 v[92:93], s[26:27], s14, v56, v[70:71]
	v_add3_u32 v93, v94, v93, v57
	v_mad_u64_u32 v[94:95], s[26:27], s14, v48, v[70:71]
	v_add3_u32 v95, v96, v95, v49
	;; [unrolled: 2-line block ×11, first 2 shown]
	v_mad_u64_u32 v[114:115], s[26:27], s14, v26, v[70:71]
	v_mad_u64_u32 v[86:87], s[26:27], s14, v42, v[70:71]
	v_add3_u32 v115, v116, v115, v27
	v_mad_u64_u32 v[116:117], s[26:27], s14, v24, v[70:71]
	v_add3_u32 v87, v5, v87, v4
	;; [unrolled: 2-line block ×4, first 2 shown]
	v_add3_u32 v119, v120, v119, v23
	v_mad_u64_u32 v[120:121], s[26:27], s14, v20, v[70:71]
	v_accvgpr_write_b32 a75, v5
	v_add3_u32 v121, v122, v121, v21
	v_mad_u64_u32 v[122:123], s[26:27], s14, v18, v[70:71]
	v_accvgpr_write_b32 a74, v4
	v_mad_u64_u32 v[4:5], s[26:27], s14, v52, v[70:71]
	v_add3_u32 v123, v124, v123, v19
	v_mad_u64_u32 v[124:125], s[26:27], s14, v16, v[70:71]
	v_add3_u32 v5, v74, v5, v53
	v_add3_u32 v125, v126, v125, v17
	v_mad_u64_u32 v[126:127], s[26:27], s14, v14, v[70:71]
	v_accvgpr_write_b32 a77, v5
	v_add3_u32 v127, v128, v127, v15
	v_mad_u64_u32 v[128:129], s[26:27], s14, v12, v[70:71]
	v_accvgpr_write_b32 a76, v4
	v_mad_u64_u32 v[4:5], s[26:27], s14, v54, v[70:71]
	v_add3_u32 v129, v130, v129, v13
	v_mad_u64_u32 v[130:131], s[26:27], s14, v8, v[70:71]
	v_add3_u32 v5, v80, v5, v55
	v_add3_u32 v131, v133, v131, v132
	v_mad_u64_u32 v[132:133], s[26:27], s14, v2, v[70:71]
	v_accvgpr_write_b32 a79, v5
	v_add3_u32 v133, v135, v133, v134
	v_lshl_add_u64 v[134:135], s[18:19], 0, v[10:11]
	v_lshl_add_u64 v[10:11], v[0:1], 0, 31
	v_accvgpr_write_b32 a78, v4
	v_mul_lo_u32 v2, s15, v10
	v_mul_lo_u32 v4, s14, v11
	v_mad_u64_u32 v[10:11], s[28:29], s14, v10, 0
	v_add3_u32 v11, v11, v4, v2
	v_lshlrev_b64 v[10:11], 1, v[10:11]
	v_lshl_add_u64 v[136:137], s[16:17], 0, v[10:11]
	v_lshl_add_u64 v[138:139], s[18:19], 0, v[10:11]
	v_lshl_add_u64 v[10:11], v[0:1], 0, 30
	v_mul_lo_u32 v2, s15, v10
	v_mul_lo_u32 v4, s14, v11
	v_mad_u64_u32 v[10:11], s[28:29], s14, v10, 0
	v_add3_u32 v11, v11, v4, v2
	v_lshlrev_b64 v[10:11], 1, v[10:11]
	v_lshl_add_u64 v[140:141], s[16:17], 0, v[10:11]
	v_lshl_add_u64 v[142:143], s[18:19], 0, v[10:11]
	v_lshl_add_u64 v[10:11], v[0:1], 0, 29
	;; [unrolled: 8-line block ×19, first 2 shown]
	v_mul_lo_u32 v2, s15, v10
	v_mul_lo_u32 v4, s14, v11
	v_mad_u64_u32 v[10:11], s[28:29], s14, v10, 0
	v_add3_u32 v11, v11, v4, v2
	v_lshlrev_b64 v[10:11], 1, v[10:11]
	v_accvgpr_write_b32 a0, v212
	v_lshl_add_u64 v[212:213], s[16:17], 0, v[10:11]
	v_lshl_add_u64 v[214:215], s[18:19], 0, v[10:11]
	v_lshl_add_u64 v[10:11], v[0:1], 0, 11
	v_mul_lo_u32 v2, s15, v10
	v_mul_lo_u32 v4, s14, v11
	v_mad_u64_u32 v[10:11], s[28:29], s14, v10, 0
	v_add3_u32 v11, v11, v4, v2
	v_lshlrev_b64 v[10:11], 1, v[10:11]
	v_lshl_add_u64 v[216:217], s[16:17], 0, v[10:11]
	v_lshl_add_u64 v[218:219], s[18:19], 0, v[10:11]
	v_lshl_add_u64 v[10:11], v[0:1], 0, 10
	v_mul_lo_u32 v2, s15, v10
	v_mul_lo_u32 v4, s14, v11
	v_mad_u64_u32 v[10:11], s[28:29], s14, v10, 0
	v_add3_u32 v11, v11, v4, v2
	v_lshlrev_b64 v[10:11], 1, v[10:11]
	;; [unrolled: 8-line block ×4, first 2 shown]
	v_lshl_add_u64 v[228:229], s[16:17], 0, v[10:11]
	v_lshl_add_u64 v[230:231], s[18:19], 0, v[10:11]
	v_lshl_add_u64 v[10:11], v[0:1], 0, 7
	v_mul_lo_u32 v2, s15, v10
	v_mul_lo_u32 v4, s14, v11
	v_mad_u64_u32 v[10:11], s[28:29], s14, v10, 0
	v_lshl_add_u64 v[12:13], v[0:1], 0, 6
	v_add3_u32 v11, v11, v4, v2
	v_mul_lo_u32 v2, s15, v12
	v_mul_lo_u32 v4, s14, v13
	v_mad_u64_u32 v[12:13], s[28:29], s14, v12, 0
	v_lshl_add_u64 v[14:15], v[0:1], 0, 5
	v_add3_u32 v13, v13, v4, v2
	;; [unrolled: 5-line block ×5, first 2 shown]
	v_mul_lo_u32 v1, s15, v20
	v_mul_lo_u32 v2, s14, v21
	v_mad_u64_u32 v[20:21], s[28:29], s14, v20, 0
	v_mov_b64_e32 v[22:23], s[14:15]
	s_load_dword s3, s[0:1], 0x44
	v_add3_u32 v21, v21, v2, v1
	v_mad_u64_u32 v[0:1], s[28:29], s14, v0, v[22:23]
	v_add3_u32 v1, v3, v1, v9
	v_lshlrev_b64 v[2:3], 1, v[14:15]
	v_lshl_add_u64 v[240:241], s[16:17], 0, v[2:3]
	v_lshl_add_u64 v[242:243], s[18:19], 0, v[2:3]
	v_lshlrev_b64 v[2:3], 1, v[16:17]
	v_lshl_add_u64 v[244:245], s[16:17], 0, v[2:3]
	v_lshl_add_u64 v[246:247], s[18:19], 0, v[2:3]
	v_lshlrev_b64 v[2:3], 1, v[18:19]
	s_add_u32 s4, s0, 64
	v_lshl_add_u64 v[248:249], s[16:17], 0, v[2:3]
	v_lshl_add_u64 v[250:251], s[18:19], 0, v[2:3]
	v_lshlrev_b64 v[2:3], 1, v[20:21]
	v_lshlrev_b64 v[0:1], 1, v[0:1]
	s_addc_u32 s5, s1, 0
	s_waitcnt lgkmcnt(0)
	s_lshl_b32 s6, s3, 5
	v_mad_u64_u32 v[80:81], s[26:27], s14, v58, v[70:71]
	v_lshl_add_u64 v[252:253], s[16:17], 0, v[2:3]
	v_lshl_add_u64 v[254:255], s[18:19], 0, v[2:3]
	;; [unrolled: 1-line block ×4, first 2 shown]
	v_mbcnt_lo_u32_b32 v0, -1, 0
	s_mul_i32 s3, s15, s6
	s_mul_hi_u32 s9, s14, s6
	v_accvgpr_write_b32 a72, v86
	v_add3_u32 v81, v82, v81, v59
	v_mad_u64_u32 v[82:83], s[26:27], s14, v62, v[70:71]
	v_lshlrev_b64 v[10:11], 1, v[10:11]
	v_mbcnt_hi_u32_b32 v0, -1, v0
	s_add_i32 s25, s9, s3
	s_mul_i32 s24, s14, s6
	v_accvgpr_write_b32 a73, v87
	v_add3_u32 v83, v84, v83, v63
	v_mad_u64_u32 v[84:85], s[26:27], s14, v64, v[70:71]
	v_mad_u64_u32 v[86:87], s[26:27], s14, v68, v[70:71]
	;; [unrolled: 1-line block ×4, first 2 shown]
	v_lshl_add_u64 v[232:233], s[16:17], 0, v[10:11]
	v_lshl_add_u64 v[234:235], s[18:19], 0, v[10:11]
	v_lshlrev_b64 v[10:11], 1, v[12:13]
	v_lshlrev_b32_e32 v0, 2, v0
	s_lshl_b64 s[24:25], s[24:25], 1
	v_add3_u32 v85, v76, v85, v65
	v_add3_u32 v87, v77, v87, v69
	;; [unrolled: 1-line block ×4, first 2 shown]
	s_mov_b64 s[26:27], 31
	v_lshl_add_u64 v[236:237], s[16:17], 0, v[10:11]
	v_lshl_add_u64 v[238:239], s[18:19], 0, v[10:11]
	v_and_b32_e32 v76, 0x100, v0
	v_mov_b32_e32 v0, v75
	v_accvgpr_write_b32 a3, v75
	v_mov_b32_e32 v1, v75
	s_mov_b64 s[16:17], s[10:11]
	s_branch .LBB97_151
.LBB97_148:                             ;   in Loop: Header=BB97_151 Depth=1
	s_or_b64 exec, exec, s[28:29]
.LBB97_149:                             ;   in Loop: Header=BB97_151 Depth=1
	s_or_b64 exec, exec, s[18:19]
	v_accvgpr_read_b32 v4, a70
	v_accvgpr_read_b32 v5, a71
	v_lshl_add_u64 v[10:11], v[4:5], 0, v[6:7]
	global_load_ushort v4, v[10:11], off
	v_lshl_add_u64 v[12:13], v[134:135], 0, v[6:7]
	v_lshl_add_u64 v[68:69], v[130:131], 0, v[6:7]
	s_waitcnt vmcnt(0)
	v_lshlrev_b32_e32 v10, 16, v4
	global_load_ushort v4, v[12:13], off
	s_waitcnt vmcnt(0)
	v_lshlrev_b32_e32 v11, 16, v4
	v_accvgpr_read_b32 v4, a8
	v_accvgpr_read_b32 v5, a9
	v_lshl_add_u64 v[12:13], v[4:5], 0, v[6:7]
	global_load_ushort v4, v[12:13], off
	s_waitcnt vmcnt(0)
	v_lshlrev_b32_e32 v36, 16, v4
	v_accvgpr_read_b32 v4, a72
	v_accvgpr_read_b32 v5, a73
	v_lshl_add_u64 v[12:13], v[4:5], 0, v[6:7]
	;; [unrolled: 6-line block ×9, first 2 shown]
	global_load_ushort v4, v[12:13], off
	v_lshl_add_u64 v[12:13], v[80:81], 0, v[6:7]
	s_waitcnt vmcnt(0)
	v_lshlrev_b32_e32 v44, 16, v4
	global_load_ushort v4, v[12:13], off
	s_waitcnt vmcnt(0)
	v_lshlrev_b32_e32 v45, 16, v4
	v_accvgpr_read_b32 v4, a18
	v_accvgpr_read_b32 v5, a19
	v_lshl_add_u64 v[12:13], v[4:5], 0, v[6:7]
	global_load_ushort v4, v[12:13], off
	v_lshl_add_u64 v[12:13], v[82:83], 0, v[6:7]
	s_waitcnt vmcnt(0)
	v_lshlrev_b32_e32 v46, 16, v4
	global_load_ushort v4, v[12:13], off
	s_waitcnt vmcnt(0)
	v_lshlrev_b32_e32 v47, 16, v4
	v_accvgpr_read_b32 v4, a20
	v_accvgpr_read_b32 v5, a21
	v_lshl_add_u64 v[12:13], v[4:5], 0, v[6:7]
	;; [unrolled: 10-line block ×23, first 2 shown]
	global_load_ushort v4, v[12:13], off
	v_lshl_add_u64 v[12:13], v[126:127], 0, v[6:7]
	s_waitcnt vmcnt(0)
	v_lshlrev_b32_e32 v4, 16, v4
	v_accvgpr_write_b32 a80, v4
	global_load_ushort v4, v[12:13], off
	s_waitcnt vmcnt(0)
	v_lshlrev_b32_e32 v77, 16, v4
	v_accvgpr_read_b32 v4, a64
	v_accvgpr_read_b32 v5, a65
	v_lshl_add_u64 v[12:13], v[4:5], 0, v[6:7]
	global_load_ushort v4, v[12:13], off
	v_lshl_add_u64 v[12:13], v[128:129], 0, v[6:7]
	s_waitcnt vmcnt(0)
	v_lshlrev_b32_e32 v66, 16, v4
	global_load_ushort v4, v[12:13], off
	s_waitcnt vmcnt(0)
	v_lshlrev_b32_e32 v4, 16, v4
	v_accvgpr_write_b32 a5, v4
	v_accvgpr_read_b32 v4, a66
	v_accvgpr_read_b32 v5, a67
	v_lshl_add_u64 v[12:13], v[4:5], 0, v[6:7]
	global_load_ushort v4, v[12:13], off
	s_waitcnt vmcnt(0)
	v_lshlrev_b32_e32 v12, 16, v4
	global_load_ushort v4, v[68:69], off
	s_waitcnt vmcnt(0)
	v_lshlrev_b32_e32 v13, 16, v4
	v_accvgpr_read_b32 v4, a68
	v_accvgpr_read_b32 v5, a69
	v_lshl_add_u64 v[68:69], v[4:5], 0, v[6:7]
	global_load_ushort v4, v[68:69], off
	v_lshl_add_u64 v[68:69], v[132:133], 0, v[6:7]
	ds_bpermute_b32 v5, v76, v56
	s_waitcnt lgkmcnt(0)
	v_sub_f32_e32 v5, v11, v5
	v_mul_f32_e32 v5, v5, v10
	s_waitcnt vmcnt(0)
	v_lshlrev_b32_e32 v4, 16, v4
	v_accvgpr_write_b32 a2, v4
	global_load_ushort v4, v[68:69], off
	s_waitcnt vmcnt(0)
	v_lshlrev_b32_e32 v68, 16, v4
	ds_bpermute_b32 v4, v76, v57
	s_waitcnt lgkmcnt(0)
	v_mul_f32_e32 v11, v5, v4
	ds_bpermute_b32 v5, v76, v56 offset:4
	ds_bpermute_b32 v4, v76, v57 offset:4
	v_pk_add_f32 v[0:1], v[0:1], v[10:11]
	v_accvgpr_read_b32 v10, a80
	s_waitcnt lgkmcnt(1)
	v_sub_f32_e32 v5, v37, v5
	v_mul_f32_e32 v5, v5, v36
	s_waitcnt lgkmcnt(0)
	v_mul_f32_e32 v37, v5, v4
	ds_bpermute_b32 v5, v76, v56 offset:8
	ds_bpermute_b32 v4, v76, v57 offset:8
	v_pk_add_f32 v[0:1], v[0:1], v[36:37]
	s_waitcnt lgkmcnt(1)
	v_sub_f32_e32 v5, v39, v5
	v_mul_f32_e32 v5, v5, v38
	s_waitcnt lgkmcnt(0)
	v_mul_f32_e32 v39, v5, v4
	ds_bpermute_b32 v5, v76, v56 offset:12
	ds_bpermute_b32 v4, v76, v57 offset:12
	v_pk_add_f32 v[0:1], v[0:1], v[38:39]
	;; [unrolled: 8-line block ×11, first 2 shown]
	v_accvgpr_read_b32 v14, a5
	s_waitcnt lgkmcnt(1)
	v_sub_f32_e32 v5, v17, v5
	v_mul_f32_e32 v5, v5, v16
	s_waitcnt lgkmcnt(0)
	v_mul_f32_e32 v17, v5, v4
	ds_bpermute_b32 v5, v76, v56 offset:52
	ds_bpermute_b32 v4, v76, v57 offset:52
	v_pk_add_f32 v[0:1], v[0:1], v[16:17]
	s_waitcnt lgkmcnt(1)
	v_sub_f32_e32 v5, v19, v5
	v_mul_f32_e32 v5, v5, v18
	s_waitcnt lgkmcnt(0)
	v_mul_f32_e32 v19, v5, v4
	ds_bpermute_b32 v5, v76, v56 offset:56
	ds_bpermute_b32 v4, v76, v57 offset:56
	v_pk_add_f32 v[0:1], v[0:1], v[18:19]
	;; [unrolled: 8-line block ×17, first 2 shown]
	v_accvgpr_read_b32 v10, a2
	s_waitcnt lgkmcnt(1)
	v_sub_f32_e32 v5, v14, v5
	v_mul_f32_e32 v5, v5, v66
	s_waitcnt lgkmcnt(0)
	v_mul_f32_e32 v67, v5, v4
	ds_bpermute_b32 v5, v76, v56 offset:120
	ds_bpermute_b32 v4, v76, v57 offset:120
	v_pk_add_f32 v[0:1], v[0:1], v[66:67]
	s_waitcnt lgkmcnt(1)
	v_sub_f32_e32 v5, v13, v5
	v_mul_f32_e32 v5, v5, v12
	s_waitcnt lgkmcnt(0)
	v_mul_f32_e32 v13, v5, v4
	ds_bpermute_b32 v5, v76, v56 offset:124
	ds_bpermute_b32 v4, v76, v57 offset:124
	v_pk_add_f32 v[0:1], v[0:1], v[12:13]
	s_waitcnt lgkmcnt(1)
	v_sub_f32_e32 v5, v68, v5
	v_mul_f32_e32 v5, v5, v10
	s_waitcnt lgkmcnt(0)
	v_mul_f32_e32 v11, v5, v4
	v_pk_add_f32 v[66:67], v[0:1], v[10:11]
.LBB97_150:                             ;   in Loop: Header=BB97_151 Depth=1
	s_add_u32 s16, s16, s6
	s_addc_u32 s17, s17, 0
	v_mov_b64_e32 v[0:1], s[12:13]
	v_cmp_ge_i64_e32 vcc, s[16:17], v[0:1]
	v_accvgpr_read_b32 v0, a8
	v_accvgpr_read_b32 v1, a9
	v_lshl_add_u64 v[0:1], v[0:1], 0, s[24:25]
	v_accvgpr_write_b32 a9, v1
	v_accvgpr_write_b32 a8, v0
	v_accvgpr_read_b32 v0, a10
	v_accvgpr_read_b32 v1, a11
	v_lshl_add_u64 v[0:1], v[0:1], 0, s[24:25]
	v_accvgpr_write_b32 a11, v1
	v_accvgpr_write_b32 a10, v0
	;; [unrolled: 5-line block ×35, first 2 shown]
	v_accvgpr_read_b32 v0, a78
	v_accvgpr_read_b32 v1, a79
	;; [unrolled: 1-line block ×3, first 2 shown]
	v_lshl_add_u64 v[0:1], v[0:1], 0, s[24:25]
	v_accvgpr_read_b32 v72, a6
	v_accvgpr_write_b32 a79, v1
	s_add_u32 s26, s26, s6
	v_lshl_add_u64 v[72:73], v[72:73], 0, s[6:7]
	v_accvgpr_write_b32 a78, v0
	v_lshl_add_u64 v[80:81], v[80:81], 0, s[24:25]
	v_lshl_add_u64 v[82:83], v[82:83], 0, s[24:25]
	v_lshl_add_u64 v[84:85], v[84:85], 0, s[24:25]
	v_lshl_add_u64 v[86:87], v[86:87], 0, s[24:25]
	v_lshl_add_u64 v[88:89], v[88:89], 0, s[24:25]
	v_lshl_add_u64 v[90:91], v[90:91], 0, s[24:25]
	v_lshl_add_u64 v[92:93], v[92:93], 0, s[24:25]
	v_lshl_add_u64 v[94:95], v[94:95], 0, s[24:25]
	v_lshl_add_u64 v[96:97], v[96:97], 0, s[24:25]
	v_lshl_add_u64 v[98:99], v[98:99], 0, s[24:25]
	v_lshl_add_u64 v[100:101], v[100:101], 0, s[24:25]
	v_lshl_add_u64 v[102:103], v[102:103], 0, s[24:25]
	v_lshl_add_u64 v[104:105], v[104:105], 0, s[24:25]
	v_lshl_add_u64 v[106:107], v[106:107], 0, s[24:25]
	v_lshl_add_u64 v[108:109], v[108:109], 0, s[24:25]
	v_lshl_add_u64 v[110:111], v[110:111], 0, s[24:25]
	v_lshl_add_u64 v[112:113], v[112:113], 0, s[24:25]
	v_lshl_add_u64 v[114:115], v[114:115], 0, s[24:25]
	v_lshl_add_u64 v[116:117], v[116:117], 0, s[24:25]
	v_lshl_add_u64 v[118:119], v[118:119], 0, s[24:25]
	v_lshl_add_u64 v[120:121], v[120:121], 0, s[24:25]
	v_lshl_add_u64 v[122:123], v[122:123], 0, s[24:25]
	v_lshl_add_u64 v[124:125], v[124:125], 0, s[24:25]
	v_lshl_add_u64 v[126:127], v[126:127], 0, s[24:25]
	v_lshl_add_u64 v[128:129], v[128:129], 0, s[24:25]
	v_lshl_add_u64 v[130:131], v[130:131], 0, s[24:25]
	v_lshl_add_u64 v[132:133], v[132:133], 0, s[24:25]
	v_lshl_add_u64 v[134:135], v[134:135], 0, s[24:25]
	v_lshl_add_u64 v[136:137], v[136:137], 0, s[24:25]
	v_lshl_add_u64 v[138:139], v[138:139], 0, s[24:25]
	v_lshl_add_u64 v[140:141], v[140:141], 0, s[24:25]
	v_lshl_add_u64 v[142:143], v[142:143], 0, s[24:25]
	v_lshl_add_u64 v[144:145], v[144:145], 0, s[24:25]
	v_lshl_add_u64 v[146:147], v[146:147], 0, s[24:25]
	v_lshl_add_u64 v[148:149], v[148:149], 0, s[24:25]
	v_lshl_add_u64 v[150:151], v[150:151], 0, s[24:25]
	v_lshl_add_u64 v[152:153], v[152:153], 0, s[24:25]
	v_lshl_add_u64 v[154:155], v[154:155], 0, s[24:25]
	v_lshl_add_u64 v[156:157], v[156:157], 0, s[24:25]
	v_lshl_add_u64 v[158:159], v[158:159], 0, s[24:25]
	v_lshl_add_u64 v[160:161], v[160:161], 0, s[24:25]
	v_lshl_add_u64 v[162:163], v[162:163], 0, s[24:25]
	v_lshl_add_u64 v[164:165], v[164:165], 0, s[24:25]
	v_lshl_add_u64 v[166:167], v[166:167], 0, s[24:25]
	v_lshl_add_u64 v[168:169], v[168:169], 0, s[24:25]
	v_lshl_add_u64 v[170:171], v[170:171], 0, s[24:25]
	v_lshl_add_u64 v[172:173], v[172:173], 0, s[24:25]
	v_lshl_add_u64 v[174:175], v[174:175], 0, s[24:25]
	v_lshl_add_u64 v[176:177], v[176:177], 0, s[24:25]
	v_lshl_add_u64 v[178:179], v[178:179], 0, s[24:25]
	v_lshl_add_u64 v[180:181], v[180:181], 0, s[24:25]
	v_lshl_add_u64 v[182:183], v[182:183], 0, s[24:25]
	v_lshl_add_u64 v[184:185], v[184:185], 0, s[24:25]
	v_lshl_add_u64 v[186:187], v[186:187], 0, s[24:25]
	v_lshl_add_u64 v[188:189], v[188:189], 0, s[24:25]
	v_lshl_add_u64 v[190:191], v[190:191], 0, s[24:25]
	v_lshl_add_u64 v[192:193], v[192:193], 0, s[24:25]
	v_lshl_add_u64 v[194:195], v[194:195], 0, s[24:25]
	v_lshl_add_u64 v[196:197], v[196:197], 0, s[24:25]
	v_lshl_add_u64 v[198:199], v[198:199], 0, s[24:25]
	v_lshl_add_u64 v[200:201], v[200:201], 0, s[24:25]
	v_lshl_add_u64 v[202:203], v[202:203], 0, s[24:25]
	v_lshl_add_u64 v[204:205], v[204:205], 0, s[24:25]
	v_lshl_add_u64 v[206:207], v[206:207], 0, s[24:25]
	v_lshl_add_u64 v[208:209], v[208:209], 0, s[24:25]
	v_lshl_add_u64 v[210:211], v[210:211], 0, s[24:25]
	v_lshl_add_u64 v[212:213], v[212:213], 0, s[24:25]
	v_lshl_add_u64 v[214:215], v[214:215], 0, s[24:25]
	v_lshl_add_u64 v[216:217], v[216:217], 0, s[24:25]
	v_lshl_add_u64 v[218:219], v[218:219], 0, s[24:25]
	v_lshl_add_u64 v[220:221], v[220:221], 0, s[24:25]
	v_lshl_add_u64 v[222:223], v[222:223], 0, s[24:25]
	v_lshl_add_u64 v[224:225], v[224:225], 0, s[24:25]
	v_lshl_add_u64 v[226:227], v[226:227], 0, s[24:25]
	v_lshl_add_u64 v[228:229], v[228:229], 0, s[24:25]
	v_lshl_add_u64 v[230:231], v[230:231], 0, s[24:25]
	v_lshl_add_u64 v[232:233], v[232:233], 0, s[24:25]
	v_lshl_add_u64 v[234:235], v[234:235], 0, s[24:25]
	v_lshl_add_u64 v[236:237], v[236:237], 0, s[24:25]
	v_lshl_add_u64 v[238:239], v[238:239], 0, s[24:25]
	v_lshl_add_u64 v[240:241], v[240:241], 0, s[24:25]
	v_lshl_add_u64 v[242:243], v[242:243], 0, s[24:25]
	v_lshl_add_u64 v[244:245], v[244:245], 0, s[24:25]
	v_lshl_add_u64 v[246:247], v[246:247], 0, s[24:25]
	v_lshl_add_u64 v[248:249], v[248:249], 0, s[24:25]
	v_lshl_add_u64 v[250:251], v[250:251], 0, s[24:25]
	v_lshl_add_u64 v[252:253], v[252:253], 0, s[24:25]
	v_lshl_add_u64 v[254:255], v[254:255], 0, s[24:25]
	v_lshl_add_u64 v[2:3], v[2:3], 0, s[24:25]
	v_lshl_add_u64 v[8:9], v[8:9], 0, s[24:25]
	s_addc_u32 s27, s27, 0
	v_mov_b32_e32 v0, v66
	v_mov_b32_e32 v1, v67
	s_cbranch_vccnz .LBB97_225
.LBB97_151:                             ; =>This Inner Loop Header: Depth=1
	s_add_u32 s18, s10, s26
	s_addc_u32 s19, 0, s27
	v_mov_b64_e32 v[10:11], s[12:13]
	v_cmp_ge_i64_e32 vcc, s[18:19], v[10:11]
	v_accvgpr_write_b32 a6, v72
	v_accvgpr_write_b32 a7, v73
	v_lshl_add_u64 v[12:13], s[10:11], 0, v[72:73]
	s_cbranch_vccz .LBB97_221
; %bb.152:                              ;   in Loop: Header=BB97_151 Depth=1
	s_load_dword s3, s[4:5], 0xc
	v_accvgpr_read_b32 v4, a1
	v_accvgpr_read_b32 v5, a4
	v_mov_b32_e32 v29, 0
	v_mov_b32_e32 v77, 0
	s_waitcnt lgkmcnt(0)
	s_and_b32 s3, s3, 0xffff
	v_mad_u32_u24 v4, v5, s3, v4
	v_and_b32_e32 v4, 63, v4
	v_accvgpr_read_b32 v5, a3
	v_accvgpr_write_b32 a2, v4
	v_accvgpr_write_b32 a3, v5
	v_cmp_gt_u32_e32 vcc, 32, v4
	v_mov_b32_e32 v53, 0
	s_and_saveexec_b64 s[18:19], vcc
	s_cbranch_execz .LBB97_156
; %bb.153:                              ;   in Loop: Header=BB97_151 Depth=1
	v_accvgpr_read_b32 v5, a3
	v_accvgpr_read_b32 v4, a2
	v_lshl_add_u64 v[10:11], v[12:13], 0, v[4:5]
	v_cmp_gt_i64_e32 vcc, s[12:13], v[10:11]
	v_mov_b32_e32 v53, 0
	v_mov_b32_e32 v77, 0
	s_and_saveexec_b64 s[28:29], vcc
	s_cbranch_execz .LBB97_155
; %bb.154:                              ;   in Loop: Header=BB97_151 Depth=1
	v_lshlrev_b64 v[10:11], 2, v[10:11]
	v_lshl_add_u64 v[14:15], s[22:23], 0, v[10:11]
	v_lshl_add_u64 v[10:11], s[20:21], 0, v[10:11]
	global_load_dword v53, v[10:11], off
	global_load_dword v77, v[14:15], off
.LBB97_155:                             ;   in Loop: Header=BB97_151 Depth=1
	s_or_b64 exec, exec, s[28:29]
.LBB97_156:                             ;   in Loop: Header=BB97_151 Depth=1
	s_or_b64 exec, exec, s[18:19]
	v_cmp_gt_i64_e32 vcc, s[12:13], v[12:13]
	v_mov_b32_e32 v28, 0
	s_and_saveexec_b64 s[18:19], vcc
	s_cbranch_execz .LBB97_158
; %bb.157:                              ;   in Loop: Header=BB97_151 Depth=1
	v_accvgpr_read_b32 v4, a70
	v_accvgpr_read_b32 v5, a71
	v_lshl_add_u64 v[14:15], v[134:135], 0, v[6:7]
	v_lshl_add_u64 v[10:11], v[4:5], 0, v[6:7]
	global_load_ushort v4, v[14:15], off
	global_load_ushort v5, v[10:11], off
	s_waitcnt vmcnt(1)
	v_lshlrev_b32_e32 v29, 16, v4
	s_waitcnt vmcnt(0)
	v_lshlrev_b32_e32 v28, 16, v5
.LBB97_158:                             ;   in Loop: Header=BB97_151 Depth=1
	s_or_b64 exec, exec, s[18:19]
	v_lshl_add_u64 v[10:11], v[12:13], 0, 1
	v_cmp_gt_i64_e32 vcc, s[12:13], v[10:11]
	v_mov_b32_e32 v41, 0
	v_mov_b32_e32 v35, 0
	v_mov_b32_e32 v34, 0
	s_and_saveexec_b64 s[18:19], vcc
	s_cbranch_execz .LBB97_160
; %bb.159:                              ;   in Loop: Header=BB97_151 Depth=1
	v_lshl_add_u64 v[14:15], v[8:9], 0, v[6:7]
	v_lshl_add_u64 v[10:11], v[2:3], 0, v[6:7]
	global_load_ushort v4, v[14:15], off
	global_load_ushort v5, v[10:11], off
	s_waitcnt vmcnt(1)
	v_lshlrev_b32_e32 v35, 16, v4
	s_waitcnt vmcnt(0)
	v_lshlrev_b32_e32 v34, 16, v5
.LBB97_160:                             ;   in Loop: Header=BB97_151 Depth=1
	s_or_b64 exec, exec, s[18:19]
	v_lshl_add_u64 v[10:11], v[12:13], 0, 2
	v_cmp_gt_i64_e32 vcc, s[12:13], v[10:11]
	v_mov_b32_e32 v40, 0
	s_and_saveexec_b64 s[18:19], vcc
	s_cbranch_execz .LBB97_162
; %bb.161:                              ;   in Loop: Header=BB97_151 Depth=1
	v_lshl_add_u64 v[14:15], v[254:255], 0, v[6:7]
	v_lshl_add_u64 v[10:11], v[252:253], 0, v[6:7]
	global_load_ushort v4, v[14:15], off
	global_load_ushort v5, v[10:11], off
	s_waitcnt vmcnt(1)
	v_lshlrev_b32_e32 v41, 16, v4
	s_waitcnt vmcnt(0)
	v_lshlrev_b32_e32 v40, 16, v5
.LBB97_162:                             ;   in Loop: Header=BB97_151 Depth=1
	s_or_b64 exec, exec, s[18:19]
	v_lshl_add_u64 v[10:11], v[12:13], 0, 3
	v_cmp_gt_i64_e32 vcc, s[12:13], v[10:11]
	v_mov_b32_e32 v55, 0
	v_mov_b32_e32 v47, 0
	v_mov_b32_e32 v46, 0
	s_and_saveexec_b64 s[18:19], vcc
	s_cbranch_execz .LBB97_164
; %bb.163:                              ;   in Loop: Header=BB97_151 Depth=1
	v_lshl_add_u64 v[14:15], v[250:251], 0, v[6:7]
	v_lshl_add_u64 v[10:11], v[248:249], 0, v[6:7]
	global_load_ushort v4, v[14:15], off
	global_load_ushort v5, v[10:11], off
	s_waitcnt vmcnt(1)
	v_lshlrev_b32_e32 v47, 16, v4
	s_waitcnt vmcnt(0)
	v_lshlrev_b32_e32 v46, 16, v5
.LBB97_164:                             ;   in Loop: Header=BB97_151 Depth=1
	s_or_b64 exec, exec, s[18:19]
	v_lshl_add_u64 v[10:11], v[12:13], 0, 4
	v_cmp_gt_i64_e32 vcc, s[12:13], v[10:11]
	v_mov_b32_e32 v54, 0
	s_and_saveexec_b64 s[18:19], vcc
	s_cbranch_execz .LBB97_166
; %bb.165:                              ;   in Loop: Header=BB97_151 Depth=1
	v_lshl_add_u64 v[14:15], v[246:247], 0, v[6:7]
	v_lshl_add_u64 v[10:11], v[244:245], 0, v[6:7]
	global_load_ushort v4, v[14:15], off
	global_load_ushort v5, v[10:11], off
	s_waitcnt vmcnt(1)
	v_lshlrev_b32_e32 v55, 16, v4
	s_waitcnt vmcnt(0)
	v_lshlrev_b32_e32 v54, 16, v5
.LBB97_166:                             ;   in Loop: Header=BB97_151 Depth=1
	;; [unrolled: 34-line block ×14, first 2 shown]
	s_or_b64 exec, exec, s[18:19]
	v_lshl_add_u64 v[48:49], v[12:13], 0, 29
	v_cmp_gt_i64_e32 vcc, s[12:13], v[48:49]
	v_mov_b32_e32 v52, 0
	v_mov_b32_e32 v49, 0
	;; [unrolled: 1-line block ×3, first 2 shown]
	s_and_saveexec_b64 s[18:19], vcc
	s_cbranch_execz .LBB97_216
; %bb.215:                              ;   in Loop: Header=BB97_151 Depth=1
	v_lshl_add_u64 v[78:79], v[146:147], 0, v[6:7]
	v_lshl_add_u64 v[48:49], v[144:145], 0, v[6:7]
	global_load_ushort v4, v[78:79], off
	global_load_ushort v5, v[48:49], off
	s_waitcnt vmcnt(1)
	v_lshlrev_b32_e32 v49, 16, v4
	s_waitcnt vmcnt(0)
	v_lshlrev_b32_e32 v48, 16, v5
.LBB97_216:                             ;   in Loop: Header=BB97_151 Depth=1
	s_or_b64 exec, exec, s[18:19]
	v_lshl_add_u64 v[78:79], v[12:13], 0, 30
	v_cmp_gt_i64_e32 vcc, s[12:13], v[78:79]
	v_mov_b32_e32 v56, 0
	s_and_saveexec_b64 s[18:19], vcc
	s_cbranch_execz .LBB97_218
; %bb.217:                              ;   in Loop: Header=BB97_151 Depth=1
	v_lshl_add_u64 v[4:5], v[142:143], 0, v[6:7]
	v_lshl_add_u64 v[78:79], v[140:141], 0, v[6:7]
	global_load_ushort v4, v[4:5], off
	s_nop 0
	global_load_ushort v5, v[78:79], off
	s_waitcnt vmcnt(1)
	v_lshlrev_b32_e32 v52, 16, v4
	s_waitcnt vmcnt(0)
	v_lshlrev_b32_e32 v56, 16, v5
.LBB97_218:                             ;   in Loop: Header=BB97_151 Depth=1
	s_or_b64 exec, exec, s[18:19]
	v_lshl_add_u64 v[4:5], v[12:13], 0, 31
	v_accvgpr_write_b32 a2, v52
	v_cmp_gt_i64_e32 vcc, s[12:13], v[4:5]
	v_mov_b32_e32 v78, 0
	v_mov_b32_e32 v52, 0
	s_and_saveexec_b64 s[18:19], vcc
	s_cbranch_execz .LBB97_220
; %bb.219:                              ;   in Loop: Header=BB97_151 Depth=1
	v_lshl_add_u64 v[4:5], v[136:137], 0, v[6:7]
	v_lshl_add_u64 v[78:79], v[138:139], 0, v[6:7]
	global_load_ushort v52, v[78:79], off
	s_nop 0
	global_load_ushort v4, v[4:5], off
	s_waitcnt vmcnt(1)
	v_lshlrev_b32_e32 v78, 16, v52
	s_waitcnt vmcnt(0)
	v_lshlrev_b32_e32 v52, 16, v4
.LBB97_220:                             ;   in Loop: Header=BB97_151 Depth=1
	s_or_b64 exec, exec, s[18:19]
	s_waitcnt vmcnt(1)
	ds_bpermute_b32 v5, v76, v53
	s_waitcnt vmcnt(0)
	ds_bpermute_b32 v4, v76, v77
	s_waitcnt lgkmcnt(1)
	v_sub_f32_e32 v5, v29, v5
	v_mul_f32_e32 v5, v28, v5
	s_waitcnt lgkmcnt(0)
	v_mul_f32_e32 v29, v5, v4
	ds_bpermute_b32 v5, v76, v53 offset:4
	ds_bpermute_b32 v4, v76, v77 offset:4
	s_waitcnt lgkmcnt(1)
	v_sub_f32_e32 v5, v35, v5
	v_mul_f32_e32 v5, v34, v5
	s_waitcnt lgkmcnt(0)
	v_mul_f32_e32 v35, v5, v4
	ds_bpermute_b32 v5, v76, v53 offset:8
	ds_bpermute_b32 v4, v76, v77 offset:8
	;; [unrolled: 7-line block ×10, first 2 shown]
	s_waitcnt lgkmcnt(1)
	v_sub_f32_e32 v5, v69, v5
	v_mul_f32_e32 v5, v74, v5
	s_waitcnt lgkmcnt(0)
	v_mul_f32_e32 v75, v5, v4
	v_pk_add_f32 v[4:5], v[0:1], v[28:29]
	s_nop 0
	v_pk_add_f32 v[4:5], v[4:5], v[34:35]
	s_nop 0
	;; [unrolled: 2-line block ×10, first 2 shown]
	v_pk_add_f32 v[10:11], v[4:5], v[74:75]
	ds_bpermute_b32 v5, v76, v53 offset:44
	ds_bpermute_b32 v4, v76, v77 offset:44
	s_waitcnt lgkmcnt(1)
	v_sub_f32_e32 v5, v15, v5
	v_mul_f32_e32 v5, v14, v5
	s_waitcnt lgkmcnt(0)
	v_mul_f32_e32 v15, v5, v4
	ds_bpermute_b32 v5, v76, v53 offset:48
	ds_bpermute_b32 v4, v76, v77 offset:48
	s_waitcnt lgkmcnt(1)
	v_sub_f32_e32 v5, v19, v5
	v_mul_f32_e32 v5, v18, v5
	s_waitcnt lgkmcnt(0)
	v_mul_f32_e32 v19, v5, v4
	;; [unrolled: 7-line block ×11, first 2 shown]
	v_pk_add_f32 v[4:5], v[10:11], v[14:15]
	ds_bpermute_b32 v11, v76, v53 offset:88
	ds_bpermute_b32 v10, v76, v77 offset:88
	v_pk_add_f32 v[4:5], v[4:5], v[18:19]
	v_accvgpr_read_b32 v14, a2
	v_pk_add_f32 v[4:5], v[4:5], v[22:23]
	s_waitcnt lgkmcnt(1)
	v_sub_f32_e32 v11, v17, v11
	v_mul_f32_e32 v11, v66, v11
	s_waitcnt lgkmcnt(0)
	v_mul_f32_e32 v67, v11, v10
	ds_bpermute_b32 v11, v76, v53 offset:92
	ds_bpermute_b32 v10, v76, v77 offset:92
	v_pk_add_f32 v[4:5], v[4:5], v[26:27]
	s_waitcnt lgkmcnt(1)
	v_sub_f32_e32 v11, v57, v11
	v_mul_f32_e32 v11, v16, v11
	s_waitcnt lgkmcnt(0)
	v_mul_f32_e32 v17, v11, v10
	ds_bpermute_b32 v11, v76, v53 offset:96
	ds_bpermute_b32 v10, v76, v77 offset:96
	;; [unrolled: 8-line block ×8, first 2 shown]
	v_pk_add_f32 v[4:5], v[4:5], v[68:69]
	s_waitcnt lgkmcnt(1)
	v_sub_f32_e32 v11, v14, v11
	v_mul_f32_e32 v11, v56, v11
	v_pk_add_f32 v[4:5], v[4:5], v[66:67]
	s_waitcnt lgkmcnt(0)
	v_mul_f32_e32 v57, v11, v10
	v_pk_add_f32 v[4:5], v[4:5], v[16:17]
	ds_bpermute_b32 v11, v76, v53 offset:124
	v_pk_add_f32 v[4:5], v[4:5], v[20:21]
	ds_bpermute_b32 v10, v76, v77 offset:124
	v_pk_add_f32 v[4:5], v[4:5], v[24:25]
	s_waitcnt lgkmcnt(1)
	v_sub_f32_e32 v11, v78, v11
	v_pk_add_f32 v[4:5], v[4:5], v[30:31]
	v_mul_f32_e32 v11, v52, v11
	v_pk_add_f32 v[4:5], v[4:5], v[36:37]
	s_waitcnt lgkmcnt(0)
	v_mul_f32_e32 v53, v11, v10
	v_pk_add_f32 v[4:5], v[4:5], v[42:43]
	s_nop 0
	v_pk_add_f32 v[4:5], v[4:5], v[48:49]
	s_nop 0
	;; [unrolled: 2-line block ×3, first 2 shown]
	v_pk_add_f32 v[66:67], v[4:5], v[52:53]
	s_branch .LBB97_150
.LBB97_221:                             ;   in Loop: Header=BB97_151 Depth=1
                                        ; implicit-def: $vgpr66_vgpr67
	s_cbranch_execz .LBB97_150
; %bb.222:                              ;   in Loop: Header=BB97_151 Depth=1
	s_load_dword s3, s[4:5], 0x0
	v_accvgpr_read_b32 v11, a3
	v_accvgpr_read_b32 v5, a1
	;; [unrolled: 1-line block ×3, first 2 shown]
	v_mov_b32_e32 v57, 0
	s_waitcnt lgkmcnt(0)
	s_cmp_lt_u32 s2, s3
	s_cselect_b32 s3, 12, 18
	s_add_u32 s18, s4, s3
	s_addc_u32 s19, s5, 0
	global_load_ushort v4, v11, s[18:19]
	v_mov_b32_e32 v56, 0
	s_waitcnt vmcnt(0)
	v_mad_u32_u24 v4, v10, v4, v5
	v_and_b32_e32 v10, 63, v4
	v_accvgpr_write_b32 a2, v10
	v_accvgpr_write_b32 a3, v11
	v_cmp_gt_u32_e32 vcc, 32, v10
	s_and_saveexec_b64 s[18:19], vcc
	s_cbranch_execz .LBB97_149
; %bb.223:                              ;   in Loop: Header=BB97_151 Depth=1
	v_accvgpr_read_b32 v5, a3
	v_accvgpr_read_b32 v4, a2
	v_lshl_add_u64 v[10:11], v[12:13], 0, v[4:5]
	v_cmp_gt_i64_e32 vcc, s[12:13], v[10:11]
	v_mov_b32_e32 v56, 0
	v_mov_b32_e32 v57, 0
	s_and_saveexec_b64 s[28:29], vcc
	s_cbranch_execz .LBB97_148
; %bb.224:                              ;   in Loop: Header=BB97_151 Depth=1
	v_lshlrev_b64 v[10:11], 2, v[10:11]
	v_lshl_add_u64 v[12:13], s[22:23], 0, v[10:11]
	v_lshl_add_u64 v[10:11], s[20:21], 0, v[10:11]
	global_load_dword v56, v[10:11], off
	global_load_dword v57, v[12:13], off
	s_branch .LBB97_148
.LBB97_225:
	v_accvgpr_read_b32 v212, a0
.LBB97_226:
	s_mov_b32 s3, 0
	s_lshl_b64 s[2:3], s[2:3], 6
	v_and_b32_e32 v0, 0x3ff, v212
	v_or_b32_e32 v0, s2, v0
	v_mov_b32_e32 v1, s3
	v_cmp_gt_i64_e32 vcc, s[14:15], v[0:1]
	s_and_saveexec_b64 s[2:3], vcc
	s_cbranch_execz .LBB97_231
; %bb.227:
	s_load_dword s2, s[0:1], 0x4c
	s_load_dwordx4 s[4:7], s[0:1], 0x30
	v_bfe_u32 v2, v212, 10, 10
	v_mov_b32_e32 v3, 0
	v_mov_b32_e32 v4, s8
	s_waitcnt lgkmcnt(0)
	s_lshr_b32 s0, s2, 16
	v_mad_u64_u32 v[2:3], s[0:1], s0, v4, v[2:3]
	s_cmp_eq_u64 s[4:5], 0
	v_mul_lo_u32 v3, v3, s14
	v_mul_lo_u32 v4, v2, s15
	s_cbranch_scc1 .LBB97_229
; %bb.228:
	v_bfe_u32 v5, v67, 16, 1
	s_movk_i32 s0, 0x7fff
	v_add3_u32 v5, v67, v5, s0
	v_lshrrev_b32_e32 v5, 16, v5
	v_mov_b32_e32 v6, 0x7fc0
	v_cmp_o_f32_e32 vcc, v67, v67
	s_nop 1
	v_cndmask_b32_e32 v5, v6, v5, vcc
	v_mad_u64_u32 v[6:7], s[0:1], v2, s14, 0
	v_add3_u32 v7, v7, v4, v3
	v_lshl_add_u64 v[6:7], v[6:7], 1, s[4:5]
	v_lshl_add_u64 v[6:7], v[0:1], 1, v[6:7]
	global_store_short v[6:7], v5, off
.LBB97_229:
	s_cmp_eq_u64 s[6:7], 0
	s_cbranch_scc1 .LBB97_231
; %bb.230:
	v_bfe_u32 v5, v66, 16, 1
	s_movk_i32 s0, 0x7fff
	v_add3_u32 v5, v66, v5, s0
	v_lshrrev_b32_e32 v5, 16, v5
	v_mov_b32_e32 v6, 0x7fc0
	v_cmp_o_f32_e32 vcc, v66, v66
	s_nop 1
	v_cndmask_b32_e32 v5, v6, v5, vcc
	v_mad_u64_u32 v[6:7], s[0:1], v2, s14, 0
	v_add3_u32 v7, v7, v4, v3
	v_lshl_add_u64 v[2:3], v[6:7], 1, s[6:7]
	v_lshl_add_u64 v[0:1], v[0:1], 1, v[2:3]
	global_store_short v[0:1], v5, off
.LBB97_231:
	s_endpgm
	.section	.rodata,"a",@progbits
	.p2align	6, 0x0
	.amdhsa_kernel _ZN2at6native12_GLOBAL__N_135GammaBetaBackwardCUDAKernelTemplateIN3c108BFloat16EfLj64ELj1ELj32ELb1ELb0ELb0EEEvllPKT_S7_PKT0_SA_PS5_SB_
		.amdhsa_group_segment_fixed_size 0
		.amdhsa_private_segment_fixed_size 0
		.amdhsa_kernarg_size 320
		.amdhsa_user_sgpr_count 2
		.amdhsa_user_sgpr_dispatch_ptr 0
		.amdhsa_user_sgpr_queue_ptr 0
		.amdhsa_user_sgpr_kernarg_segment_ptr 1
		.amdhsa_user_sgpr_dispatch_id 0
		.amdhsa_user_sgpr_kernarg_preload_length 0
		.amdhsa_user_sgpr_kernarg_preload_offset 0
		.amdhsa_user_sgpr_private_segment_size 0
		.amdhsa_uses_dynamic_stack 0
		.amdhsa_enable_private_segment 0
		.amdhsa_system_sgpr_workgroup_id_x 1
		.amdhsa_system_sgpr_workgroup_id_y 1
		.amdhsa_system_sgpr_workgroup_id_z 0
		.amdhsa_system_sgpr_workgroup_info 0
		.amdhsa_system_vgpr_workitem_id 1
		.amdhsa_next_free_vgpr 337
		.amdhsa_next_free_sgpr 40
		.amdhsa_accum_offset 256
		.amdhsa_reserve_vcc 1
		.amdhsa_float_round_mode_32 0
		.amdhsa_float_round_mode_16_64 0
		.amdhsa_float_denorm_mode_32 3
		.amdhsa_float_denorm_mode_16_64 3
		.amdhsa_dx10_clamp 1
		.amdhsa_ieee_mode 1
		.amdhsa_fp16_overflow 0
		.amdhsa_tg_split 0
		.amdhsa_exception_fp_ieee_invalid_op 0
		.amdhsa_exception_fp_denorm_src 0
		.amdhsa_exception_fp_ieee_div_zero 0
		.amdhsa_exception_fp_ieee_overflow 0
		.amdhsa_exception_fp_ieee_underflow 0
		.amdhsa_exception_fp_ieee_inexact 0
		.amdhsa_exception_int_div_zero 0
	.end_amdhsa_kernel
	.section	.text._ZN2at6native12_GLOBAL__N_135GammaBetaBackwardCUDAKernelTemplateIN3c108BFloat16EfLj64ELj1ELj32ELb1ELb0ELb0EEEvllPKT_S7_PKT0_SA_PS5_SB_,"axG",@progbits,_ZN2at6native12_GLOBAL__N_135GammaBetaBackwardCUDAKernelTemplateIN3c108BFloat16EfLj64ELj1ELj32ELb1ELb0ELb0EEEvllPKT_S7_PKT0_SA_PS5_SB_,comdat
.Lfunc_end97:
	.size	_ZN2at6native12_GLOBAL__N_135GammaBetaBackwardCUDAKernelTemplateIN3c108BFloat16EfLj64ELj1ELj32ELb1ELb0ELb0EEEvllPKT_S7_PKT0_SA_PS5_SB_, .Lfunc_end97-_ZN2at6native12_GLOBAL__N_135GammaBetaBackwardCUDAKernelTemplateIN3c108BFloat16EfLj64ELj1ELj32ELb1ELb0ELb0EEEvllPKT_S7_PKT0_SA_PS5_SB_
                                        ; -- End function
	.section	.AMDGPU.csdata,"",@progbits
; Kernel info:
; codeLenInByte = 25960
; NumSgprs: 46
; NumVgprs: 256
; NumAgprs: 81
; TotalNumVgprs: 337
; ScratchSize: 0
; MemoryBound: 0
; FloatMode: 240
; IeeeMode: 1
; LDSByteSize: 0 bytes/workgroup (compile time only)
; SGPRBlocks: 5
; VGPRBlocks: 42
; NumSGPRsForWavesPerEU: 46
; NumVGPRsForWavesPerEU: 337
; AccumOffset: 256
; Occupancy: 1
; WaveLimiterHint : 0
; COMPUTE_PGM_RSRC2:SCRATCH_EN: 0
; COMPUTE_PGM_RSRC2:USER_SGPR: 2
; COMPUTE_PGM_RSRC2:TRAP_HANDLER: 0
; COMPUTE_PGM_RSRC2:TGID_X_EN: 1
; COMPUTE_PGM_RSRC2:TGID_Y_EN: 1
; COMPUTE_PGM_RSRC2:TGID_Z_EN: 0
; COMPUTE_PGM_RSRC2:TIDIG_COMP_CNT: 1
; COMPUTE_PGM_RSRC3_GFX90A:ACCUM_OFFSET: 63
; COMPUTE_PGM_RSRC3_GFX90A:TG_SPLIT: 0
	.section	.text._ZN2at6native12_GLOBAL__N_135GammaBetaBackwardCUDAKernelTemplateIN3c108BFloat16EfLj64ELj1ELj8ELb1ELb1ELb0EEEvllPKT_S7_PKT0_SA_PS5_SB_,"axG",@progbits,_ZN2at6native12_GLOBAL__N_135GammaBetaBackwardCUDAKernelTemplateIN3c108BFloat16EfLj64ELj1ELj8ELb1ELb1ELb0EEEvllPKT_S7_PKT0_SA_PS5_SB_,comdat
	.globl	_ZN2at6native12_GLOBAL__N_135GammaBetaBackwardCUDAKernelTemplateIN3c108BFloat16EfLj64ELj1ELj8ELb1ELb1ELb0EEEvllPKT_S7_PKT0_SA_PS5_SB_ ; -- Begin function _ZN2at6native12_GLOBAL__N_135GammaBetaBackwardCUDAKernelTemplateIN3c108BFloat16EfLj64ELj1ELj8ELb1ELb1ELb0EEEvllPKT_S7_PKT0_SA_PS5_SB_
	.p2align	8
	.type	_ZN2at6native12_GLOBAL__N_135GammaBetaBackwardCUDAKernelTemplateIN3c108BFloat16EfLj64ELj1ELj8ELb1ELb1ELb0EEEvllPKT_S7_PKT0_SA_PS5_SB_,@function
_ZN2at6native12_GLOBAL__N_135GammaBetaBackwardCUDAKernelTemplateIN3c108BFloat16EfLj64ELj1ELj8ELb1ELb1ELb0EEEvllPKT_S7_PKT0_SA_PS5_SB_: ; @_ZN2at6native12_GLOBAL__N_135GammaBetaBackwardCUDAKernelTemplateIN3c108BFloat16EfLj64ELj1ELj8ELb1ELb1ELb0EEEvllPKT_S7_PKT0_SA_PS5_SB_
; %bb.0:
	s_load_dwordx4 s[16:19], s[0:1], 0x0
	s_lshl_b32 s6, s3, 3
	s_mov_b32 s7, 0
	s_mov_b32 s4, s3
	v_bfe_u32 v1, v0, 10, 10
	s_waitcnt lgkmcnt(0)
	v_mov_b64_e32 v[2:3], s[16:17]
	v_cmp_lt_i64_e32 vcc, s[6:7], v[2:3]
	s_cbranch_vccnz .LBB98_2
; %bb.1:
	s_add_u32 s24, s0, 64
	s_addc_u32 s25, s1, 0
	s_mov_b64 s[8:9], 0
	v_bfe_u32 v4, v0, 10, 10
	s_branch .LBB98_3
.LBB98_2:
	s_mov_b64 s[8:9], -1
                                        ; implicit-def: $sgpr24_sgpr25
                                        ; implicit-def: $vgpr4
.LBB98_3:
	s_load_dwordx4 s[20:23], s[0:1], 0x30
	v_and_b32_e32 v0, 0x3ff, v0
	s_andn2_b64 vcc, exec, s[8:9]
	v_mov_b32_e32 v3, s7
	v_mov_b32_e32 v2, s7
	s_cbranch_vccnz .LBB98_11
; %bb.4:
	s_load_dword s3, s[0:1], 0x4c
	s_load_dword s5, s[0:1], 0x44
	s_load_dwordx8 s[8:15], s[0:1], 0x10
	s_add_u32 s24, s0, 64
	s_addc_u32 s25, s1, 0
	s_waitcnt lgkmcnt(0)
	s_and_b32 s0, s3, 0xffff
	v_mad_u32_u24 v2, v1, s0, v0
	v_and_b32_e32 v4, 63, v2
	v_lshlrev_b32_e32 v2, 3, v1
	v_mov_b32_e32 v3, 0
	v_mbcnt_lo_u32_b32 v6, -1, 0
	v_mov_b32_e32 v5, v3
	v_mbcnt_hi_u32_b32 v6, -1, v6
	s_lshl_b32 s26, s5, 3
	v_lshl_add_u64 v[10:11], v[2:3], 0, s[6:7]
	v_cmp_gt_u32_e64 s[0:1], 8, v4
	v_lshl_add_u32 v8, s2, 6, v0
	v_mov_b32_e32 v9, v3
	v_lshlrev_b32_e32 v6, 2, v6
	v_lshl_add_u64 v[4:5], v[10:11], 0, v[4:5]
	v_mul_lo_u32 v2, s19, v10
	v_mul_lo_u32 v20, s18, v11
	v_mad_u64_u32 v[10:11], s[30:31], s18, v10, 0
	s_mul_i32 s3, s19, s26
	s_mul_hi_u32 s5, s18, s26
	s_mov_b32 s27, 0
	v_and_b32_e32 v12, 0x100, v6
	v_add3_u32 v11, v11, v20, v2
	v_lshlrev_b64 v[8:9], 1, v[8:9]
	s_add_i32 s31, s5, s3
	s_mul_i32 s30, s18, s26
	v_or_b32_e32 v13, 4, v12
	v_or_b32_e32 v14, 8, v12
	;; [unrolled: 1-line block ×7, first 2 shown]
	v_lshlrev_b64 v[6:7], 2, v[4:5]
	s_lshl_b64 s[28:29], s[26:27], 2
	v_lshl_add_u64 v[8:9], v[10:11], 1, v[8:9]
	s_lshl_b64 s[30:31], s[30:31], 1
	s_lshl_b64 s[34:35], s[18:19], 1
	v_mov_b64_e32 v[10:11], s[16:17]
	v_mov_b32_e32 v2, v3
	s_branch .LBB98_7
.LBB98_5:                               ;   in Loop: Header=BB98_7 Depth=1
	s_or_b64 exec, exec, s[38:39]
.LBB98_6:                               ;   in Loop: Header=BB98_7 Depth=1
	s_or_b64 exec, exec, s[36:37]
	v_lshl_add_u64 v[24:25], s[10:11], 0, v[8:9]
	v_lshl_add_u64 v[22:23], s[8:9], 0, v[8:9]
	global_load_ushort v27, v[24:25], off
	v_lshl_add_u64 v[24:25], v[24:25], 0, s[34:35]
	global_load_ushort v26, v[22:23], off
	;; [unrolled: 2-line block ×11, first 2 shown]
	global_load_ushort v36, v[22:23], off
	v_lshl_add_u64 v[22:23], v[22:23], 0, s[34:35]
	v_lshl_add_u64 v[24:25], v[24:25], 0, s[34:35]
	global_load_ushort v38, v[22:23], off
	global_load_ushort v39, v[24:25], off
	v_lshl_add_u64 v[22:23], v[22:23], 0, s[34:35]
	v_lshl_add_u64 v[24:25], v[24:25], 0, s[34:35]
	global_load_ushort v40, v[22:23], off
	global_load_ushort v41, v[24:25], off
	s_waitcnt vmcnt(17)
	ds_bpermute_b32 v24, v12, v20
	ds_bpermute_b32 v42, v13, v20
	s_waitcnt vmcnt(16)
	ds_bpermute_b32 v23, v12, v21
	ds_bpermute_b32 v44, v14, v20
	;; [unrolled: 1-line block ×14, first 2 shown]
	s_add_u32 s6, s6, s26
	s_addc_u32 s7, s7, 0
	v_cmp_lt_i64_e32 vcc, s[6:7], v[10:11]
	v_lshl_add_u64 v[6:7], v[6:7], 0, s[28:29]
	v_lshl_add_u64 v[4:5], v[4:5], 0, s[26:27]
	;; [unrolled: 1-line block ×3, first 2 shown]
	s_and_b64 vcc, exec, vcc
	s_waitcnt vmcnt(15)
	v_lshlrev_b32_e32 v21, 16, v27
	s_waitcnt lgkmcnt(14)
	v_sub_f32_e32 v21, v21, v24
	s_waitcnt vmcnt(14)
	v_lshlrev_b32_e32 v20, 16, v26
	v_mul_f32_e32 v21, v21, v20
	s_waitcnt vmcnt(13)
	v_lshlrev_b32_e32 v26, 16, v29
	s_waitcnt lgkmcnt(13)
	v_mul_f32_e32 v21, v21, v23
	s_waitcnt vmcnt(12)
	v_lshlrev_b32_e32 v22, 16, v28
	v_sub_f32_e32 v28, v26, v42
	s_waitcnt vmcnt(11)
	v_lshlrev_b32_e32 v27, 16, v31
	v_mul_f32_e32 v23, v28, v22
	s_waitcnt vmcnt(10)
	v_lshlrev_b32_e32 v24, 16, v30
	s_waitcnt lgkmcnt(12)
	v_sub_f32_e32 v27, v27, v44
	s_waitcnt vmcnt(9)
	v_lshlrev_b32_e32 v29, 16, v33
	s_waitcnt lgkmcnt(11)
	v_mul_f32_e32 v23, v23, v25
	s_waitcnt vmcnt(8)
	v_lshlrev_b32_e32 v26, 16, v32
	v_mul_f32_e32 v25, v27, v24
	s_waitcnt vmcnt(7)
	v_lshlrev_b32_e32 v30, 16, v35
	s_waitcnt lgkmcnt(10)
	v_sub_f32_e32 v27, v29, v46
	v_pk_add_f32 v[2:3], v[2:3], v[20:21]
	s_waitcnt vmcnt(6)
	v_lshlrev_b32_e32 v28, 16, v34
	s_waitcnt vmcnt(5)
	v_lshlrev_b32_e32 v21, 16, v37
	s_waitcnt lgkmcnt(9)
	v_mul_f32_e32 v25, v25, v43
	v_mul_f32_e32 v27, v27, v26
	s_waitcnt lgkmcnt(6)
	v_sub_f32_e32 v29, v30, v48
	v_pk_add_f32 v[2:3], v[2:3], v[22:23]
	s_waitcnt vmcnt(4)
	v_lshlrev_b32_e32 v20, 16, v36
	v_mul_f32_e32 v27, v27, v45
	v_mul_f32_e32 v29, v29, v28
	s_waitcnt lgkmcnt(2)
	v_sub_f32_e32 v21, v21, v50
	v_pk_add_f32 v[2:3], v[2:3], v[24:25]
	s_waitcnt vmcnt(2)
	v_lshlrev_b32_e32 v23, 16, v39
	v_mul_f32_e32 v29, v29, v47
	v_mul_f32_e32 v21, v21, v20
	v_pk_add_f32 v[2:3], v[2:3], v[26:27]
	v_lshlrev_b32_e32 v22, 16, v38
	s_waitcnt vmcnt(0)
	v_lshlrev_b32_e32 v25, 16, v41
	s_waitcnt lgkmcnt(1)
	v_sub_f32_e32 v23, v23, v52
	v_mul_f32_e32 v21, v21, v49
	v_pk_add_f32 v[2:3], v[2:3], v[28:29]
	v_lshlrev_b32_e32 v24, 16, v40
	v_mul_f32_e32 v23, v23, v22
	v_pk_add_f32 v[2:3], v[2:3], v[20:21]
	s_waitcnt lgkmcnt(0)
	v_sub_f32_e32 v20, v25, v54
	v_mul_f32_e32 v23, v23, v51
	v_mul_f32_e32 v20, v20, v24
	v_pk_add_f32 v[2:3], v[2:3], v[22:23]
	v_mul_f32_e32 v25, v20, v53
	v_pk_add_f32 v[2:3], v[2:3], v[24:25]
	s_cbranch_vccz .LBB98_10
.LBB98_7:                               ; =>This Inner Loop Header: Depth=1
	v_mov_b32_e32 v21, 0
	v_mov_b32_e32 v20, 0
	s_and_saveexec_b64 s[36:37], s[0:1]
	s_cbranch_execz .LBB98_6
; %bb.8:                                ;   in Loop: Header=BB98_7 Depth=1
	v_cmp_gt_i64_e32 vcc, s[16:17], v[4:5]
	v_mov_b32_e32 v20, 0
	v_mov_b32_e32 v21, 0
	s_and_saveexec_b64 s[38:39], vcc
	s_cbranch_execz .LBB98_5
; %bb.9:                                ;   in Loop: Header=BB98_7 Depth=1
	v_lshl_add_u64 v[24:25], s[12:13], 0, v[6:7]
	v_lshl_add_u64 v[22:23], s[14:15], 0, v[6:7]
	global_load_dword v20, v[24:25], off
	global_load_dword v21, v[22:23], off
	s_branch .LBB98_5
.LBB98_10:
	v_mov_b32_e32 v4, v1
.LBB98_11:
	s_load_dword s5, s[24:25], 0xc
	s_mov_b32 s3, 0
	v_mov_b32_e32 v1, 0
	s_lshl_b64 s[0:1], s[2:3], 6
	v_lshl_add_u64 v[6:7], s[0:1], 0, v[0:1]
	s_waitcnt lgkmcnt(0)
	s_lshr_b32 s0, s5, 16
	v_mov_b32_e32 v5, v1
	v_mov_b32_e32 v0, s4
	v_mad_u64_u32 v[0:1], s[0:1], s0, v0, v[4:5]
	s_cmp_eq_u64 s[20:21], 0
	v_mul_lo_u32 v1, v1, s18
	v_mul_lo_u32 v4, v0, s19
	s_cbranch_scc1 .LBB98_13
; %bb.12:
	v_bfe_u32 v5, v3, 16, 1
	s_movk_i32 s0, 0x7fff
	v_add3_u32 v5, v3, v5, s0
	v_lshrrev_b32_e32 v5, 16, v5
	v_mov_b32_e32 v8, 0x7fc0
	v_cmp_o_f32_e32 vcc, v3, v3
	s_nop 1
	v_cndmask_b32_e32 v3, v8, v5, vcc
	v_mad_u64_u32 v[8:9], s[0:1], v0, s18, 0
	v_add3_u32 v9, v9, v4, v1
	v_lshl_add_u64 v[8:9], v[8:9], 1, s[20:21]
	v_lshl_add_u64 v[8:9], v[6:7], 1, v[8:9]
	global_store_short v[8:9], v3, off
.LBB98_13:
	s_cmp_eq_u64 s[22:23], 0
	s_cbranch_scc1 .LBB98_15
; %bb.14:
	v_bfe_u32 v3, v2, 16, 1
	s_movk_i32 s0, 0x7fff
	v_add3_u32 v3, v2, v3, s0
	v_lshrrev_b32_e32 v3, 16, v3
	v_mov_b32_e32 v5, 0x7fc0
	v_cmp_o_f32_e32 vcc, v2, v2
	s_nop 1
	v_cndmask_b32_e32 v5, v5, v3, vcc
	v_mad_u64_u32 v[2:3], s[0:1], v0, s18, 0
	v_add3_u32 v3, v3, v4, v1
	v_lshl_add_u64 v[0:1], v[2:3], 1, s[22:23]
	v_lshl_add_u64 v[0:1], v[6:7], 1, v[0:1]
	global_store_short v[0:1], v5, off
.LBB98_15:
	s_endpgm
	.section	.rodata,"a",@progbits
	.p2align	6, 0x0
	.amdhsa_kernel _ZN2at6native12_GLOBAL__N_135GammaBetaBackwardCUDAKernelTemplateIN3c108BFloat16EfLj64ELj1ELj8ELb1ELb1ELb0EEEvllPKT_S7_PKT0_SA_PS5_SB_
		.amdhsa_group_segment_fixed_size 0
		.amdhsa_private_segment_fixed_size 0
		.amdhsa_kernarg_size 320
		.amdhsa_user_sgpr_count 2
		.amdhsa_user_sgpr_dispatch_ptr 0
		.amdhsa_user_sgpr_queue_ptr 0
		.amdhsa_user_sgpr_kernarg_segment_ptr 1
		.amdhsa_user_sgpr_dispatch_id 0
		.amdhsa_user_sgpr_kernarg_preload_length 0
		.amdhsa_user_sgpr_kernarg_preload_offset 0
		.amdhsa_user_sgpr_private_segment_size 0
		.amdhsa_uses_dynamic_stack 0
		.amdhsa_enable_private_segment 0
		.amdhsa_system_sgpr_workgroup_id_x 1
		.amdhsa_system_sgpr_workgroup_id_y 1
		.amdhsa_system_sgpr_workgroup_id_z 0
		.amdhsa_system_sgpr_workgroup_info 0
		.amdhsa_system_vgpr_workitem_id 1
		.amdhsa_next_free_vgpr 55
		.amdhsa_next_free_sgpr 40
		.amdhsa_accum_offset 56
		.amdhsa_reserve_vcc 1
		.amdhsa_float_round_mode_32 0
		.amdhsa_float_round_mode_16_64 0
		.amdhsa_float_denorm_mode_32 3
		.amdhsa_float_denorm_mode_16_64 3
		.amdhsa_dx10_clamp 1
		.amdhsa_ieee_mode 1
		.amdhsa_fp16_overflow 0
		.amdhsa_tg_split 0
		.amdhsa_exception_fp_ieee_invalid_op 0
		.amdhsa_exception_fp_denorm_src 0
		.amdhsa_exception_fp_ieee_div_zero 0
		.amdhsa_exception_fp_ieee_overflow 0
		.amdhsa_exception_fp_ieee_underflow 0
		.amdhsa_exception_fp_ieee_inexact 0
		.amdhsa_exception_int_div_zero 0
	.end_amdhsa_kernel
	.section	.text._ZN2at6native12_GLOBAL__N_135GammaBetaBackwardCUDAKernelTemplateIN3c108BFloat16EfLj64ELj1ELj8ELb1ELb1ELb0EEEvllPKT_S7_PKT0_SA_PS5_SB_,"axG",@progbits,_ZN2at6native12_GLOBAL__N_135GammaBetaBackwardCUDAKernelTemplateIN3c108BFloat16EfLj64ELj1ELj8ELb1ELb1ELb0EEEvllPKT_S7_PKT0_SA_PS5_SB_,comdat
.Lfunc_end98:
	.size	_ZN2at6native12_GLOBAL__N_135GammaBetaBackwardCUDAKernelTemplateIN3c108BFloat16EfLj64ELj1ELj8ELb1ELb1ELb0EEEvllPKT_S7_PKT0_SA_PS5_SB_, .Lfunc_end98-_ZN2at6native12_GLOBAL__N_135GammaBetaBackwardCUDAKernelTemplateIN3c108BFloat16EfLj64ELj1ELj8ELb1ELb1ELb0EEEvllPKT_S7_PKT0_SA_PS5_SB_
                                        ; -- End function
	.section	.AMDGPU.csdata,"",@progbits
; Kernel info:
; codeLenInByte = 1464
; NumSgprs: 46
; NumVgprs: 55
; NumAgprs: 0
; TotalNumVgprs: 55
; ScratchSize: 0
; MemoryBound: 0
; FloatMode: 240
; IeeeMode: 1
; LDSByteSize: 0 bytes/workgroup (compile time only)
; SGPRBlocks: 5
; VGPRBlocks: 6
; NumSGPRsForWavesPerEU: 46
; NumVGPRsForWavesPerEU: 55
; AccumOffset: 56
; Occupancy: 8
; WaveLimiterHint : 0
; COMPUTE_PGM_RSRC2:SCRATCH_EN: 0
; COMPUTE_PGM_RSRC2:USER_SGPR: 2
; COMPUTE_PGM_RSRC2:TRAP_HANDLER: 0
; COMPUTE_PGM_RSRC2:TGID_X_EN: 1
; COMPUTE_PGM_RSRC2:TGID_Y_EN: 1
; COMPUTE_PGM_RSRC2:TGID_Z_EN: 0
; COMPUTE_PGM_RSRC2:TIDIG_COMP_CNT: 1
; COMPUTE_PGM_RSRC3_GFX90A:ACCUM_OFFSET: 13
; COMPUTE_PGM_RSRC3_GFX90A:TG_SPLIT: 0
	.section	.text._ZN2at6native12_GLOBAL__N_135GammaBetaBackwardCUDAKernelTemplateIN3c108BFloat16EfLj64ELj1ELj8ELb1ELb0ELb0EEEvllPKT_S7_PKT0_SA_PS5_SB_,"axG",@progbits,_ZN2at6native12_GLOBAL__N_135GammaBetaBackwardCUDAKernelTemplateIN3c108BFloat16EfLj64ELj1ELj8ELb1ELb0ELb0EEEvllPKT_S7_PKT0_SA_PS5_SB_,comdat
	.globl	_ZN2at6native12_GLOBAL__N_135GammaBetaBackwardCUDAKernelTemplateIN3c108BFloat16EfLj64ELj1ELj8ELb1ELb0ELb0EEEvllPKT_S7_PKT0_SA_PS5_SB_ ; -- Begin function _ZN2at6native12_GLOBAL__N_135GammaBetaBackwardCUDAKernelTemplateIN3c108BFloat16EfLj64ELj1ELj8ELb1ELb0ELb0EEEvllPKT_S7_PKT0_SA_PS5_SB_
	.p2align	8
	.type	_ZN2at6native12_GLOBAL__N_135GammaBetaBackwardCUDAKernelTemplateIN3c108BFloat16EfLj64ELj1ELj8ELb1ELb0ELb0EEEvllPKT_S7_PKT0_SA_PS5_SB_,@function
_ZN2at6native12_GLOBAL__N_135GammaBetaBackwardCUDAKernelTemplateIN3c108BFloat16EfLj64ELj1ELj8ELb1ELb0ELb0EEEvllPKT_S7_PKT0_SA_PS5_SB_: ; @_ZN2at6native12_GLOBAL__N_135GammaBetaBackwardCUDAKernelTemplateIN3c108BFloat16EfLj64ELj1ELj8ELb1ELb0ELb0EEEvllPKT_S7_PKT0_SA_PS5_SB_
; %bb.0:
	s_load_dwordx8 s[12:19], s[0:1], 0x0
	s_load_dwordx4 s[28:31], s[0:1], 0x20
	s_mov_b32 s8, s3
	s_lshl_b32 s3, s2, 6
	s_mov_b32 s20, 0
	s_or_b32 s4, s3, 63
	s_mov_b32 s5, s20
	s_waitcnt lgkmcnt(0)
	v_mov_b64_e32 v[2:3], s[14:15]
	v_cmp_ge_i64_e32 vcc, s[4:5], v[2:3]
	s_lshl_b32 s10, s8, 3
	s_mov_b32 s11, s20
	v_mov_b64_e32 v[2:3], s[12:13]
	v_cmp_lt_i64_e64 s[4:5], s[10:11], v[2:3]
	s_nop 1
	v_cndmask_b32_e64 v1, 0, 1, s[4:5]
	v_cmp_ne_u32_e64 s[4:5], 1, v1
	s_cbranch_vccz .LBB99_48
; %bb.1:
	v_mov_b32_e32 v29, 0
	s_and_b64 vcc, exec, s[4:5]
	v_mov_b32_e32 v28, v29
	s_cbranch_vccnz .LBB99_49
; %bb.2:
	v_mov_b32_e32 v3, 0
	v_bfe_u32 v66, v0, 10, 10
	s_load_dword s9, s[0:1], 0x44
	v_lshlrev_b32_e32 v26, 3, v66
	v_mov_b32_e32 v27, v3
	v_and_b32_e32 v1, 0x3ff, v0
	v_lshl_add_u64 v[4:5], v[26:27], 0, s[10:11]
	v_add_u32_e32 v2, s3, v1
	v_lshl_add_u64 v[6:7], v[4:5], 0, 7
	s_add_u32 s34, s0, 64
	v_cmp_gt_i64_e64 s[6:7], s[14:15], v[2:3]
	v_lshlrev_b64 v[30:31], 1, v[2:3]
	v_mul_lo_u32 v2, s15, v6
	v_mul_lo_u32 v8, s14, v7
	v_mad_u64_u32 v[6:7], s[22:23], s14, v6, 0
	s_addc_u32 s35, s1, 0
	s_waitcnt lgkmcnt(0)
	s_lshl_b32 s36, s9, 3
	v_add3_u32 v7, v7, v8, v2
	v_lshlrev_b64 v[6:7], 1, v[6:7]
	s_mul_i32 s9, s15, s36
	s_mul_hi_u32 s21, s14, s36
	v_lshl_add_u64 v[32:33], s[16:17], 0, v[6:7]
	s_add_i32 s23, s21, s9
	s_mul_i32 s22, s14, s36
	v_lshl_add_u64 v[34:35], s[18:19], 0, v[6:7]
	v_lshl_add_u64 v[6:7], v[4:5], 0, 6
	s_lshl_b64 s[40:41], s[22:23], 1
	v_mul_lo_u32 v2, s15, v6
	v_mul_lo_u32 v8, s14, v7
	v_mad_u64_u32 v[6:7], s[22:23], s14, v6, 0
	v_add3_u32 v7, v7, v8, v2
	v_lshlrev_b64 v[6:7], 1, v[6:7]
	v_lshl_add_u64 v[36:37], s[16:17], 0, v[6:7]
	v_lshl_add_u64 v[38:39], s[18:19], 0, v[6:7]
	v_lshl_add_u64 v[6:7], v[4:5], 0, 5
	v_mul_lo_u32 v2, s15, v6
	v_mul_lo_u32 v8, s14, v7
	v_mad_u64_u32 v[6:7], s[22:23], s14, v6, 0
	v_add3_u32 v7, v7, v8, v2
	v_lshlrev_b64 v[6:7], 1, v[6:7]
	v_lshl_add_u64 v[40:41], s[16:17], 0, v[6:7]
	v_lshl_add_u64 v[42:43], s[18:19], 0, v[6:7]
	v_lshl_add_u64 v[6:7], v[4:5], 0, 4
	;; [unrolled: 8-line block ×4, first 2 shown]
	v_mul_lo_u32 v2, s15, v6
	v_mul_lo_u32 v8, s14, v7
	v_mad_u64_u32 v[6:7], s[22:23], s14, v6, 0
	v_add3_u32 v7, v7, v8, v2
	v_lshlrev_b64 v[6:7], 1, v[6:7]
	v_lshl_add_u64 v[52:53], s[16:17], 0, v[6:7]
	v_lshl_add_u64 v[54:55], s[18:19], 0, v[6:7]
	v_mov_b64_e32 v[6:7], s[14:15]
	v_mad_u64_u32 v[6:7], s[22:23], s14, v4, v[6:7]
	v_mul_lo_u32 v2, s14, v5
	v_mul_lo_u32 v8, s15, v4
	v_mad_u64_u32 v[4:5], s[22:23], s14, v4, 0
	v_add3_u32 v7, v8, v7, v2
	v_add3_u32 v5, v5, v2, v8
	v_mbcnt_lo_u32_b32 v2, -1, 0
	v_mbcnt_hi_u32_b32 v2, -1, v2
	v_lshlrev_b64 v[6:7], 1, v[6:7]
	v_lshlrev_b64 v[4:5], 1, v[4:5]
	v_lshlrev_b32_e32 v2, 2, v2
	s_mov_b32 s37, s20
	s_mov_b64 s[38:39], 7
	v_lshl_add_u64 v[56:57], s[16:17], 0, v[6:7]
	v_lshl_add_u64 v[58:59], s[18:19], 0, v[6:7]
	;; [unrolled: 1-line block ×4, first 2 shown]
	v_and_b32_e32 v67, 0x100, v2
	s_mov_b64 s[42:43], s[10:11]
	v_mov_b32_e32 v28, v3
	v_mov_b32_e32 v29, v3
	s_branch .LBB99_5
.LBB99_3:                               ;   in Loop: Header=BB99_5 Depth=1
	s_or_b64 exec, exec, s[22:23]
	s_waitcnt vmcnt(1)
	ds_bpermute_b32 v2, v67, v69
	ds_bpermute_b32 v4, v67, v69 offset:4
	s_waitcnt vmcnt(0)
	ds_bpermute_b32 v5, v67, v68
	ds_bpermute_b32 v6, v67, v68 offset:4
	ds_bpermute_b32 v8, v67, v68 offset:12
	s_waitcnt lgkmcnt(4)
	v_sub_f32_e32 v2, v10, v2
	v_mul_f32_e32 v2, v18, v2
	s_waitcnt lgkmcnt(3)
	v_sub_f32_e32 v4, v11, v4
	s_waitcnt lgkmcnt(2)
	v_mul_f32_e32 v5, v2, v5
	ds_bpermute_b32 v2, v67, v69 offset:8
	v_mul_f32_e32 v4, v19, v4
	s_waitcnt lgkmcnt(2)
	v_mul_f32_e32 v7, v4, v6
	ds_bpermute_b32 v4, v67, v68 offset:8
	ds_bpermute_b32 v6, v67, v69 offset:12
	s_waitcnt lgkmcnt(2)
	v_sub_f32_e32 v2, v12, v2
	v_mul_f32_e32 v2, v20, v2
	v_mov_b32_e32 v10, v21
	s_waitcnt lgkmcnt(1)
	v_mul_f32_e32 v9, v2, v4
	s_waitcnt lgkmcnt(0)
	v_sub_f32_e32 v2, v13, v6
	ds_bpermute_b32 v4, v67, v69 offset:16
	v_mul_f32_e32 v2, v21, v2
	v_mul_f32_e32 v11, v2, v8
	ds_bpermute_b32 v2, v67, v68 offset:16
	ds_bpermute_b32 v6, v67, v69 offset:20
	;; [unrolled: 1-line block ×3, first 2 shown]
	s_waitcnt lgkmcnt(3)
	v_sub_f32_e32 v4, v14, v4
	v_mul_f32_e32 v4, v22, v4
	s_waitcnt lgkmcnt(2)
	v_mul_f32_e32 v13, v4, v2
	s_waitcnt lgkmcnt(1)
	v_sub_f32_e32 v2, v15, v6
	v_mul_f32_e32 v2, v23, v2
	s_waitcnt lgkmcnt(0)
	v_mul_f32_e32 v15, v2, v8
	v_mov_b32_e32 v4, v18
	ds_bpermute_b32 v2, v67, v69 offset:24
	v_pk_add_f32 v[4:5], v[28:29], v[4:5]
	v_mov_b32_e32 v6, v19
	v_pk_add_f32 v[4:5], v[6:7], v[4:5]
	ds_bpermute_b32 v7, v67, v68 offset:24
	v_mov_b32_e32 v8, v20
	v_pk_add_f32 v[4:5], v[8:9], v[4:5]
	v_mov_b32_e32 v12, v22
	v_pk_add_f32 v[4:5], v[10:11], v[4:5]
	s_waitcnt lgkmcnt(1)
	v_sub_f32_e32 v8, v16, v2
	v_pk_add_f32 v[4:5], v[12:13], v[4:5]
	v_mov_b32_e32 v14, v23
	v_mul_f32_e32 v8, v24, v8
	v_pk_add_f32 v[4:5], v[14:15], v[4:5]
	s_waitcnt lgkmcnt(0)
	v_mul_f32_e32 v9, v8, v7
	v_mov_b32_e32 v8, v24
	ds_bpermute_b32 v2, v67, v68 offset:28
	ds_bpermute_b32 v6, v67, v69 offset:28
	v_pk_add_f32 v[4:5], v[8:9], v[4:5]
.LBB99_4:                               ;   in Loop: Header=BB99_5 Depth=1
	s_waitcnt lgkmcnt(0)
	v_sub_f32_e32 v6, v17, v6
	v_mul_f32_e32 v6, v25, v6
	v_mul_f32_e32 v7, v6, v2
	v_mov_b32_e32 v6, v25
	s_add_u32 s42, s42, s36
	v_pk_add_f32 v[28:29], v[4:5], v[6:7]
	s_addc_u32 s43, s43, 0
	v_mov_b64_e32 v[4:5], s[12:13]
	s_add_u32 s38, s38, s36
	v_cmp_lt_i64_e32 vcc, s[42:43], v[4:5]
	v_lshl_add_u64 v[32:33], v[32:33], 0, s[40:41]
	v_lshl_add_u64 v[34:35], v[34:35], 0, s[40:41]
	;; [unrolled: 1-line block ×17, first 2 shown]
	s_addc_u32 s39, s39, 0
	s_cbranch_vccz .LBB99_49
.LBB99_5:                               ; =>This Inner Loop Header: Depth=1
	s_add_u32 s22, s10, s38
	s_addc_u32 s23, 0, s39
	v_mov_b64_e32 v[4:5], s[12:13]
	v_cmp_ge_i64_e32 vcc, s[22:23], v[4:5]
	v_lshl_add_u64 v[64:65], s[10:11], 0, v[26:27]
	s_cbranch_vccz .LBB99_27
; %bb.6:                                ;   in Loop: Header=BB99_5 Depth=1
	s_load_dword s9, s[34:35], 0xc
	v_mov_b32_e32 v68, 0
	v_mov_b32_e32 v69, 0
	s_waitcnt lgkmcnt(0)
	s_and_b32 s9, s9, 0xffff
	v_mad_u32_u24 v2, v66, s9, v1
	v_and_b32_e32 v2, 63, v2
	v_cmp_gt_u32_e32 vcc, 8, v2
	s_and_saveexec_b64 s[22:23], vcc
	s_cbranch_execz .LBB99_10
; %bb.7:                                ;   in Loop: Header=BB99_5 Depth=1
	v_lshl_add_u64 v[4:5], v[64:65], 0, v[2:3]
	v_cmp_gt_i64_e32 vcc, s[12:13], v[4:5]
	v_mov_b32_e32 v69, 0
	v_mov_b32_e32 v68, 0
	s_and_saveexec_b64 s[24:25], vcc
	s_cbranch_execz .LBB99_9
; %bb.8:                                ;   in Loop: Header=BB99_5 Depth=1
	v_lshlrev_b64 v[4:5], 2, v[4:5]
	v_lshl_add_u64 v[6:7], s[30:31], 0, v[4:5]
	v_lshl_add_u64 v[4:5], s[28:29], 0, v[4:5]
	global_load_dword v69, v[4:5], off
	global_load_dword v68, v[6:7], off
.LBB99_9:                               ;   in Loop: Header=BB99_5 Depth=1
	s_or_b64 exec, exec, s[24:25]
.LBB99_10:                              ;   in Loop: Header=BB99_5 Depth=1
	s_or_b64 exec, exec, s[22:23]
	s_mov_b32 s21, s20
	s_mov_b32 s22, s20
	;; [unrolled: 1-line block ×7, first 2 shown]
	v_mov_b64_e32 v[10:11], s[20:21]
	v_mov_b64_e32 v[16:17], s[26:27]
	v_cmp_gt_i64_e32 vcc, s[12:13], v[64:65]
	v_mov_b64_e32 v[12:13], s[22:23]
	v_mov_b64_e32 v[14:15], s[24:25]
	;; [unrolled: 1-line block ×3, first 2 shown]
	s_and_b64 s[44:45], s[6:7], vcc
	v_mov_b64_e32 v[22:23], v[14:15]
	v_mov_b64_e32 v[20:21], v[12:13]
	;; [unrolled: 1-line block ×3, first 2 shown]
	s_and_saveexec_b64 s[22:23], s[44:45]
	s_cbranch_execz .LBB99_12
; %bb.11:                               ;   in Loop: Header=BB99_5 Depth=1
	v_lshl_add_u64 v[4:5], v[60:61], 0, v[30:31]
	global_load_ushort v2, v[4:5], off
	v_lshl_add_u64 v[4:5], v[62:63], 0, v[30:31]
	global_load_ushort v10, v[4:5], off
	v_mov_b32_e32 v8, v3
	v_mov_b32_e32 v9, v3
	;; [unrolled: 1-line block ×13, first 2 shown]
	s_waitcnt vmcnt(1)
	v_lshlrev_b32_e32 v2, 16, v2
	v_mov_b64_e32 v[24:25], v[8:9]
	s_waitcnt vmcnt(0)
	v_lshlrev_b32_e32 v10, 16, v10
	v_mov_b64_e32 v[22:23], v[6:7]
	v_mov_b64_e32 v[20:21], v[4:5]
	;; [unrolled: 1-line block ×3, first 2 shown]
.LBB99_12:                              ;   in Loop: Header=BB99_5 Depth=1
	s_or_b64 exec, exec, s[22:23]
	v_lshl_add_u64 v[4:5], v[64:65], 0, 1
	v_cmp_gt_i64_e32 vcc, s[12:13], v[4:5]
	s_and_b64 s[24:25], s[6:7], vcc
	s_and_saveexec_b64 s[22:23], s[24:25]
	s_cbranch_execz .LBB99_14
; %bb.13:                               ;   in Loop: Header=BB99_5 Depth=1
	v_lshl_add_u64 v[4:5], v[56:57], 0, v[30:31]
	global_load_ushort v2, v[4:5], off
	v_lshl_add_u64 v[4:5], v[58:59], 0, v[30:31]
	global_load_ushort v4, v[4:5], off
	s_waitcnt vmcnt(1)
	v_lshlrev_b32_e32 v19, 16, v2
	s_waitcnt vmcnt(0)
	v_lshlrev_b32_e32 v11, 16, v4
.LBB99_14:                              ;   in Loop: Header=BB99_5 Depth=1
	s_or_b64 exec, exec, s[22:23]
	v_lshl_add_u64 v[4:5], v[64:65], 0, 2
	v_cmp_gt_i64_e32 vcc, s[12:13], v[4:5]
	s_and_b64 s[24:25], s[6:7], vcc
	s_and_saveexec_b64 s[22:23], s[24:25]
	s_cbranch_execz .LBB99_16
; %bb.15:                               ;   in Loop: Header=BB99_5 Depth=1
	v_lshl_add_u64 v[4:5], v[52:53], 0, v[30:31]
	global_load_ushort v2, v[4:5], off
	v_lshl_add_u64 v[4:5], v[54:55], 0, v[30:31]
	global_load_ushort v4, v[4:5], off
	s_waitcnt vmcnt(1)
	v_lshlrev_b32_e32 v20, 16, v2
	s_waitcnt vmcnt(0)
	v_lshlrev_b32_e32 v12, 16, v4
.LBB99_16:                              ;   in Loop: Header=BB99_5 Depth=1
	;; [unrolled: 16-line block ×7, first 2 shown]
	s_or_b64 exec, exec, s[22:23]
	s_waitcnt vmcnt(1)
	ds_bpermute_b32 v2, v67, v69
	ds_bpermute_b32 v4, v67, v69 offset:4
	s_waitcnt vmcnt(0)
	ds_bpermute_b32 v5, v67, v68
	ds_bpermute_b32 v6, v67, v68 offset:4
	ds_bpermute_b32 v8, v67, v68 offset:12
	s_waitcnt lgkmcnt(4)
	v_sub_f32_e32 v2, v10, v2
	v_mul_f32_e32 v2, v18, v2
	s_waitcnt lgkmcnt(3)
	v_sub_f32_e32 v4, v11, v4
	s_waitcnt lgkmcnt(2)
	v_mul_f32_e32 v5, v2, v5
	ds_bpermute_b32 v2, v67, v69 offset:8
	v_mul_f32_e32 v4, v19, v4
	s_waitcnt lgkmcnt(2)
	v_mul_f32_e32 v7, v4, v6
	ds_bpermute_b32 v4, v67, v68 offset:8
	ds_bpermute_b32 v6, v67, v69 offset:12
	s_waitcnt lgkmcnt(2)
	v_sub_f32_e32 v2, v12, v2
	v_mul_f32_e32 v2, v20, v2
	v_mov_b32_e32 v10, v21
	s_waitcnt lgkmcnt(1)
	v_mul_f32_e32 v9, v2, v4
	s_waitcnt lgkmcnt(0)
	v_sub_f32_e32 v2, v13, v6
	ds_bpermute_b32 v4, v67, v69 offset:16
	v_mul_f32_e32 v2, v21, v2
	v_mul_f32_e32 v11, v2, v8
	ds_bpermute_b32 v2, v67, v68 offset:16
	ds_bpermute_b32 v6, v67, v69 offset:20
	;; [unrolled: 1-line block ×3, first 2 shown]
	s_waitcnt lgkmcnt(3)
	v_sub_f32_e32 v4, v14, v4
	v_mul_f32_e32 v4, v22, v4
	s_waitcnt lgkmcnt(2)
	v_mul_f32_e32 v13, v4, v2
	s_waitcnt lgkmcnt(1)
	v_sub_f32_e32 v2, v15, v6
	v_mul_f32_e32 v2, v23, v2
	s_waitcnt lgkmcnt(0)
	v_mul_f32_e32 v15, v2, v8
	ds_bpermute_b32 v2, v67, v69 offset:24
	v_mov_b32_e32 v4, v18
	v_pk_add_f32 v[4:5], v[28:29], v[4:5]
	v_mov_b32_e32 v6, v19
	v_pk_add_f32 v[4:5], v[6:7], v[4:5]
	ds_bpermute_b32 v7, v67, v68 offset:24
	v_mov_b32_e32 v8, v20
	s_waitcnt lgkmcnt(1)
	v_sub_f32_e32 v2, v16, v2
	v_pk_add_f32 v[4:5], v[8:9], v[4:5]
	v_mul_f32_e32 v8, v24, v2
	ds_bpermute_b32 v2, v67, v68 offset:28
	ds_bpermute_b32 v6, v67, v69 offset:28
	v_pk_add_f32 v[4:5], v[10:11], v[4:5]
	v_mov_b32_e32 v12, v22
	v_pk_add_f32 v[4:5], v[12:13], v[4:5]
	v_mov_b32_e32 v14, v23
	v_pk_add_f32 v[4:5], v[14:15], v[4:5]
	s_waitcnt lgkmcnt(2)
	v_mul_f32_e32 v9, v8, v7
	v_mov_b32_e32 v8, v24
	v_pk_add_f32 v[4:5], v[8:9], v[4:5]
	s_branch .LBB99_4
.LBB99_27:                              ;   in Loop: Header=BB99_5 Depth=1
                                        ; implicit-def: $vgpr4_vgpr5
                                        ; implicit-def: $vgpr2
                                        ; implicit-def: $vgpr10_vgpr11_vgpr12_vgpr13_vgpr14_vgpr15_vgpr16_vgpr17
                                        ; implicit-def: $vgpr18_vgpr19_vgpr20_vgpr21_vgpr22_vgpr23_vgpr24_vgpr25
                                        ; implicit-def: $vgpr6
	s_cbranch_execz .LBB99_4
; %bb.28:                               ;   in Loop: Header=BB99_5 Depth=1
	s_load_dword s9, s[34:35], 0x0
	v_mov_b32_e32 v68, 0
	v_mov_b32_e32 v69, 0
	s_waitcnt lgkmcnt(0)
	s_cmp_lt_u32 s2, s9
	s_cselect_b32 s9, 12, 18
	s_add_u32 s22, s34, s9
	s_addc_u32 s23, s35, 0
	global_load_ushort v2, v3, s[22:23]
	s_waitcnt vmcnt(0)
	v_mad_u32_u24 v2, v66, v2, v1
	v_and_b32_e32 v2, 63, v2
	v_cmp_gt_u32_e32 vcc, 8, v2
	s_and_saveexec_b64 s[22:23], vcc
	s_cbranch_execz .LBB99_32
; %bb.29:                               ;   in Loop: Header=BB99_5 Depth=1
	v_lshl_add_u64 v[4:5], v[64:65], 0, v[2:3]
	v_cmp_gt_i64_e32 vcc, s[12:13], v[4:5]
	v_mov_b32_e32 v69, 0
	v_mov_b32_e32 v68, 0
	s_and_saveexec_b64 s[24:25], vcc
	s_cbranch_execz .LBB99_31
; %bb.30:                               ;   in Loop: Header=BB99_5 Depth=1
	v_lshlrev_b64 v[4:5], 2, v[4:5]
	v_lshl_add_u64 v[6:7], s[30:31], 0, v[4:5]
	v_lshl_add_u64 v[4:5], s[28:29], 0, v[4:5]
	global_load_dword v69, v[4:5], off
	global_load_dword v68, v[6:7], off
.LBB99_31:                              ;   in Loop: Header=BB99_5 Depth=1
	s_or_b64 exec, exec, s[24:25]
.LBB99_32:                              ;   in Loop: Header=BB99_5 Depth=1
	s_or_b64 exec, exec, s[22:23]
	s_mov_b32 s21, s20
	s_mov_b32 s22, s20
	;; [unrolled: 1-line block ×7, first 2 shown]
	v_mov_b64_e32 v[10:11], s[20:21]
	v_mov_b64_e32 v[16:17], s[26:27]
	;; [unrolled: 1-line block ×8, first 2 shown]
	s_and_saveexec_b64 s[22:23], s[6:7]
	s_cbranch_execnz .LBB99_40
; %bb.33:                               ;   in Loop: Header=BB99_5 Depth=1
	s_or_b64 exec, exec, s[22:23]
	s_and_saveexec_b64 s[22:23], s[6:7]
	s_cbranch_execnz .LBB99_41
.LBB99_34:                              ;   in Loop: Header=BB99_5 Depth=1
	s_or_b64 exec, exec, s[22:23]
	s_and_saveexec_b64 s[22:23], s[6:7]
	s_cbranch_execnz .LBB99_42
.LBB99_35:                              ;   in Loop: Header=BB99_5 Depth=1
	s_or_b64 exec, exec, s[22:23]
	s_and_saveexec_b64 s[22:23], s[6:7]
	s_cbranch_execnz .LBB99_43
.LBB99_36:                              ;   in Loop: Header=BB99_5 Depth=1
	s_or_b64 exec, exec, s[22:23]
	s_and_saveexec_b64 s[22:23], s[6:7]
	s_cbranch_execnz .LBB99_44
.LBB99_37:                              ;   in Loop: Header=BB99_5 Depth=1
	s_or_b64 exec, exec, s[22:23]
	s_and_saveexec_b64 s[22:23], s[6:7]
	s_cbranch_execnz .LBB99_45
.LBB99_38:                              ;   in Loop: Header=BB99_5 Depth=1
	s_or_b64 exec, exec, s[22:23]
	s_and_saveexec_b64 s[22:23], s[6:7]
	s_cbranch_execnz .LBB99_46
.LBB99_39:                              ;   in Loop: Header=BB99_5 Depth=1
	s_or_b64 exec, exec, s[22:23]
	s_and_saveexec_b64 s[22:23], s[6:7]
	s_cbranch_execz .LBB99_3
	s_branch .LBB99_47
.LBB99_40:                              ;   in Loop: Header=BB99_5 Depth=1
	v_lshl_add_u64 v[4:5], v[60:61], 0, v[30:31]
	global_load_ushort v2, v[4:5], off
	v_lshl_add_u64 v[4:5], v[62:63], 0, v[30:31]
	global_load_ushort v10, v[4:5], off
	v_mov_b32_e32 v8, v3
	v_mov_b32_e32 v9, v3
	;; [unrolled: 1-line block ×13, first 2 shown]
	s_waitcnt vmcnt(1)
	v_lshlrev_b32_e32 v2, 16, v2
	v_mov_b64_e32 v[24:25], v[8:9]
	s_waitcnt vmcnt(0)
	v_lshlrev_b32_e32 v10, 16, v10
	v_mov_b64_e32 v[22:23], v[6:7]
	v_mov_b64_e32 v[20:21], v[4:5]
	;; [unrolled: 1-line block ×3, first 2 shown]
	s_or_b64 exec, exec, s[22:23]
	s_and_saveexec_b64 s[22:23], s[6:7]
	s_cbranch_execz .LBB99_34
.LBB99_41:                              ;   in Loop: Header=BB99_5 Depth=1
	v_lshl_add_u64 v[4:5], v[56:57], 0, v[30:31]
	global_load_ushort v2, v[4:5], off
	v_lshl_add_u64 v[4:5], v[58:59], 0, v[30:31]
	global_load_ushort v4, v[4:5], off
	s_waitcnt vmcnt(1)
	v_lshlrev_b32_e32 v19, 16, v2
	s_waitcnt vmcnt(0)
	v_lshlrev_b32_e32 v11, 16, v4
	s_or_b64 exec, exec, s[22:23]
	s_and_saveexec_b64 s[22:23], s[6:7]
	s_cbranch_execz .LBB99_35
.LBB99_42:                              ;   in Loop: Header=BB99_5 Depth=1
	v_lshl_add_u64 v[4:5], v[52:53], 0, v[30:31]
	global_load_ushort v2, v[4:5], off
	v_lshl_add_u64 v[4:5], v[54:55], 0, v[30:31]
	global_load_ushort v4, v[4:5], off
	s_waitcnt vmcnt(1)
	v_lshlrev_b32_e32 v20, 16, v2
	s_waitcnt vmcnt(0)
	v_lshlrev_b32_e32 v12, 16, v4
	s_or_b64 exec, exec, s[22:23]
	s_and_saveexec_b64 s[22:23], s[6:7]
	s_cbranch_execz .LBB99_36
.LBB99_43:                              ;   in Loop: Header=BB99_5 Depth=1
	v_lshl_add_u64 v[4:5], v[48:49], 0, v[30:31]
	global_load_ushort v2, v[4:5], off
	v_lshl_add_u64 v[4:5], v[50:51], 0, v[30:31]
	global_load_ushort v4, v[4:5], off
	s_waitcnt vmcnt(1)
	v_lshlrev_b32_e32 v21, 16, v2
	s_waitcnt vmcnt(0)
	v_lshlrev_b32_e32 v13, 16, v4
	s_or_b64 exec, exec, s[22:23]
	s_and_saveexec_b64 s[22:23], s[6:7]
	s_cbranch_execz .LBB99_37
.LBB99_44:                              ;   in Loop: Header=BB99_5 Depth=1
	v_lshl_add_u64 v[4:5], v[44:45], 0, v[30:31]
	global_load_ushort v2, v[4:5], off
	v_lshl_add_u64 v[4:5], v[46:47], 0, v[30:31]
	global_load_ushort v4, v[4:5], off
	s_waitcnt vmcnt(1)
	v_lshlrev_b32_e32 v22, 16, v2
	s_waitcnt vmcnt(0)
	v_lshlrev_b32_e32 v14, 16, v4
	s_or_b64 exec, exec, s[22:23]
	s_and_saveexec_b64 s[22:23], s[6:7]
	s_cbranch_execz .LBB99_38
.LBB99_45:                              ;   in Loop: Header=BB99_5 Depth=1
	v_lshl_add_u64 v[4:5], v[40:41], 0, v[30:31]
	global_load_ushort v2, v[4:5], off
	v_lshl_add_u64 v[4:5], v[42:43], 0, v[30:31]
	global_load_ushort v4, v[4:5], off
	s_waitcnt vmcnt(1)
	v_lshlrev_b32_e32 v23, 16, v2
	s_waitcnt vmcnt(0)
	v_lshlrev_b32_e32 v15, 16, v4
	s_or_b64 exec, exec, s[22:23]
	s_and_saveexec_b64 s[22:23], s[6:7]
	s_cbranch_execz .LBB99_39
.LBB99_46:                              ;   in Loop: Header=BB99_5 Depth=1
	v_lshl_add_u64 v[4:5], v[36:37], 0, v[30:31]
	global_load_ushort v2, v[4:5], off
	v_lshl_add_u64 v[4:5], v[38:39], 0, v[30:31]
	global_load_ushort v4, v[4:5], off
	s_waitcnt vmcnt(1)
	v_lshlrev_b32_e32 v24, 16, v2
	s_waitcnt vmcnt(0)
	v_lshlrev_b32_e32 v16, 16, v4
	s_or_b64 exec, exec, s[22:23]
	s_and_saveexec_b64 s[22:23], s[6:7]
	s_cbranch_execz .LBB99_3
.LBB99_47:                              ;   in Loop: Header=BB99_5 Depth=1
	v_lshl_add_u64 v[4:5], v[32:33], 0, v[30:31]
	global_load_ushort v2, v[4:5], off
	v_lshl_add_u64 v[4:5], v[34:35], 0, v[30:31]
	global_load_ushort v4, v[4:5], off
	s_waitcnt vmcnt(1)
	v_lshlrev_b32_e32 v25, 16, v2
	s_waitcnt vmcnt(0)
	v_lshlrev_b32_e32 v17, 16, v4
	s_branch .LBB99_3
.LBB99_48:
                                        ; implicit-def: $vgpr29
	s_branch .LBB99_50
.LBB99_49:
	s_cbranch_execnz .LBB99_81
.LBB99_50:
	v_mov_b32_e32 v29, 0
	s_mov_b32 s20, 0
	s_and_b64 vcc, exec, s[4:5]
	v_mov_b32_e32 v28, v29
	s_cbranch_vccnz .LBB99_81
; %bb.51:
	v_and_b32_e32 v1, 0x3ff, v0
	v_add_u32_e32 v2, s3, v1
	v_mov_b32_e32 v3, 0
	v_bfe_u32 v96, v0, 10, 10
	v_lshlrev_b64 v[30:31], 1, v[2:3]
	v_lshlrev_b32_e32 v2, 4, v96
	v_lshl_add_u64 v[4:5], s[10:11], 1, v[2:3]
	v_lshl_add_u64 v[6:7], v[4:5], 0, 2
	v_mov_b64_e32 v[8:9], s[16:17]
	v_lshl_add_u64 v[10:11], v[4:5], 0, 4
	v_lshl_add_u64 v[12:13], v[4:5], 0, 6
	;; [unrolled: 1-line block ×6, first 2 shown]
	v_mad_u64_u32 v[32:33], s[4:5], s14, v6, v[8:9]
	v_mad_u64_u32 v[34:35], s[4:5], s14, v10, v[8:9]
	;; [unrolled: 1-line block ×7, first 2 shown]
	v_mov_b64_e32 v[8:9], s[18:19]
	v_lshlrev_b32_e32 v26, 3, v96
	v_mov_b32_e32 v27, v3
	v_mul_lo_u32 v2, s14, v7
	v_mul_lo_u32 v7, s15, v6
	v_mad_u64_u32 v[46:47], s[4:5], s14, v6, v[8:9]
	v_add3_u32 v33, v7, v33, v2
	v_mul_lo_u32 v5, s14, v5
	v_mul_lo_u32 v25, s15, v4
	v_add3_u32 v47, v7, v47, v2
	v_lshl_add_u64 v[6:7], v[26:27], 0, s[10:11]
	v_mad_u64_u32 v[58:59], s[4:5], s14, v4, v[8:9]
	v_add3_u32 v45, v25, v45, v5
	v_add3_u32 v59, v25, v59, v5
	v_lshl_add_u64 v[4:5], v[6:7], 0, 7
	v_mad_u64_u32 v[48:49], s[4:5], s14, v10, v[8:9]
	v_mad_u64_u32 v[50:51], s[4:5], s14, v12, v[8:9]
	;; [unrolled: 1-line block ×5, first 2 shown]
	v_mul_lo_u32 v8, s15, v4
	v_mul_lo_u32 v9, s14, v5
	v_mad_u64_u32 v[4:5], s[4:5], s14, v4, 0
	v_mul_lo_u32 v11, s14, v11
	v_mul_lo_u32 v20, s15, v10
	v_add3_u32 v5, v5, v9, v8
	v_lshl_add_u64 v[8:9], v[6:7], 0, 6
	v_add3_u32 v35, v20, v35, v11
	v_add3_u32 v49, v20, v49, v11
	v_mul_lo_u32 v10, s15, v8
	v_mul_lo_u32 v11, s14, v9
	v_mad_u64_u32 v[8:9], s[4:5], s14, v8, 0
	v_mul_lo_u32 v13, s14, v13
	v_mul_lo_u32 v21, s15, v12
	v_add3_u32 v9, v9, v11, v10
	v_lshl_add_u64 v[10:11], v[6:7], 0, 5
	v_add3_u32 v37, v21, v37, v13
	v_add3_u32 v51, v21, v51, v13
	;; [unrolled: 9-line block ×4, first 2 shown]
	v_mul_lo_u32 v16, s15, v14
	v_mul_lo_u32 v17, s14, v15
	v_mad_u64_u32 v[14:15], s[4:5], s14, v14, 0
	v_mul_lo_u32 v19, s14, v19
	v_mul_lo_u32 v24, s15, v18
	v_add3_u32 v15, v15, v17, v16
	v_lshl_add_u64 v[16:17], v[6:7], 0, 2
	s_load_dword s3, s[0:1], 0x44
	v_add3_u32 v43, v24, v43, v19
	v_add3_u32 v57, v24, v57, v19
	v_mul_lo_u32 v18, s15, v16
	v_mul_lo_u32 v19, s14, v17
	v_mad_u64_u32 v[16:17], s[4:5], s14, v16, 0
	v_lshlrev_b64 v[4:5], 1, v[4:5]
	v_add3_u32 v17, v17, v19, v18
	v_mov_b64_e32 v[18:19], s[14:15]
	v_lshl_add_u64 v[64:65], s[16:17], 0, v[4:5]
	v_lshl_add_u64 v[66:67], s[18:19], 0, v[4:5]
	v_lshlrev_b64 v[4:5], 1, v[8:9]
	v_mul_lo_u32 v2, s15, v6
	v_mad_u64_u32 v[18:19], s[4:5], s14, v6, v[18:19]
	v_mul_lo_u32 v20, s14, v7
	v_mad_u64_u32 v[6:7], s[4:5], s14, v6, 0
	v_lshl_add_u64 v[68:69], s[16:17], 0, v[4:5]
	v_lshl_add_u64 v[70:71], s[18:19], 0, v[4:5]
	v_lshlrev_b64 v[4:5], 1, v[10:11]
	s_add_u32 s4, s0, 64
	v_lshl_add_u64 v[72:73], s[16:17], 0, v[4:5]
	v_lshl_add_u64 v[74:75], s[18:19], 0, v[4:5]
	v_lshlrev_b64 v[4:5], 1, v[12:13]
	v_add3_u32 v7, v7, v20, v2
	v_add3_u32 v19, v2, v19, v20
	s_addc_u32 s5, s1, 0
	s_waitcnt lgkmcnt(0)
	s_lshl_b32 s6, s3, 3
	v_lshl_add_u64 v[76:77], s[16:17], 0, v[4:5]
	v_lshl_add_u64 v[78:79], s[18:19], 0, v[4:5]
	v_lshlrev_b64 v[4:5], 1, v[14:15]
	v_mbcnt_lo_u32_b32 v2, -1, 0
	s_mul_i32 s3, s15, s6
	s_mul_hi_u32 s9, s14, s6
	v_lshl_add_u64 v[80:81], s[16:17], 0, v[4:5]
	v_lshl_add_u64 v[82:83], s[18:19], 0, v[4:5]
	v_lshlrev_b64 v[4:5], 1, v[16:17]
	v_mbcnt_hi_u32_b32 v2, -1, v2
	s_add_i32 s23, s9, s3
	s_mul_i32 s22, s14, s6
	v_lshlrev_b64 v[6:7], 1, v[6:7]
	v_lshl_add_u64 v[84:85], s[16:17], 0, v[4:5]
	v_lshl_add_u64 v[86:87], s[18:19], 0, v[4:5]
	v_lshlrev_b64 v[4:5], 1, v[18:19]
	v_lshlrev_b32_e32 v2, 2, v2
	s_mov_b32 s7, s20
	s_lshl_b64 s[34:35], s[22:23], 1
	v_lshl_add_u64 v[60:61], s[16:17], 0, v[6:7]
	v_lshl_add_u64 v[62:63], s[18:19], 0, v[6:7]
	s_mov_b64 s[36:37], 7
	v_lshl_add_u64 v[88:89], s[16:17], 0, v[4:5]
	v_lshl_add_u64 v[90:91], s[18:19], 0, v[4:5]
	v_and_b32_e32 v97, 0x100, v2
	s_mov_b64 s[16:17], s[10:11]
	v_mov_b32_e32 v28, v3
	v_mov_b32_e32 v29, v3
	s_branch .LBB99_55
.LBB99_52:                              ;   in Loop: Header=BB99_55 Depth=1
	s_or_b64 exec, exec, s[22:23]
.LBB99_53:                              ;   in Loop: Header=BB99_55 Depth=1
	s_or_b64 exec, exec, s[18:19]
	v_lshl_add_u64 v[4:5], v[60:61], 0, v[30:31]
	global_load_ushort v2, v[4:5], off
	v_lshl_add_u64 v[4:5], v[62:63], 0, v[30:31]
	global_load_ushort v8, v[4:5], off
	;; [unrolled: 2-line block ×16, first 2 shown]
	s_waitcnt vmcnt(17)
	ds_bpermute_b32 v23, v97, v7
	ds_bpermute_b32 v25, v97, v7 offset:4
	s_waitcnt vmcnt(16)
	ds_bpermute_b32 v22, v97, v6
	ds_bpermute_b32 v29, v97, v7 offset:8
	ds_bpermute_b32 v95, v97, v7 offset:12
	;; [unrolled: 1-line block ×13, first 2 shown]
	s_waitcnt vmcnt(15)
	v_lshlrev_b32_e32 v4, 16, v2
	s_waitcnt vmcnt(14)
	v_lshlrev_b32_e32 v2, 16, v8
	s_waitcnt lgkmcnt(14)
	v_sub_f32_e32 v2, v2, v23
	s_waitcnt vmcnt(13)
	v_lshlrev_b32_e32 v6, 16, v9
	v_mul_f32_e32 v2, v2, v4
	s_waitcnt vmcnt(12)
	v_lshlrev_b32_e32 v7, 16, v10
	s_waitcnt vmcnt(11)
	v_lshlrev_b32_e32 v8, 16, v11
	;; [unrolled: 2-line block ×13, first 2 shown]
	v_sub_f32_e32 v5, v7, v25
	s_waitcnt lgkmcnt(12)
	v_sub_f32_e32 v7, v9, v29
	s_waitcnt lgkmcnt(11)
	;; [unrolled: 2-line block ×5, first 2 shown]
	v_sub_f32_e32 v15, v17, v103
	v_mul_f32_e32 v17, v5, v6
	v_mul_f32_e32 v5, v2, v22
	;; [unrolled: 1-line block ×3, first 2 shown]
	s_waitcnt lgkmcnt(7)
	v_mul_f32_e32 v7, v17, v24
	v_pk_add_f32 v[4:5], v[92:93], v[4:5]
	v_mul_f32_e32 v21, v9, v10
	s_waitcnt lgkmcnt(6)
	v_mul_f32_e32 v9, v20, v28
	v_pk_add_f32 v[4:5], v[4:5], v[6:7]
	v_mul_f32_e32 v23, v11, v12
	;; [unrolled: 4-line block ×4, first 2 shown]
	s_waitcnt lgkmcnt(2)
	v_mul_f32_e32 v15, v25, v100
	v_pk_add_f32 v[4:5], v[4:5], v[12:13]
	v_sub_f32_e32 v2, v19, v105
	s_waitcnt lgkmcnt(1)
	v_mul_f32_e32 v17, v29, v102
	v_pk_add_f32 v[4:5], v[4:5], v[14:15]
	v_mul_f32_e32 v2, v2, v18
	v_pk_add_f32 v[4:5], v[4:5], v[16:17]
	s_waitcnt lgkmcnt(0)
	v_mul_f32_e32 v19, v2, v104
	v_pk_add_f32 v[28:29], v[4:5], v[18:19]
.LBB99_54:                              ;   in Loop: Header=BB99_55 Depth=1
	s_add_u32 s16, s16, s6
	s_addc_u32 s17, s17, 0
	v_mov_b64_e32 v[4:5], s[12:13]
	s_add_u32 s36, s36, s6
	v_cmp_ge_i64_e32 vcc, s[16:17], v[4:5]
	v_lshl_add_u64 v[26:27], v[26:27], 0, s[6:7]
	v_lshl_add_u64 v[32:33], v[32:33], 0, s[34:35]
	;; [unrolled: 1-line block ×31, first 2 shown]
	s_addc_u32 s37, s37, 0
	s_cbranch_vccnz .LBB99_81
.LBB99_55:                              ; =>This Inner Loop Header: Depth=1
	s_add_u32 s18, s10, s36
	s_addc_u32 s19, 0, s37
	v_mov_b64_e32 v[4:5], s[12:13]
	v_cmp_ge_i64_e32 vcc, s[18:19], v[4:5]
	v_mov_b32_e32 v92, v28
	v_mov_b32_e32 v93, v29
	v_lshl_add_u64 v[94:95], s[10:11], 0, v[26:27]
	s_cbranch_vccz .LBB99_77
; %bb.56:                               ;   in Loop: Header=BB99_55 Depth=1
	s_load_dword s3, s[4:5], 0xc
	v_mov_b32_e32 v28, 0
	v_mov_b32_e32 v29, 0
	s_waitcnt lgkmcnt(0)
	s_and_b32 s3, s3, 0xffff
	v_mad_u32_u24 v2, v96, s3, v1
	v_and_b32_e32 v2, 63, v2
	v_cmp_gt_u32_e32 vcc, 8, v2
	s_and_saveexec_b64 s[18:19], vcc
	s_cbranch_execz .LBB99_60
; %bb.57:                               ;   in Loop: Header=BB99_55 Depth=1
	v_lshl_add_u64 v[4:5], v[94:95], 0, v[2:3]
	v_cmp_gt_i64_e32 vcc, s[12:13], v[4:5]
	v_mov_b32_e32 v29, 0
	v_mov_b32_e32 v28, 0
	s_and_saveexec_b64 s[22:23], vcc
	s_cbranch_execz .LBB99_59
; %bb.58:                               ;   in Loop: Header=BB99_55 Depth=1
	v_lshlrev_b64 v[4:5], 2, v[4:5]
	v_lshl_add_u64 v[6:7], s[30:31], 0, v[4:5]
	v_lshl_add_u64 v[4:5], s[28:29], 0, v[4:5]
	global_load_dword v29, v[4:5], off
	global_load_dword v28, v[6:7], off
.LBB99_59:                              ;   in Loop: Header=BB99_55 Depth=1
	s_or_b64 exec, exec, s[22:23]
.LBB99_60:                              ;   in Loop: Header=BB99_55 Depth=1
	s_or_b64 exec, exec, s[18:19]
	s_mov_b32 s21, s20
	s_mov_b32 s22, s20
	;; [unrolled: 1-line block ×7, first 2 shown]
	v_mov_b64_e32 v[10:11], s[20:21]
	v_mov_b64_e32 v[16:17], s[26:27]
	;; [unrolled: 1-line block ×5, first 2 shown]
	v_cmp_gt_i64_e32 vcc, s[12:13], v[94:95]
	v_mov_b64_e32 v[22:23], v[14:15]
	v_mov_b64_e32 v[20:21], v[12:13]
	;; [unrolled: 1-line block ×3, first 2 shown]
	s_and_saveexec_b64 s[18:19], vcc
	s_cbranch_execz .LBB99_62
; %bb.61:                               ;   in Loop: Header=BB99_55 Depth=1
	v_lshl_add_u64 v[4:5], v[60:61], 0, v[30:31]
	global_load_ushort v2, v[4:5], off
	v_lshl_add_u64 v[4:5], v[62:63], 0, v[30:31]
	global_load_ushort v10, v[4:5], off
	v_mov_b32_e32 v8, v3
	v_mov_b32_e32 v9, v3
	;; [unrolled: 1-line block ×13, first 2 shown]
	s_waitcnt vmcnt(1)
	v_lshlrev_b32_e32 v2, 16, v2
	v_mov_b64_e32 v[24:25], v[8:9]
	s_waitcnt vmcnt(0)
	v_lshlrev_b32_e32 v10, 16, v10
	v_mov_b64_e32 v[22:23], v[6:7]
	v_mov_b64_e32 v[20:21], v[4:5]
	;; [unrolled: 1-line block ×3, first 2 shown]
.LBB99_62:                              ;   in Loop: Header=BB99_55 Depth=1
	s_or_b64 exec, exec, s[18:19]
	v_lshl_add_u64 v[4:5], v[94:95], 0, 1
	v_cmp_gt_i64_e32 vcc, s[12:13], v[4:5]
	s_and_saveexec_b64 s[18:19], vcc
	s_cbranch_execz .LBB99_64
; %bb.63:                               ;   in Loop: Header=BB99_55 Depth=1
	v_lshl_add_u64 v[4:5], v[88:89], 0, v[30:31]
	global_load_ushort v2, v[4:5], off
	v_lshl_add_u64 v[4:5], v[90:91], 0, v[30:31]
	global_load_ushort v4, v[4:5], off
	s_waitcnt vmcnt(1)
	v_lshlrev_b32_e32 v19, 16, v2
	s_waitcnt vmcnt(0)
	v_lshlrev_b32_e32 v11, 16, v4
.LBB99_64:                              ;   in Loop: Header=BB99_55 Depth=1
	s_or_b64 exec, exec, s[18:19]
	v_lshl_add_u64 v[4:5], v[94:95], 0, 2
	v_cmp_gt_i64_e32 vcc, s[12:13], v[4:5]
	s_and_saveexec_b64 s[18:19], vcc
	s_cbranch_execz .LBB99_66
; %bb.65:                               ;   in Loop: Header=BB99_55 Depth=1
	v_lshl_add_u64 v[4:5], v[84:85], 0, v[30:31]
	global_load_ushort v2, v[4:5], off
	v_lshl_add_u64 v[4:5], v[86:87], 0, v[30:31]
	global_load_ushort v4, v[4:5], off
	s_waitcnt vmcnt(1)
	v_lshlrev_b32_e32 v20, 16, v2
	s_waitcnt vmcnt(0)
	v_lshlrev_b32_e32 v12, 16, v4
.LBB99_66:                              ;   in Loop: Header=BB99_55 Depth=1
	;; [unrolled: 15-line block ×7, first 2 shown]
	s_or_b64 exec, exec, s[18:19]
	s_waitcnt vmcnt(1)
	ds_bpermute_b32 v2, v97, v29
	s_waitcnt vmcnt(0)
	ds_bpermute_b32 v4, v97, v28
	ds_bpermute_b32 v7, v97, v29 offset:4
	ds_bpermute_b32 v6, v97, v28 offset:4
	;; [unrolled: 1-line block ×3, first 2 shown]
	s_waitcnt lgkmcnt(4)
	v_sub_f32_e32 v2, v10, v2
	v_mul_f32_e32 v2, v18, v2
	s_waitcnt lgkmcnt(3)
	v_mul_f32_e32 v5, v2, v4
	ds_bpermute_b32 v4, v97, v28 offset:8
	s_waitcnt lgkmcnt(3)
	v_sub_f32_e32 v2, v11, v7
	v_mul_f32_e32 v2, v19, v2
	s_waitcnt lgkmcnt(2)
	v_mul_f32_e32 v7, v2, v6
	s_waitcnt lgkmcnt(1)
	v_sub_f32_e32 v2, v12, v8
	ds_bpermute_b32 v6, v97, v29 offset:12
	v_mul_f32_e32 v2, v20, v2
	s_waitcnt lgkmcnt(1)
	v_mul_f32_e32 v9, v2, v4
	ds_bpermute_b32 v2, v97, v28 offset:12
	ds_bpermute_b32 v4, v97, v29 offset:16
	ds_bpermute_b32 v8, v97, v28 offset:16
	s_waitcnt lgkmcnt(3)
	v_sub_f32_e32 v6, v13, v6
	v_mul_f32_e32 v6, v21, v6
	s_waitcnt lgkmcnt(2)
	v_mul_f32_e32 v11, v6, v2
	s_waitcnt lgkmcnt(1)
	v_sub_f32_e32 v2, v14, v4
	ds_bpermute_b32 v4, v97, v29 offset:20
	v_mul_f32_e32 v2, v22, v2
	s_waitcnt lgkmcnt(1)
	v_mul_f32_e32 v13, v2, v8
	ds_bpermute_b32 v2, v97, v28 offset:20
	ds_bpermute_b32 v6, v97, v29 offset:24
	;; [unrolled: 1-line block ×3, first 2 shown]
	s_waitcnt lgkmcnt(3)
	v_sub_f32_e32 v4, v15, v4
	v_mul_f32_e32 v4, v23, v4
	s_waitcnt lgkmcnt(2)
	v_mul_f32_e32 v15, v4, v2
	s_waitcnt lgkmcnt(1)
	v_sub_f32_e32 v2, v16, v6
	v_mul_f32_e32 v2, v24, v2
	s_waitcnt lgkmcnt(0)
	v_mul_f32_e32 v99, v2, v8
	v_mov_b32_e32 v4, v18
	ds_bpermute_b32 v2, v97, v29 offset:28
	v_pk_add_f32 v[4:5], v[92:93], v[4:5]
	v_mov_b32_e32 v6, v19
	v_pk_add_f32 v[4:5], v[6:7], v[4:5]
	v_mov_b32_e32 v8, v20
	ds_bpermute_b32 v6, v97, v28 offset:28
	v_pk_add_f32 v[4:5], v[8:9], v[4:5]
	v_mov_b32_e32 v10, v21
	v_pk_add_f32 v[4:5], v[10:11], v[4:5]
	v_mov_b32_e32 v12, v22
	;; [unrolled: 2-line block ×3, first 2 shown]
	s_waitcnt lgkmcnt(1)
	v_sub_f32_e32 v2, v17, v2
	v_pk_add_f32 v[4:5], v[14:15], v[4:5]
	v_mov_b32_e32 v98, v24
	v_mul_f32_e32 v2, v25, v2
	v_pk_add_f32 v[4:5], v[98:99], v[4:5]
	s_waitcnt lgkmcnt(0)
	v_mul_f32_e32 v7, v2, v6
	v_mov_b32_e32 v6, v25
	v_pk_add_f32 v[28:29], v[6:7], v[4:5]
	s_branch .LBB99_54
.LBB99_77:                              ;   in Loop: Header=BB99_55 Depth=1
                                        ; implicit-def: $vgpr29
	s_cbranch_execz .LBB99_54
; %bb.78:                               ;   in Loop: Header=BB99_55 Depth=1
	s_load_dword s3, s[4:5], 0x0
	v_mov_b32_e32 v6, 0
	v_mov_b32_e32 v7, 0
	s_waitcnt lgkmcnt(0)
	s_cmp_lt_u32 s2, s3
	s_cselect_b32 s3, 12, 18
	s_add_u32 s18, s4, s3
	s_addc_u32 s19, s5, 0
	global_load_ushort v2, v3, s[18:19]
	s_waitcnt vmcnt(0)
	v_mad_u32_u24 v2, v96, v2, v1
	v_and_b32_e32 v2, 63, v2
	v_cmp_gt_u32_e32 vcc, 8, v2
	s_and_saveexec_b64 s[18:19], vcc
	s_cbranch_execz .LBB99_53
; %bb.79:                               ;   in Loop: Header=BB99_55 Depth=1
	v_lshl_add_u64 v[4:5], v[94:95], 0, v[2:3]
	v_cmp_gt_i64_e32 vcc, s[12:13], v[4:5]
	v_mov_b32_e32 v7, 0
	v_mov_b32_e32 v6, 0
	s_and_saveexec_b64 s[22:23], vcc
	s_cbranch_execz .LBB99_52
; %bb.80:                               ;   in Loop: Header=BB99_55 Depth=1
	v_lshlrev_b64 v[4:5], 2, v[4:5]
	v_lshl_add_u64 v[8:9], s[30:31], 0, v[4:5]
	v_lshl_add_u64 v[4:5], s[28:29], 0, v[4:5]
	global_load_dword v7, v[4:5], off
	global_load_dword v6, v[8:9], off
	s_branch .LBB99_52
.LBB99_81:
	s_mov_b32 s3, 0
	s_lshl_b64 s[2:3], s[2:3], 6
	v_and_b32_e32 v1, 0x3ff, v0
	v_or_b32_e32 v2, s2, v1
	v_mov_b32_e32 v3, s3
	v_cmp_gt_i64_e32 vcc, s[14:15], v[2:3]
	s_and_saveexec_b64 s[2:3], vcc
	s_cbranch_execz .LBB99_86
; %bb.82:
	s_load_dword s2, s[0:1], 0x4c
	s_load_dwordx4 s[4:7], s[0:1], 0x30
	v_bfe_u32 v0, v0, 10, 10
	v_mov_b32_e32 v1, 0
	v_mov_b32_e32 v4, s8
	s_waitcnt lgkmcnt(0)
	s_lshr_b32 s0, s2, 16
	v_mad_u64_u32 v[0:1], s[0:1], s0, v4, v[0:1]
	s_cmp_eq_u64 s[4:5], 0
	v_mul_lo_u32 v1, v1, s14
	v_mul_lo_u32 v4, v0, s15
	s_cbranch_scc1 .LBB99_84
; %bb.83:
	v_bfe_u32 v5, v29, 16, 1
	s_movk_i32 s0, 0x7fff
	v_add3_u32 v5, v29, v5, s0
	v_lshrrev_b32_e32 v5, 16, v5
	v_mov_b32_e32 v6, 0x7fc0
	v_cmp_o_f32_e32 vcc, v29, v29
	s_nop 1
	v_cndmask_b32_e32 v5, v6, v5, vcc
	v_mad_u64_u32 v[6:7], s[0:1], v0, s14, 0
	v_add3_u32 v7, v7, v4, v1
	v_lshl_add_u64 v[6:7], v[6:7], 1, s[4:5]
	v_lshl_add_u64 v[6:7], v[2:3], 1, v[6:7]
	global_store_short v[6:7], v5, off
.LBB99_84:
	s_cmp_eq_u64 s[6:7], 0
	s_cbranch_scc1 .LBB99_86
; %bb.85:
	v_bfe_u32 v5, v28, 16, 1
	s_movk_i32 s0, 0x7fff
	v_add3_u32 v5, v28, v5, s0
	v_lshrrev_b32_e32 v5, 16, v5
	v_mov_b32_e32 v6, 0x7fc0
	v_cmp_o_f32_e32 vcc, v28, v28
	s_nop 1
	v_cndmask_b32_e32 v5, v6, v5, vcc
	v_mad_u64_u32 v[6:7], s[0:1], v0, s14, 0
	v_add3_u32 v7, v7, v4, v1
	v_lshl_add_u64 v[0:1], v[6:7], 1, s[6:7]
	v_lshl_add_u64 v[0:1], v[2:3], 1, v[0:1]
	global_store_short v[0:1], v5, off
.LBB99_86:
	s_endpgm
	.section	.rodata,"a",@progbits
	.p2align	6, 0x0
	.amdhsa_kernel _ZN2at6native12_GLOBAL__N_135GammaBetaBackwardCUDAKernelTemplateIN3c108BFloat16EfLj64ELj1ELj8ELb1ELb0ELb0EEEvllPKT_S7_PKT0_SA_PS5_SB_
		.amdhsa_group_segment_fixed_size 0
		.amdhsa_private_segment_fixed_size 0
		.amdhsa_kernarg_size 320
		.amdhsa_user_sgpr_count 2
		.amdhsa_user_sgpr_dispatch_ptr 0
		.amdhsa_user_sgpr_queue_ptr 0
		.amdhsa_user_sgpr_kernarg_segment_ptr 1
		.amdhsa_user_sgpr_dispatch_id 0
		.amdhsa_user_sgpr_kernarg_preload_length 0
		.amdhsa_user_sgpr_kernarg_preload_offset 0
		.amdhsa_user_sgpr_private_segment_size 0
		.amdhsa_uses_dynamic_stack 0
		.amdhsa_enable_private_segment 0
		.amdhsa_system_sgpr_workgroup_id_x 1
		.amdhsa_system_sgpr_workgroup_id_y 1
		.amdhsa_system_sgpr_workgroup_id_z 0
		.amdhsa_system_sgpr_workgroup_info 0
		.amdhsa_system_vgpr_workitem_id 1
		.amdhsa_next_free_vgpr 106
		.amdhsa_next_free_sgpr 46
		.amdhsa_accum_offset 108
		.amdhsa_reserve_vcc 1
		.amdhsa_float_round_mode_32 0
		.amdhsa_float_round_mode_16_64 0
		.amdhsa_float_denorm_mode_32 3
		.amdhsa_float_denorm_mode_16_64 3
		.amdhsa_dx10_clamp 1
		.amdhsa_ieee_mode 1
		.amdhsa_fp16_overflow 0
		.amdhsa_tg_split 0
		.amdhsa_exception_fp_ieee_invalid_op 0
		.amdhsa_exception_fp_denorm_src 0
		.amdhsa_exception_fp_ieee_div_zero 0
		.amdhsa_exception_fp_ieee_overflow 0
		.amdhsa_exception_fp_ieee_underflow 0
		.amdhsa_exception_fp_ieee_inexact 0
		.amdhsa_exception_int_div_zero 0
	.end_amdhsa_kernel
	.section	.text._ZN2at6native12_GLOBAL__N_135GammaBetaBackwardCUDAKernelTemplateIN3c108BFloat16EfLj64ELj1ELj8ELb1ELb0ELb0EEEvllPKT_S7_PKT0_SA_PS5_SB_,"axG",@progbits,_ZN2at6native12_GLOBAL__N_135GammaBetaBackwardCUDAKernelTemplateIN3c108BFloat16EfLj64ELj1ELj8ELb1ELb0ELb0EEEvllPKT_S7_PKT0_SA_PS5_SB_,comdat
.Lfunc_end99:
	.size	_ZN2at6native12_GLOBAL__N_135GammaBetaBackwardCUDAKernelTemplateIN3c108BFloat16EfLj64ELj1ELj8ELb1ELb0ELb0EEEvllPKT_S7_PKT0_SA_PS5_SB_, .Lfunc_end99-_ZN2at6native12_GLOBAL__N_135GammaBetaBackwardCUDAKernelTemplateIN3c108BFloat16EfLj64ELj1ELj8ELb1ELb0ELb0EEEvllPKT_S7_PKT0_SA_PS5_SB_
                                        ; -- End function
	.section	.AMDGPU.csdata,"",@progbits
; Kernel info:
; codeLenInByte = 7164
; NumSgprs: 52
; NumVgprs: 106
; NumAgprs: 0
; TotalNumVgprs: 106
; ScratchSize: 0
; MemoryBound: 0
; FloatMode: 240
; IeeeMode: 1
; LDSByteSize: 0 bytes/workgroup (compile time only)
; SGPRBlocks: 6
; VGPRBlocks: 13
; NumSGPRsForWavesPerEU: 52
; NumVGPRsForWavesPerEU: 106
; AccumOffset: 108
; Occupancy: 4
; WaveLimiterHint : 0
; COMPUTE_PGM_RSRC2:SCRATCH_EN: 0
; COMPUTE_PGM_RSRC2:USER_SGPR: 2
; COMPUTE_PGM_RSRC2:TRAP_HANDLER: 0
; COMPUTE_PGM_RSRC2:TGID_X_EN: 1
; COMPUTE_PGM_RSRC2:TGID_Y_EN: 1
; COMPUTE_PGM_RSRC2:TGID_Z_EN: 0
; COMPUTE_PGM_RSRC2:TIDIG_COMP_CNT: 1
; COMPUTE_PGM_RSRC3_GFX90A:ACCUM_OFFSET: 26
; COMPUTE_PGM_RSRC3_GFX90A:TG_SPLIT: 0
	.section	.text._ZN2at6native12_GLOBAL__N_135GammaBetaBackwardCUDAKernelTemplateIN3c108BFloat16EfLj64ELj8ELj64ELb0ELb1ELb0EEEvllPKT_S7_PKT0_SA_PS5_SB_,"axG",@progbits,_ZN2at6native12_GLOBAL__N_135GammaBetaBackwardCUDAKernelTemplateIN3c108BFloat16EfLj64ELj8ELj64ELb0ELb1ELb0EEEvllPKT_S7_PKT0_SA_PS5_SB_,comdat
	.globl	_ZN2at6native12_GLOBAL__N_135GammaBetaBackwardCUDAKernelTemplateIN3c108BFloat16EfLj64ELj8ELj64ELb0ELb1ELb0EEEvllPKT_S7_PKT0_SA_PS5_SB_ ; -- Begin function _ZN2at6native12_GLOBAL__N_135GammaBetaBackwardCUDAKernelTemplateIN3c108BFloat16EfLj64ELj8ELj64ELb0ELb1ELb0EEEvllPKT_S7_PKT0_SA_PS5_SB_
	.p2align	8
	.type	_ZN2at6native12_GLOBAL__N_135GammaBetaBackwardCUDAKernelTemplateIN3c108BFloat16EfLj64ELj8ELj64ELb0ELb1ELb0EEEvllPKT_S7_PKT0_SA_PS5_SB_,@function
_ZN2at6native12_GLOBAL__N_135GammaBetaBackwardCUDAKernelTemplateIN3c108BFloat16EfLj64ELj8ELj64ELb0ELb1ELb0EEEvllPKT_S7_PKT0_SA_PS5_SB_: ; @_ZN2at6native12_GLOBAL__N_135GammaBetaBackwardCUDAKernelTemplateIN3c108BFloat16EfLj64ELj8ELj64ELb0ELb1ELb0EEEvllPKT_S7_PKT0_SA_PS5_SB_
; %bb.0:
	s_load_dwordx4 s[16:19], s[0:1], 0x0
	s_lshl_b32 s6, s3, 6
	s_mov_b32 s7, 0
	v_bfe_u32 v12, v0, 10, 10
	s_waitcnt lgkmcnt(0)
	v_mov_b64_e32 v[2:3], s[16:17]
	v_cmp_lt_i64_e32 vcc, s[6:7], v[2:3]
	s_cbranch_vccnz .LBB100_2
; %bb.1:
	s_mov_b64 s[4:5], 0
	v_bfe_u32 v4, v0, 10, 10
	s_branch .LBB100_3
.LBB100_2:
	s_mov_b64 s[4:5], -1
                                        ; implicit-def: $vgpr4
.LBB100_3:
	v_and_b32_e32 v10, 0x3ff, v0
	s_andn2_b64 vcc, exec, s[4:5]
	v_mov_b32_e32 v1, s7
	v_mbcnt_lo_u32_b32 v11, -1, 0
	v_mov_b32_e32 v0, s7
	s_cbranch_vccnz .LBB100_11
; %bb.4:
	s_load_dword s3, s[0:1], 0x4c
	s_load_dword s20, s[0:1], 0x44
	s_load_dwordx8 s[8:15], s[0:1], 0x10
	v_lshlrev_b32_e32 v0, 3, v12
	v_mbcnt_hi_u32_b32 v4, -1, v11
	s_waitcnt lgkmcnt(0)
	s_and_b32 s3, s3, 0xffff
	v_mad_u32_u24 v1, v12, s3, v10
	v_and_b32_e32 v2, 63, v1
	v_mov_b32_e32 v1, 0
	v_mov_b32_e32 v3, v1
	v_lshl_add_u64 v[8:9], v[0:1], 0, s[6:7]
	v_cmp_gt_u32_e64 s[4:5], 8, v2
	s_lshl_b32 s20, s20, 6
	v_lshl_add_u64 v[2:3], v[8:9], 0, v[2:3]
	v_mul_lo_u32 v0, s19, v8
	v_mul_lo_u32 v21, s18, v9
	v_mad_u64_u32 v[8:9], s[24:25], s18, v8, 0
	v_lshl_add_u32 v6, s2, 6, v10
	v_mov_b32_e32 v7, v1
	v_lshlrev_b32_e32 v4, 2, v4
	s_mul_i32 s3, s19, s20
	s_mul_hi_u32 s24, s18, s20
	s_mov_b32 s21, 0
	v_and_b32_e32 v13, 0x100, v4
	v_add3_u32 v9, v9, v21, v0
	v_lshlrev_b64 v[6:7], 1, v[6:7]
	s_add_i32 s25, s24, s3
	s_mul_i32 s24, s18, s20
	v_or_b32_e32 v14, 4, v13
	v_or_b32_e32 v15, 8, v13
	;; [unrolled: 1-line block ×7, first 2 shown]
	v_lshlrev_b64 v[4:5], 2, v[2:3]
	s_lshl_b64 s[22:23], s[20:21], 2
	v_lshl_add_u64 v[6:7], v[8:9], 1, v[6:7]
	s_lshl_b64 s[24:25], s[24:25], 1
	s_lshl_b64 s[18:19], s[18:19], 1
	v_mov_b64_e32 v[8:9], s[16:17]
	v_mov_b32_e32 v0, v1
	s_branch .LBB100_7
.LBB100_5:                              ;   in Loop: Header=BB100_7 Depth=1
	s_or_b64 exec, exec, s[28:29]
.LBB100_6:                              ;   in Loop: Header=BB100_7 Depth=1
	s_or_b64 exec, exec, s[26:27]
	v_lshl_add_u64 v[24:25], s[8:9], 0, v[6:7]
	v_lshl_add_u64 v[26:27], s[10:11], 0, v[6:7]
	global_load_ushort v23, v[24:25], off
	global_load_ushort v28, v[26:27], off
	v_lshl_add_u64 v[24:25], v[24:25], 0, s[18:19]
	v_lshl_add_u64 v[26:27], v[26:27], 0, s[18:19]
	global_load_ushort v29, v[24:25], off
	global_load_ushort v30, v[26:27], off
	;; [unrolled: 4-line block ×8, first 2 shown]
	s_waitcnt vmcnt(17)
	ds_bpermute_b32 v26, v13, v21
	ds_bpermute_b32 v43, v14, v21
	s_waitcnt vmcnt(16)
	ds_bpermute_b32 v25, v13, v22
	ds_bpermute_b32 v45, v15, v21
	;; [unrolled: 1-line block ×14, first 2 shown]
	s_add_u32 s6, s6, s20
	s_addc_u32 s7, s7, 0
	v_cmp_lt_i64_e32 vcc, s[6:7], v[8:9]
	v_lshl_add_u64 v[4:5], v[4:5], 0, s[22:23]
	v_lshl_add_u64 v[2:3], v[2:3], 0, s[20:21]
	;; [unrolled: 1-line block ×3, first 2 shown]
	s_and_b64 vcc, exec, vcc
	s_waitcnt vmcnt(15)
	v_lshlrev_b32_e32 v22, 16, v23
	s_waitcnt vmcnt(14)
	v_lshlrev_b32_e32 v23, 16, v28
	s_waitcnt lgkmcnt(14)
	v_sub_f32_e32 v23, v23, v26
	v_mul_f32_e32 v23, v23, v22
	s_waitcnt vmcnt(13)
	v_lshlrev_b32_e32 v24, 16, v29
	s_waitcnt vmcnt(12)
	v_lshlrev_b32_e32 v28, 16, v30
	v_sub_f32_e32 v30, v28, v43
	s_waitcnt lgkmcnt(13)
	v_mul_f32_e32 v23, v23, v25
	s_waitcnt vmcnt(11)
	v_lshlrev_b32_e32 v26, 16, v31
	s_waitcnt vmcnt(10)
	v_lshlrev_b32_e32 v29, 16, v32
	v_mul_f32_e32 v25, v30, v24
	s_waitcnt lgkmcnt(12)
	v_sub_f32_e32 v29, v29, v45
	s_waitcnt vmcnt(9)
	v_lshlrev_b32_e32 v28, 16, v33
	s_waitcnt vmcnt(8)
	v_lshlrev_b32_e32 v31, 16, v34
	s_waitcnt lgkmcnt(11)
	v_mul_f32_e32 v25, v25, v27
	v_mul_f32_e32 v27, v29, v26
	s_waitcnt lgkmcnt(10)
	v_sub_f32_e32 v29, v31, v47
	s_waitcnt vmcnt(6)
	v_lshlrev_b32_e32 v32, 16, v36
	v_pk_add_f32 v[0:1], v[0:1], v[22:23]
	v_lshlrev_b32_e32 v30, 16, v35
	s_waitcnt lgkmcnt(9)
	v_mul_f32_e32 v27, v27, v44
	s_waitcnt vmcnt(4)
	v_lshlrev_b32_e32 v23, 16, v38
	v_mul_f32_e32 v29, v29, v28
	s_waitcnt lgkmcnt(6)
	v_sub_f32_e32 v31, v32, v49
	v_pk_add_f32 v[0:1], v[0:1], v[24:25]
	v_lshlrev_b32_e32 v22, 16, v37
	s_waitcnt vmcnt(2)
	v_lshlrev_b32_e32 v25, 16, v40
	v_mul_f32_e32 v29, v29, v46
	v_mul_f32_e32 v31, v31, v30
	s_waitcnt lgkmcnt(2)
	v_sub_f32_e32 v23, v23, v51
	v_pk_add_f32 v[0:1], v[0:1], v[26:27]
	v_lshlrev_b32_e32 v24, 16, v39
	s_waitcnt vmcnt(0)
	v_lshlrev_b32_e32 v27, 16, v42
	v_mul_f32_e32 v31, v31, v48
	v_mul_f32_e32 v23, v23, v22
	s_waitcnt lgkmcnt(1)
	v_sub_f32_e32 v25, v25, v53
	v_pk_add_f32 v[0:1], v[0:1], v[28:29]
	v_lshlrev_b32_e32 v26, 16, v41
	v_mul_f32_e32 v23, v23, v50
	v_mul_f32_e32 v25, v25, v24
	v_pk_add_f32 v[0:1], v[0:1], v[30:31]
	s_waitcnt lgkmcnt(0)
	v_sub_f32_e32 v21, v27, v21
	v_mul_f32_e32 v25, v25, v52
	v_pk_add_f32 v[0:1], v[0:1], v[22:23]
	v_mul_f32_e32 v21, v21, v26
	v_pk_add_f32 v[0:1], v[0:1], v[24:25]
	;; [unrolled: 2-line block ×3, first 2 shown]
	s_cbranch_vccz .LBB100_10
.LBB100_7:                              ; =>This Inner Loop Header: Depth=1
	v_mov_b32_e32 v22, 0
	v_mov_b32_e32 v21, 0
	s_and_saveexec_b64 s[26:27], s[4:5]
	s_cbranch_execz .LBB100_6
; %bb.8:                                ;   in Loop: Header=BB100_7 Depth=1
	v_cmp_gt_i64_e32 vcc, s[16:17], v[2:3]
	v_mov_b32_e32 v21, 0
	v_mov_b32_e32 v22, 0
	s_and_saveexec_b64 s[28:29], vcc
	s_cbranch_execz .LBB100_5
; %bb.9:                                ;   in Loop: Header=BB100_7 Depth=1
	v_lshl_add_u64 v[26:27], s[12:13], 0, v[4:5]
	v_lshl_add_u64 v[24:25], s[14:15], 0, v[4:5]
	global_load_dword v21, v[26:27], off
	global_load_dword v22, v[24:25], off
	s_branch .LBB100_5
.LBB100_10:
	v_mov_b32_e32 v4, v12
.LBB100_11:
	s_load_dwordx4 s[4:7], s[0:1], 0x30
	s_movk_i32 s0, 0x41
	v_mad_u32_u24 v2, v4, s0, v10
	v_lshl_add_u32 v2, v2, 2, 0
	v_lshrrev_b32_e32 v12, 6, v10
	ds_write_b32 v2, v1
	ds_write_b32 v2, v0 offset:2080
	v_add_u32_e32 v0, v12, v4
	s_mov_b32 s3, 0
	v_cmp_gt_u32_e32 vcc, 64, v0
	s_waitcnt lgkmcnt(0)
	s_barrier
	s_and_saveexec_b64 s[0:1], vcc
	s_cbranch_execz .LBB100_21
; %bb.12:
	v_and_b32_e32 v1, 63, v10
	v_cmp_gt_u32_e64 s[0:1], 8, v1
	v_mul_u32_u24_e32 v13, 0x41, v1
	v_mbcnt_hi_u32_b32 v1, -1, v11
	v_and_b32_e32 v2, 64, v1
	v_add_u32_e32 v2, 64, v2
	v_xor_b32_e32 v3, 4, v1
	v_cmp_lt_i32_e32 vcc, v3, v2
	s_lshl_b64 s[10:11], s[2:3], 6
	v_mov_b32_e32 v5, 0
	v_cndmask_b32_e32 v3, v1, v3, vcc
	v_lshlrev_b32_e32 v6, 2, v3
	v_xor_b32_e32 v3, 2, v1
	v_cmp_lt_i32_e32 vcc, v3, v2
	v_add_u32_e32 v9, -8, v0
	v_or_b32_e32 v0, s10, v12
	v_cndmask_b32_e32 v3, v1, v3, vcc
	v_lshlrev_b32_e32 v7, 2, v3
	v_xor_b32_e32 v3, 1, v1
	v_cmp_lt_i32_e32 vcc, v3, v2
	s_cmp_lg_u64 s[4:5], 0
	s_cselect_b64 s[12:13], -1, 0
	v_cndmask_b32_e32 v1, v1, v3, vcc
	v_lshlrev_b32_e32 v8, 2, v1
	v_mov_b32_e32 v1, s11
	v_lshl_add_u64 v[0:1], v[0:1], 0, v[4:5]
	s_cmp_lg_u64 s[6:7], 0
	v_lshlrev_b64 v[2:3], 1, v[0:1]
	v_add3_u32 v4, v13, v4, v12
	v_cmp_eq_u32_e64 s[2:3], 0, v10
	v_lshl_add_u64 v[0:1], s[6:7], 0, v[2:3]
	v_lshl_add_u32 v10, v4, 2, 0
	v_cndmask_b32_e64 v4, 0, 1, s[12:13]
	s_cselect_b64 s[6:7], -1, 0
	v_lshl_add_u64 v[2:3], s[4:5], 0, v[2:3]
	v_cmp_ne_u32_e64 s[4:5], 1, v4
	v_cndmask_b32_e64 v4, 0, 1, s[6:7]
	s_mov_b64 s[8:9], 0
	s_movk_i32 s12, 0x7fff
	v_cmp_ne_u32_e64 s[6:7], 1, v4
	v_mov_b32_e32 v11, 0x7fc0
                                        ; implicit-def: $vgpr4
	s_branch .LBB100_14
.LBB100_13:                             ;   in Loop: Header=BB100_14 Depth=1
	s_or_b64 exec, exec, s[10:11]
	v_add_u32_e32 v9, 8, v9
	v_cmp_lt_u32_e32 vcc, 55, v9
	v_lshl_add_u64 v[0:1], v[0:1], 0, 16
	v_lshl_add_u64 v[2:3], v[2:3], 0, 16
	s_or_b64 s[8:9], vcc, s[8:9]
	v_add_u32_e32 v10, 32, v10
	s_andn2_b64 exec, exec, s[8:9]
	s_cbranch_execz .LBB100_21
.LBB100_14:                             ; =>This Inner Loop Header: Depth=1
	s_and_saveexec_b64 s[10:11], s[0:1]
	s_cbranch_execz .LBB100_16
; %bb.15:                               ;   in Loop: Header=BB100_14 Depth=1
	ds_read_b32 v5, v10
	ds_read_b32 v4, v10 offset:2080
.LBB100_16:                             ;   in Loop: Header=BB100_14 Depth=1
	s_or_b64 exec, exec, s[10:11]
	s_waitcnt lgkmcnt(1)
	ds_bpermute_b32 v13, v6, v5
	s_waitcnt lgkmcnt(1)
	ds_bpermute_b32 v12, v6, v4
	s_waitcnt lgkmcnt(0)
	v_pk_add_f32 v[4:5], v[4:5], v[12:13]
	ds_bpermute_b32 v13, v7, v5
	ds_bpermute_b32 v12, v7, v4
	s_waitcnt lgkmcnt(0)
	v_pk_add_f32 v[4:5], v[4:5], v[12:13]
	ds_bpermute_b32 v13, v8, v5
	ds_bpermute_b32 v12, v8, v4
	s_waitcnt lgkmcnt(0)
	v_pk_add_f32 v[4:5], v[4:5], v[12:13]
	s_and_saveexec_b64 s[10:11], s[2:3]
	s_cbranch_execz .LBB100_13
; %bb.17:                               ;   in Loop: Header=BB100_14 Depth=1
	s_and_b64 vcc, exec, s[4:5]
	s_cbranch_vccnz .LBB100_19
; %bb.18:                               ;   in Loop: Header=BB100_14 Depth=1
	v_bfe_u32 v12, v5, 16, 1
	v_add3_u32 v12, v5, v12, s12
	v_lshrrev_b32_e32 v12, 16, v12
	v_cmp_o_f32_e32 vcc, v5, v5
	s_nop 1
	v_cndmask_b32_e32 v12, v11, v12, vcc
	global_store_short v[2:3], v12, off
.LBB100_19:                             ;   in Loop: Header=BB100_14 Depth=1
	s_and_b64 vcc, exec, s[6:7]
	s_cbranch_vccnz .LBB100_13
; %bb.20:                               ;   in Loop: Header=BB100_14 Depth=1
	v_bfe_u32 v12, v4, 16, 1
	v_add3_u32 v12, v4, v12, s12
	v_lshrrev_b32_e32 v12, 16, v12
	v_cmp_o_f32_e32 vcc, v4, v4
	s_nop 1
	v_cndmask_b32_e32 v12, v11, v12, vcc
	global_store_short v[0:1], v12, off
	s_branch .LBB100_13
.LBB100_21:
	s_endpgm
	.section	.rodata,"a",@progbits
	.p2align	6, 0x0
	.amdhsa_kernel _ZN2at6native12_GLOBAL__N_135GammaBetaBackwardCUDAKernelTemplateIN3c108BFloat16EfLj64ELj8ELj64ELb0ELb1ELb0EEEvllPKT_S7_PKT0_SA_PS5_SB_
		.amdhsa_group_segment_fixed_size 0
		.amdhsa_private_segment_fixed_size 0
		.amdhsa_kernarg_size 320
		.amdhsa_user_sgpr_count 2
		.amdhsa_user_sgpr_dispatch_ptr 0
		.amdhsa_user_sgpr_queue_ptr 0
		.amdhsa_user_sgpr_kernarg_segment_ptr 1
		.amdhsa_user_sgpr_dispatch_id 0
		.amdhsa_user_sgpr_kernarg_preload_length 0
		.amdhsa_user_sgpr_kernarg_preload_offset 0
		.amdhsa_user_sgpr_private_segment_size 0
		.amdhsa_uses_dynamic_stack 0
		.amdhsa_enable_private_segment 0
		.amdhsa_system_sgpr_workgroup_id_x 1
		.amdhsa_system_sgpr_workgroup_id_y 1
		.amdhsa_system_sgpr_workgroup_id_z 0
		.amdhsa_system_sgpr_workgroup_info 0
		.amdhsa_system_vgpr_workitem_id 1
		.amdhsa_next_free_vgpr 55
		.amdhsa_next_free_sgpr 30
		.amdhsa_accum_offset 56
		.amdhsa_reserve_vcc 1
		.amdhsa_float_round_mode_32 0
		.amdhsa_float_round_mode_16_64 0
		.amdhsa_float_denorm_mode_32 3
		.amdhsa_float_denorm_mode_16_64 3
		.amdhsa_dx10_clamp 1
		.amdhsa_ieee_mode 1
		.amdhsa_fp16_overflow 0
		.amdhsa_tg_split 0
		.amdhsa_exception_fp_ieee_invalid_op 0
		.amdhsa_exception_fp_denorm_src 0
		.amdhsa_exception_fp_ieee_div_zero 0
		.amdhsa_exception_fp_ieee_overflow 0
		.amdhsa_exception_fp_ieee_underflow 0
		.amdhsa_exception_fp_ieee_inexact 0
		.amdhsa_exception_int_div_zero 0
	.end_amdhsa_kernel
	.section	.text._ZN2at6native12_GLOBAL__N_135GammaBetaBackwardCUDAKernelTemplateIN3c108BFloat16EfLj64ELj8ELj64ELb0ELb1ELb0EEEvllPKT_S7_PKT0_SA_PS5_SB_,"axG",@progbits,_ZN2at6native12_GLOBAL__N_135GammaBetaBackwardCUDAKernelTemplateIN3c108BFloat16EfLj64ELj8ELj64ELb0ELb1ELb0EEEvllPKT_S7_PKT0_SA_PS5_SB_,comdat
.Lfunc_end100:
	.size	_ZN2at6native12_GLOBAL__N_135GammaBetaBackwardCUDAKernelTemplateIN3c108BFloat16EfLj64ELj8ELj64ELb0ELb1ELb0EEEvllPKT_S7_PKT0_SA_PS5_SB_, .Lfunc_end100-_ZN2at6native12_GLOBAL__N_135GammaBetaBackwardCUDAKernelTemplateIN3c108BFloat16EfLj64ELj8ELj64ELb0ELb1ELb0EEEvllPKT_S7_PKT0_SA_PS5_SB_
                                        ; -- End function
	.section	.AMDGPU.csdata,"",@progbits
; Kernel info:
; codeLenInByte = 1752
; NumSgprs: 36
; NumVgprs: 55
; NumAgprs: 0
; TotalNumVgprs: 55
; ScratchSize: 0
; MemoryBound: 0
; FloatMode: 240
; IeeeMode: 1
; LDSByteSize: 0 bytes/workgroup (compile time only)
; SGPRBlocks: 4
; VGPRBlocks: 6
; NumSGPRsForWavesPerEU: 36
; NumVGPRsForWavesPerEU: 55
; AccumOffset: 56
; Occupancy: 8
; WaveLimiterHint : 0
; COMPUTE_PGM_RSRC2:SCRATCH_EN: 0
; COMPUTE_PGM_RSRC2:USER_SGPR: 2
; COMPUTE_PGM_RSRC2:TRAP_HANDLER: 0
; COMPUTE_PGM_RSRC2:TGID_X_EN: 1
; COMPUTE_PGM_RSRC2:TGID_Y_EN: 1
; COMPUTE_PGM_RSRC2:TGID_Z_EN: 0
; COMPUTE_PGM_RSRC2:TIDIG_COMP_CNT: 1
; COMPUTE_PGM_RSRC3_GFX90A:ACCUM_OFFSET: 13
; COMPUTE_PGM_RSRC3_GFX90A:TG_SPLIT: 0
	.section	.text._ZN2at6native12_GLOBAL__N_135GammaBetaBackwardCUDAKernelTemplateIN3c108BFloat16EfLj64ELj8ELj64ELb0ELb0ELb0EEEvllPKT_S7_PKT0_SA_PS5_SB_,"axG",@progbits,_ZN2at6native12_GLOBAL__N_135GammaBetaBackwardCUDAKernelTemplateIN3c108BFloat16EfLj64ELj8ELj64ELb0ELb0ELb0EEEvllPKT_S7_PKT0_SA_PS5_SB_,comdat
	.globl	_ZN2at6native12_GLOBAL__N_135GammaBetaBackwardCUDAKernelTemplateIN3c108BFloat16EfLj64ELj8ELj64ELb0ELb0ELb0EEEvllPKT_S7_PKT0_SA_PS5_SB_ ; -- Begin function _ZN2at6native12_GLOBAL__N_135GammaBetaBackwardCUDAKernelTemplateIN3c108BFloat16EfLj64ELj8ELj64ELb0ELb0ELb0EEEvllPKT_S7_PKT0_SA_PS5_SB_
	.p2align	8
	.type	_ZN2at6native12_GLOBAL__N_135GammaBetaBackwardCUDAKernelTemplateIN3c108BFloat16EfLj64ELj8ELj64ELb0ELb0ELb0EEEvllPKT_S7_PKT0_SA_PS5_SB_,@function
_ZN2at6native12_GLOBAL__N_135GammaBetaBackwardCUDAKernelTemplateIN3c108BFloat16EfLj64ELj8ELj64ELb0ELb0ELb0EEEvllPKT_S7_PKT0_SA_PS5_SB_: ; @_ZN2at6native12_GLOBAL__N_135GammaBetaBackwardCUDAKernelTemplateIN3c108BFloat16EfLj64ELj8ELj64ELb0ELb0ELb0EEEvllPKT_S7_PKT0_SA_PS5_SB_
; %bb.0:
	s_load_dwordx8 s[8:15], s[0:1], 0x0
	s_load_dwordx4 s[24:27], s[0:1], 0x20
	s_lshl_b32 s33, s2, 6
	s_mov_b32 s16, 0
	s_or_b32 s4, s33, 63
	s_mov_b32 s5, s16
	s_waitcnt lgkmcnt(0)
	v_mov_b64_e32 v[2:3], s[10:11]
	v_cmp_ge_i64_e32 vcc, s[4:5], v[2:3]
	s_lshl_b32 s28, s3, 6
	s_mov_b32 s29, s16
	v_mov_b64_e32 v[2:3], s[8:9]
	v_cmp_lt_i64_e64 s[4:5], s[28:29], v[2:3]
	s_nop 1
	v_cndmask_b32_e64 v1, 0, 1, s[4:5]
	v_cmp_ne_u32_e64 s[4:5], 1, v1
	s_cbranch_vccz .LBB101_48
; %bb.1:
	v_mov_b32_e32 v43, 0
	s_and_b64 vcc, exec, s[4:5]
	v_mov_b32_e32 v42, v43
	s_cbranch_vccnz .LBB101_49
; %bb.2:
	v_mov_b32_e32 v3, 0
	v_bfe_u32 v66, v0, 10, 10
	s_load_dword s3, s[0:1], 0x44
	v_lshlrev_b32_e32 v26, 3, v66
	v_mov_b32_e32 v27, v3
	v_and_b32_e32 v1, 0x3ff, v0
	v_lshl_add_u64 v[4:5], v[26:27], 0, s[28:29]
	v_add_u32_e32 v2, s33, v1
	v_lshl_add_u64 v[6:7], v[4:5], 0, 7
	s_add_u32 s30, s0, 64
	v_cmp_gt_i64_e64 s[6:7], s[10:11], v[2:3]
	v_lshlrev_b64 v[28:29], 1, v[2:3]
	v_mul_lo_u32 v2, s11, v6
	v_mul_lo_u32 v8, s10, v7
	v_mad_u64_u32 v[6:7], s[18:19], s10, v6, 0
	s_addc_u32 s31, s1, 0
	s_waitcnt lgkmcnt(0)
	s_lshl_b32 s3, s3, 6
	v_add3_u32 v7, v7, v8, v2
	v_lshlrev_b64 v[6:7], 1, v[6:7]
	s_mul_i32 s17, s11, s3
	s_mul_hi_u32 s18, s10, s3
	v_lshl_add_u64 v[30:31], s[12:13], 0, v[6:7]
	s_add_i32 s19, s18, s17
	s_mul_i32 s18, s10, s3
	v_lshl_add_u64 v[32:33], s[14:15], 0, v[6:7]
	v_lshl_add_u64 v[6:7], v[4:5], 0, 6
	s_lshl_b64 s[34:35], s[18:19], 1
	v_mul_lo_u32 v2, s11, v6
	v_mul_lo_u32 v8, s10, v7
	v_mad_u64_u32 v[6:7], s[18:19], s10, v6, 0
	v_add3_u32 v7, v7, v8, v2
	v_lshlrev_b64 v[6:7], 1, v[6:7]
	v_lshl_add_u64 v[34:35], s[12:13], 0, v[6:7]
	v_lshl_add_u64 v[36:37], s[14:15], 0, v[6:7]
	v_lshl_add_u64 v[6:7], v[4:5], 0, 5
	v_mul_lo_u32 v2, s11, v6
	v_mul_lo_u32 v8, s10, v7
	v_mad_u64_u32 v[6:7], s[18:19], s10, v6, 0
	v_add3_u32 v7, v7, v8, v2
	v_lshlrev_b64 v[6:7], 1, v[6:7]
	v_lshl_add_u64 v[38:39], s[12:13], 0, v[6:7]
	v_lshl_add_u64 v[40:41], s[14:15], 0, v[6:7]
	v_lshl_add_u64 v[6:7], v[4:5], 0, 4
	;; [unrolled: 8-line block ×4, first 2 shown]
	v_mul_lo_u32 v2, s11, v6
	v_mul_lo_u32 v8, s10, v7
	v_mad_u64_u32 v[6:7], s[18:19], s10, v6, 0
	v_add3_u32 v7, v7, v8, v2
	v_lshlrev_b64 v[6:7], 1, v[6:7]
	v_lshl_add_u64 v[52:53], s[12:13], 0, v[6:7]
	v_lshl_add_u64 v[54:55], s[14:15], 0, v[6:7]
	v_mov_b64_e32 v[6:7], s[10:11]
	v_mad_u64_u32 v[6:7], s[18:19], s10, v4, v[6:7]
	v_mul_lo_u32 v2, s10, v5
	v_mul_lo_u32 v8, s11, v4
	v_mad_u64_u32 v[4:5], s[18:19], s10, v4, 0
	v_add3_u32 v7, v8, v7, v2
	v_add3_u32 v5, v5, v2, v8
	v_mbcnt_lo_u32_b32 v2, -1, 0
	v_mbcnt_hi_u32_b32 v2, -1, v2
	v_lshlrev_b64 v[6:7], 1, v[6:7]
	s_add_u32 s36, s28, 63
	v_lshlrev_b64 v[4:5], 1, v[4:5]
	s_movk_i32 s38, 0xffc1
	s_movk_i32 s40, 0xffc2
	;; [unrolled: 1-line block ×8, first 2 shown]
	v_lshlrev_b32_e32 v2, 2, v2
	v_lshl_add_u64 v[56:57], s[12:13], 0, v[6:7]
	v_lshl_add_u64 v[58:59], s[14:15], 0, v[6:7]
	s_addc_u32 s37, 0, 0
	v_lshl_add_u64 v[60:61], s[12:13], 0, v[4:5]
	v_lshl_add_u64 v[62:63], s[14:15], 0, v[4:5]
	s_mov_b32 s39, -1
	s_mov_b32 s41, -1
	;; [unrolled: 1-line block ×8, first 2 shown]
	v_and_b32_e32 v67, 0x100, v2
	s_mov_b64 s[54:55], s[28:29]
	v_mov_b32_e32 v42, v3
	v_mov_b32_e32 v43, v3
	s_branch .LBB101_5
.LBB101_3:                              ;   in Loop: Header=BB101_5 Depth=1
	s_or_b64 exec, exec, s[18:19]
	s_waitcnt vmcnt(1)
	ds_bpermute_b32 v2, v67, v69
	ds_bpermute_b32 v4, v67, v69 offset:4
	s_waitcnt vmcnt(0)
	ds_bpermute_b32 v5, v67, v68
	ds_bpermute_b32 v6, v67, v68 offset:4
	ds_bpermute_b32 v8, v67, v68 offset:12
	s_waitcnt lgkmcnt(4)
	v_sub_f32_e32 v2, v10, v2
	v_mul_f32_e32 v2, v18, v2
	s_waitcnt lgkmcnt(3)
	v_sub_f32_e32 v4, v11, v4
	s_waitcnt lgkmcnt(2)
	v_mul_f32_e32 v5, v2, v5
	ds_bpermute_b32 v2, v67, v69 offset:8
	v_mul_f32_e32 v4, v19, v4
	s_waitcnt lgkmcnt(2)
	v_mul_f32_e32 v7, v4, v6
	ds_bpermute_b32 v4, v67, v68 offset:8
	ds_bpermute_b32 v6, v67, v69 offset:12
	s_waitcnt lgkmcnt(2)
	v_sub_f32_e32 v2, v12, v2
	v_mul_f32_e32 v2, v20, v2
	v_mov_b32_e32 v10, v21
	s_waitcnt lgkmcnt(1)
	v_mul_f32_e32 v9, v2, v4
	s_waitcnt lgkmcnt(0)
	v_sub_f32_e32 v2, v13, v6
	ds_bpermute_b32 v4, v67, v69 offset:16
	v_mul_f32_e32 v2, v21, v2
	v_mul_f32_e32 v11, v2, v8
	ds_bpermute_b32 v2, v67, v68 offset:16
	ds_bpermute_b32 v6, v67, v69 offset:20
	ds_bpermute_b32 v8, v67, v68 offset:20
	s_waitcnt lgkmcnt(3)
	v_sub_f32_e32 v4, v14, v4
	v_mul_f32_e32 v4, v22, v4
	s_waitcnt lgkmcnt(2)
	v_mul_f32_e32 v13, v4, v2
	s_waitcnt lgkmcnt(1)
	v_sub_f32_e32 v2, v15, v6
	v_mul_f32_e32 v2, v23, v2
	s_waitcnt lgkmcnt(0)
	v_mul_f32_e32 v15, v2, v8
	v_mov_b32_e32 v4, v18
	ds_bpermute_b32 v2, v67, v69 offset:24
	v_pk_add_f32 v[4:5], v[42:43], v[4:5]
	v_mov_b32_e32 v6, v19
	v_pk_add_f32 v[4:5], v[6:7], v[4:5]
	ds_bpermute_b32 v7, v67, v68 offset:24
	v_mov_b32_e32 v8, v20
	v_pk_add_f32 v[4:5], v[8:9], v[4:5]
	v_mov_b32_e32 v12, v22
	v_pk_add_f32 v[4:5], v[10:11], v[4:5]
	s_waitcnt lgkmcnt(1)
	v_sub_f32_e32 v8, v16, v2
	v_pk_add_f32 v[4:5], v[12:13], v[4:5]
	v_mov_b32_e32 v14, v23
	v_mul_f32_e32 v8, v24, v8
	v_pk_add_f32 v[4:5], v[14:15], v[4:5]
	s_waitcnt lgkmcnt(0)
	v_mul_f32_e32 v9, v8, v7
	v_mov_b32_e32 v8, v24
	ds_bpermute_b32 v2, v67, v68 offset:28
	ds_bpermute_b32 v6, v67, v69 offset:28
	v_pk_add_f32 v[4:5], v[8:9], v[4:5]
.LBB101_4:                              ;   in Loop: Header=BB101_5 Depth=1
	s_waitcnt lgkmcnt(0)
	v_sub_f32_e32 v6, v17, v6
	v_mul_f32_e32 v6, v25, v6
	v_mul_f32_e32 v7, v6, v2
	v_mov_b32_e32 v6, v25
	s_add_u32 s54, s54, s3
	v_pk_add_f32 v[42:43], v[4:5], v[6:7]
	s_addc_u32 s55, s55, 0
	v_mov_b64_e32 v[4:5], s[8:9]
	s_add_u32 s36, s36, s3
	v_cmp_lt_i64_e32 vcc, s[54:55], v[4:5]
	v_lshl_add_u64 v[30:31], v[30:31], 0, s[34:35]
	v_lshl_add_u64 v[32:33], v[32:33], 0, s[34:35]
	v_lshl_add_u64 v[34:35], v[34:35], 0, s[34:35]
	v_lshl_add_u64 v[36:37], v[36:37], 0, s[34:35]
	v_lshl_add_u64 v[38:39], v[38:39], 0, s[34:35]
	v_lshl_add_u64 v[40:41], v[40:41], 0, s[34:35]
	v_lshl_add_u64 v[44:45], v[44:45], 0, s[34:35]
	v_lshl_add_u64 v[46:47], v[46:47], 0, s[34:35]
	v_lshl_add_u64 v[48:49], v[48:49], 0, s[34:35]
	v_lshl_add_u64 v[50:51], v[50:51], 0, s[34:35]
	v_lshl_add_u64 v[52:53], v[52:53], 0, s[34:35]
	v_lshl_add_u64 v[54:55], v[54:55], 0, s[34:35]
	v_lshl_add_u64 v[56:57], v[56:57], 0, s[34:35]
	v_lshl_add_u64 v[58:59], v[58:59], 0, s[34:35]
	s_addc_u32 s37, s37, 0
	v_lshl_add_u64 v[60:61], v[60:61], 0, s[34:35]
	v_lshl_add_u64 v[62:63], v[62:63], 0, s[34:35]
	s_cbranch_vccz .LBB101_49
.LBB101_5:                              ; =>This Inner Loop Header: Depth=1
	v_mov_b64_e32 v[4:5], s[8:9]
	v_cmp_ge_i64_e32 vcc, s[36:37], v[4:5]
	v_lshl_add_u64 v[64:65], v[26:27], 0, s[36:37]
	s_cbranch_vccz .LBB101_27
; %bb.6:                                ;   in Loop: Header=BB101_5 Depth=1
	s_load_dword s17, s[30:31], 0xc
	v_mov_b32_e32 v68, 0
	v_mov_b32_e32 v69, 0
	s_waitcnt lgkmcnt(0)
	s_and_b32 s17, s17, 0xffff
	v_mad_u32_u24 v2, v66, s17, v1
	v_and_b32_e32 v2, 63, v2
	v_cmp_gt_u32_e32 vcc, 8, v2
	s_and_saveexec_b64 s[18:19], vcc
	s_cbranch_execz .LBB101_10
; %bb.7:                                ;   in Loop: Header=BB101_5 Depth=1
	v_lshl_add_u64 v[4:5], v[64:65], 0, v[2:3]
	v_lshl_add_u64 v[4:5], v[4:5], 0, s[38:39]
	v_cmp_gt_i64_e32 vcc, s[8:9], v[4:5]
	v_mov_b32_e32 v69, 0
	v_mov_b32_e32 v68, 0
	s_and_saveexec_b64 s[20:21], vcc
	s_cbranch_execz .LBB101_9
; %bb.8:                                ;   in Loop: Header=BB101_5 Depth=1
	v_lshlrev_b64 v[4:5], 2, v[4:5]
	v_lshl_add_u64 v[6:7], s[26:27], 0, v[4:5]
	v_lshl_add_u64 v[4:5], s[24:25], 0, v[4:5]
	global_load_dword v69, v[4:5], off
	global_load_dword v68, v[6:7], off
.LBB101_9:                              ;   in Loop: Header=BB101_5 Depth=1
	s_or_b64 exec, exec, s[20:21]
.LBB101_10:                             ;   in Loop: Header=BB101_5 Depth=1
	s_or_b64 exec, exec, s[18:19]
	s_mov_b32 s17, s16
	s_mov_b32 s18, s16
	;; [unrolled: 1-line block ×7, first 2 shown]
	v_mov_b64_e32 v[10:11], s[16:17]
	v_lshl_add_u64 v[4:5], v[64:65], 0, s[38:39]
	v_mov_b64_e32 v[16:17], s[22:23]
	v_cmp_gt_i64_e32 vcc, s[8:9], v[4:5]
	v_mov_b64_e32 v[12:13], s[18:19]
	v_mov_b64_e32 v[14:15], s[20:21]
	;; [unrolled: 1-line block ×3, first 2 shown]
	s_and_b64 s[56:57], s[6:7], vcc
	v_mov_b64_e32 v[22:23], v[14:15]
	v_mov_b64_e32 v[20:21], v[12:13]
	;; [unrolled: 1-line block ×3, first 2 shown]
	s_and_saveexec_b64 s[18:19], s[56:57]
	s_cbranch_execz .LBB101_12
; %bb.11:                               ;   in Loop: Header=BB101_5 Depth=1
	v_lshl_add_u64 v[4:5], v[60:61], 0, v[28:29]
	global_load_ushort v2, v[4:5], off
	v_lshl_add_u64 v[4:5], v[62:63], 0, v[28:29]
	global_load_ushort v10, v[4:5], off
	v_mov_b32_e32 v8, v3
	v_mov_b32_e32 v9, v3
	;; [unrolled: 1-line block ×13, first 2 shown]
	s_waitcnt vmcnt(1)
	v_lshlrev_b32_e32 v2, 16, v2
	v_mov_b64_e32 v[24:25], v[8:9]
	s_waitcnt vmcnt(0)
	v_lshlrev_b32_e32 v10, 16, v10
	v_mov_b64_e32 v[22:23], v[6:7]
	v_mov_b64_e32 v[20:21], v[4:5]
	;; [unrolled: 1-line block ×3, first 2 shown]
.LBB101_12:                             ;   in Loop: Header=BB101_5 Depth=1
	s_or_b64 exec, exec, s[18:19]
	v_lshl_add_u64 v[4:5], v[64:65], 0, s[40:41]
	v_cmp_gt_i64_e32 vcc, s[8:9], v[4:5]
	s_and_b64 s[20:21], s[6:7], vcc
	s_and_saveexec_b64 s[18:19], s[20:21]
	s_cbranch_execz .LBB101_14
; %bb.13:                               ;   in Loop: Header=BB101_5 Depth=1
	v_lshl_add_u64 v[4:5], v[56:57], 0, v[28:29]
	global_load_ushort v2, v[4:5], off
	v_lshl_add_u64 v[4:5], v[58:59], 0, v[28:29]
	global_load_ushort v4, v[4:5], off
	s_waitcnt vmcnt(1)
	v_lshlrev_b32_e32 v19, 16, v2
	s_waitcnt vmcnt(0)
	v_lshlrev_b32_e32 v11, 16, v4
.LBB101_14:                             ;   in Loop: Header=BB101_5 Depth=1
	s_or_b64 exec, exec, s[18:19]
	v_lshl_add_u64 v[4:5], v[64:65], 0, s[42:43]
	v_cmp_gt_i64_e32 vcc, s[8:9], v[4:5]
	s_and_b64 s[20:21], s[6:7], vcc
	s_and_saveexec_b64 s[18:19], s[20:21]
	s_cbranch_execz .LBB101_16
; %bb.15:                               ;   in Loop: Header=BB101_5 Depth=1
	v_lshl_add_u64 v[4:5], v[52:53], 0, v[28:29]
	global_load_ushort v2, v[4:5], off
	v_lshl_add_u64 v[4:5], v[54:55], 0, v[28:29]
	global_load_ushort v4, v[4:5], off
	s_waitcnt vmcnt(1)
	v_lshlrev_b32_e32 v20, 16, v2
	s_waitcnt vmcnt(0)
	v_lshlrev_b32_e32 v12, 16, v4
.LBB101_16:                             ;   in Loop: Header=BB101_5 Depth=1
	;; [unrolled: 16-line block ×7, first 2 shown]
	s_or_b64 exec, exec, s[18:19]
	s_waitcnt vmcnt(1)
	ds_bpermute_b32 v2, v67, v69
	ds_bpermute_b32 v4, v67, v69 offset:4
	s_waitcnt vmcnt(0)
	ds_bpermute_b32 v5, v67, v68
	ds_bpermute_b32 v6, v67, v68 offset:4
	ds_bpermute_b32 v8, v67, v68 offset:12
	s_waitcnt lgkmcnt(4)
	v_sub_f32_e32 v2, v10, v2
	v_mul_f32_e32 v2, v18, v2
	s_waitcnt lgkmcnt(3)
	v_sub_f32_e32 v4, v11, v4
	s_waitcnt lgkmcnt(2)
	v_mul_f32_e32 v5, v2, v5
	ds_bpermute_b32 v2, v67, v69 offset:8
	v_mul_f32_e32 v4, v19, v4
	s_waitcnt lgkmcnt(2)
	v_mul_f32_e32 v7, v4, v6
	ds_bpermute_b32 v4, v67, v68 offset:8
	ds_bpermute_b32 v6, v67, v69 offset:12
	s_waitcnt lgkmcnt(2)
	v_sub_f32_e32 v2, v12, v2
	v_mul_f32_e32 v2, v20, v2
	v_mov_b32_e32 v10, v21
	s_waitcnt lgkmcnt(1)
	v_mul_f32_e32 v9, v2, v4
	s_waitcnt lgkmcnt(0)
	v_sub_f32_e32 v2, v13, v6
	ds_bpermute_b32 v4, v67, v69 offset:16
	v_mul_f32_e32 v2, v21, v2
	v_mul_f32_e32 v11, v2, v8
	ds_bpermute_b32 v2, v67, v68 offset:16
	ds_bpermute_b32 v6, v67, v69 offset:20
	;; [unrolled: 1-line block ×3, first 2 shown]
	s_waitcnt lgkmcnt(3)
	v_sub_f32_e32 v4, v14, v4
	v_mul_f32_e32 v4, v22, v4
	s_waitcnt lgkmcnt(2)
	v_mul_f32_e32 v13, v4, v2
	s_waitcnt lgkmcnt(1)
	v_sub_f32_e32 v2, v15, v6
	v_mul_f32_e32 v2, v23, v2
	s_waitcnt lgkmcnt(0)
	v_mul_f32_e32 v15, v2, v8
	ds_bpermute_b32 v2, v67, v69 offset:24
	v_mov_b32_e32 v4, v18
	v_pk_add_f32 v[4:5], v[42:43], v[4:5]
	v_mov_b32_e32 v6, v19
	v_pk_add_f32 v[4:5], v[6:7], v[4:5]
	ds_bpermute_b32 v7, v67, v68 offset:24
	v_mov_b32_e32 v8, v20
	s_waitcnt lgkmcnt(1)
	v_sub_f32_e32 v2, v16, v2
	v_pk_add_f32 v[4:5], v[8:9], v[4:5]
	v_mul_f32_e32 v8, v24, v2
	ds_bpermute_b32 v2, v67, v68 offset:28
	ds_bpermute_b32 v6, v67, v69 offset:28
	v_pk_add_f32 v[4:5], v[10:11], v[4:5]
	v_mov_b32_e32 v12, v22
	v_pk_add_f32 v[4:5], v[12:13], v[4:5]
	v_mov_b32_e32 v14, v23
	v_pk_add_f32 v[4:5], v[14:15], v[4:5]
	s_waitcnt lgkmcnt(2)
	v_mul_f32_e32 v9, v8, v7
	v_mov_b32_e32 v8, v24
	v_pk_add_f32 v[4:5], v[8:9], v[4:5]
	s_branch .LBB101_4
.LBB101_27:                             ;   in Loop: Header=BB101_5 Depth=1
                                        ; implicit-def: $vgpr4_vgpr5
                                        ; implicit-def: $vgpr2
                                        ; implicit-def: $vgpr10_vgpr11_vgpr12_vgpr13_vgpr14_vgpr15_vgpr16_vgpr17
                                        ; implicit-def: $vgpr18_vgpr19_vgpr20_vgpr21_vgpr22_vgpr23_vgpr24_vgpr25
                                        ; implicit-def: $vgpr6
	s_cbranch_execz .LBB101_4
; %bb.28:                               ;   in Loop: Header=BB101_5 Depth=1
	s_load_dword s17, s[30:31], 0x0
	v_mov_b32_e32 v68, 0
	v_mov_b32_e32 v69, 0
	s_waitcnt lgkmcnt(0)
	s_cmp_lt_u32 s2, s17
	s_cselect_b32 s17, 12, 18
	s_add_u32 s18, s30, s17
	s_addc_u32 s19, s31, 0
	global_load_ushort v2, v3, s[18:19]
	s_waitcnt vmcnt(0)
	v_mad_u32_u24 v2, v66, v2, v1
	v_and_b32_e32 v2, 63, v2
	v_cmp_gt_u32_e32 vcc, 8, v2
	s_and_saveexec_b64 s[18:19], vcc
	s_cbranch_execz .LBB101_32
; %bb.29:                               ;   in Loop: Header=BB101_5 Depth=1
	v_lshl_add_u64 v[4:5], v[64:65], 0, v[2:3]
	v_lshl_add_u64 v[4:5], v[4:5], 0, s[38:39]
	v_cmp_gt_i64_e32 vcc, s[8:9], v[4:5]
	v_mov_b32_e32 v69, 0
	v_mov_b32_e32 v68, 0
	s_and_saveexec_b64 s[20:21], vcc
	s_cbranch_execz .LBB101_31
; %bb.30:                               ;   in Loop: Header=BB101_5 Depth=1
	v_lshlrev_b64 v[4:5], 2, v[4:5]
	v_lshl_add_u64 v[6:7], s[26:27], 0, v[4:5]
	v_lshl_add_u64 v[4:5], s[24:25], 0, v[4:5]
	global_load_dword v69, v[4:5], off
	global_load_dword v68, v[6:7], off
.LBB101_31:                             ;   in Loop: Header=BB101_5 Depth=1
	s_or_b64 exec, exec, s[20:21]
.LBB101_32:                             ;   in Loop: Header=BB101_5 Depth=1
	s_or_b64 exec, exec, s[18:19]
	s_mov_b32 s17, s16
	s_mov_b32 s18, s16
	;; [unrolled: 1-line block ×7, first 2 shown]
	v_mov_b64_e32 v[10:11], s[16:17]
	v_mov_b64_e32 v[16:17], s[22:23]
	;; [unrolled: 1-line block ×8, first 2 shown]
	s_and_saveexec_b64 s[18:19], s[6:7]
	s_cbranch_execnz .LBB101_40
; %bb.33:                               ;   in Loop: Header=BB101_5 Depth=1
	s_or_b64 exec, exec, s[18:19]
	s_and_saveexec_b64 s[18:19], s[6:7]
	s_cbranch_execnz .LBB101_41
.LBB101_34:                             ;   in Loop: Header=BB101_5 Depth=1
	s_or_b64 exec, exec, s[18:19]
	s_and_saveexec_b64 s[18:19], s[6:7]
	s_cbranch_execnz .LBB101_42
.LBB101_35:                             ;   in Loop: Header=BB101_5 Depth=1
	s_or_b64 exec, exec, s[18:19]
	s_and_saveexec_b64 s[18:19], s[6:7]
	s_cbranch_execnz .LBB101_43
.LBB101_36:                             ;   in Loop: Header=BB101_5 Depth=1
	s_or_b64 exec, exec, s[18:19]
	s_and_saveexec_b64 s[18:19], s[6:7]
	s_cbranch_execnz .LBB101_44
.LBB101_37:                             ;   in Loop: Header=BB101_5 Depth=1
	s_or_b64 exec, exec, s[18:19]
	s_and_saveexec_b64 s[18:19], s[6:7]
	s_cbranch_execnz .LBB101_45
.LBB101_38:                             ;   in Loop: Header=BB101_5 Depth=1
	s_or_b64 exec, exec, s[18:19]
	s_and_saveexec_b64 s[18:19], s[6:7]
	s_cbranch_execnz .LBB101_46
.LBB101_39:                             ;   in Loop: Header=BB101_5 Depth=1
	s_or_b64 exec, exec, s[18:19]
	s_and_saveexec_b64 s[18:19], s[6:7]
	s_cbranch_execz .LBB101_3
	s_branch .LBB101_47
.LBB101_40:                             ;   in Loop: Header=BB101_5 Depth=1
	v_lshl_add_u64 v[4:5], v[60:61], 0, v[28:29]
	global_load_ushort v2, v[4:5], off
	v_lshl_add_u64 v[4:5], v[62:63], 0, v[28:29]
	global_load_ushort v10, v[4:5], off
	v_mov_b32_e32 v8, v3
	v_mov_b32_e32 v9, v3
	;; [unrolled: 1-line block ×13, first 2 shown]
	s_waitcnt vmcnt(1)
	v_lshlrev_b32_e32 v2, 16, v2
	v_mov_b64_e32 v[24:25], v[8:9]
	s_waitcnt vmcnt(0)
	v_lshlrev_b32_e32 v10, 16, v10
	v_mov_b64_e32 v[22:23], v[6:7]
	v_mov_b64_e32 v[20:21], v[4:5]
	;; [unrolled: 1-line block ×3, first 2 shown]
	s_or_b64 exec, exec, s[18:19]
	s_and_saveexec_b64 s[18:19], s[6:7]
	s_cbranch_execz .LBB101_34
.LBB101_41:                             ;   in Loop: Header=BB101_5 Depth=1
	v_lshl_add_u64 v[4:5], v[56:57], 0, v[28:29]
	global_load_ushort v2, v[4:5], off
	v_lshl_add_u64 v[4:5], v[58:59], 0, v[28:29]
	global_load_ushort v4, v[4:5], off
	s_waitcnt vmcnt(1)
	v_lshlrev_b32_e32 v19, 16, v2
	s_waitcnt vmcnt(0)
	v_lshlrev_b32_e32 v11, 16, v4
	s_or_b64 exec, exec, s[18:19]
	s_and_saveexec_b64 s[18:19], s[6:7]
	s_cbranch_execz .LBB101_35
.LBB101_42:                             ;   in Loop: Header=BB101_5 Depth=1
	v_lshl_add_u64 v[4:5], v[52:53], 0, v[28:29]
	global_load_ushort v2, v[4:5], off
	v_lshl_add_u64 v[4:5], v[54:55], 0, v[28:29]
	global_load_ushort v4, v[4:5], off
	s_waitcnt vmcnt(1)
	v_lshlrev_b32_e32 v20, 16, v2
	s_waitcnt vmcnt(0)
	v_lshlrev_b32_e32 v12, 16, v4
	s_or_b64 exec, exec, s[18:19]
	s_and_saveexec_b64 s[18:19], s[6:7]
	s_cbranch_execz .LBB101_36
.LBB101_43:                             ;   in Loop: Header=BB101_5 Depth=1
	v_lshl_add_u64 v[4:5], v[48:49], 0, v[28:29]
	global_load_ushort v2, v[4:5], off
	v_lshl_add_u64 v[4:5], v[50:51], 0, v[28:29]
	global_load_ushort v4, v[4:5], off
	s_waitcnt vmcnt(1)
	v_lshlrev_b32_e32 v21, 16, v2
	s_waitcnt vmcnt(0)
	v_lshlrev_b32_e32 v13, 16, v4
	s_or_b64 exec, exec, s[18:19]
	s_and_saveexec_b64 s[18:19], s[6:7]
	s_cbranch_execz .LBB101_37
.LBB101_44:                             ;   in Loop: Header=BB101_5 Depth=1
	v_lshl_add_u64 v[4:5], v[44:45], 0, v[28:29]
	global_load_ushort v2, v[4:5], off
	v_lshl_add_u64 v[4:5], v[46:47], 0, v[28:29]
	global_load_ushort v4, v[4:5], off
	s_waitcnt vmcnt(1)
	v_lshlrev_b32_e32 v22, 16, v2
	s_waitcnt vmcnt(0)
	v_lshlrev_b32_e32 v14, 16, v4
	s_or_b64 exec, exec, s[18:19]
	s_and_saveexec_b64 s[18:19], s[6:7]
	s_cbranch_execz .LBB101_38
.LBB101_45:                             ;   in Loop: Header=BB101_5 Depth=1
	v_lshl_add_u64 v[4:5], v[38:39], 0, v[28:29]
	global_load_ushort v2, v[4:5], off
	v_lshl_add_u64 v[4:5], v[40:41], 0, v[28:29]
	global_load_ushort v4, v[4:5], off
	s_waitcnt vmcnt(1)
	v_lshlrev_b32_e32 v23, 16, v2
	s_waitcnt vmcnt(0)
	v_lshlrev_b32_e32 v15, 16, v4
	s_or_b64 exec, exec, s[18:19]
	s_and_saveexec_b64 s[18:19], s[6:7]
	s_cbranch_execz .LBB101_39
.LBB101_46:                             ;   in Loop: Header=BB101_5 Depth=1
	v_lshl_add_u64 v[4:5], v[34:35], 0, v[28:29]
	global_load_ushort v2, v[4:5], off
	v_lshl_add_u64 v[4:5], v[36:37], 0, v[28:29]
	global_load_ushort v4, v[4:5], off
	s_waitcnt vmcnt(1)
	v_lshlrev_b32_e32 v24, 16, v2
	s_waitcnt vmcnt(0)
	v_lshlrev_b32_e32 v16, 16, v4
	s_or_b64 exec, exec, s[18:19]
	s_and_saveexec_b64 s[18:19], s[6:7]
	s_cbranch_execz .LBB101_3
.LBB101_47:                             ;   in Loop: Header=BB101_5 Depth=1
	v_lshl_add_u64 v[4:5], v[30:31], 0, v[28:29]
	global_load_ushort v2, v[4:5], off
	v_lshl_add_u64 v[4:5], v[32:33], 0, v[28:29]
	global_load_ushort v4, v[4:5], off
	s_waitcnt vmcnt(1)
	v_lshlrev_b32_e32 v25, 16, v2
	s_waitcnt vmcnt(0)
	v_lshlrev_b32_e32 v17, 16, v4
	s_branch .LBB101_3
.LBB101_48:
                                        ; implicit-def: $vgpr43
	s_branch .LBB101_50
.LBB101_49:
	s_cbranch_execnz .LBB101_81
.LBB101_50:
	v_mov_b32_e32 v43, 0
	s_mov_b32 s16, 0
	s_and_b64 vcc, exec, s[4:5]
	v_mov_b32_e32 v42, v43
	s_cbranch_vccnz .LBB101_81
; %bb.51:
	v_and_b32_e32 v1, 0x3ff, v0
	v_add_u32_e32 v2, s33, v1
	v_mov_b32_e32 v3, 0
	v_bfe_u32 v96, v0, 10, 10
	v_lshlrev_b64 v[28:29], 1, v[2:3]
	v_lshlrev_b32_e32 v2, 4, v96
	v_lshl_add_u64 v[4:5], s[28:29], 1, v[2:3]
	v_lshl_add_u64 v[6:7], v[4:5], 0, 2
	v_mov_b64_e32 v[8:9], s[12:13]
	v_lshl_add_u64 v[10:11], v[4:5], 0, 4
	v_lshl_add_u64 v[12:13], v[4:5], 0, 6
	;; [unrolled: 1-line block ×6, first 2 shown]
	v_mad_u64_u32 v[30:31], s[4:5], s10, v6, v[8:9]
	v_mad_u64_u32 v[32:33], s[4:5], s10, v10, v[8:9]
	;; [unrolled: 1-line block ×7, first 2 shown]
	v_mov_b64_e32 v[8:9], s[14:15]
	v_lshlrev_b32_e32 v26, 3, v96
	v_mov_b32_e32 v27, v3
	v_mul_lo_u32 v2, s10, v7
	v_mul_lo_u32 v7, s11, v6
	v_mad_u64_u32 v[46:47], s[4:5], s10, v6, v[8:9]
	v_add3_u32 v31, v7, v31, v2
	v_mul_lo_u32 v5, s10, v5
	v_mul_lo_u32 v25, s11, v4
	v_add3_u32 v47, v7, v47, v2
	v_lshl_add_u64 v[6:7], v[26:27], 0, s[28:29]
	v_mad_u64_u32 v[58:59], s[4:5], s10, v4, v[8:9]
	v_add3_u32 v45, v25, v45, v5
	v_add3_u32 v59, v25, v59, v5
	v_lshl_add_u64 v[4:5], v[6:7], 0, 7
	v_mad_u64_u32 v[48:49], s[4:5], s10, v10, v[8:9]
	v_mad_u64_u32 v[50:51], s[4:5], s10, v12, v[8:9]
	;; [unrolled: 1-line block ×5, first 2 shown]
	v_mul_lo_u32 v8, s11, v4
	v_mul_lo_u32 v9, s10, v5
	v_mad_u64_u32 v[4:5], s[4:5], s10, v4, 0
	v_mul_lo_u32 v11, s10, v11
	v_mul_lo_u32 v20, s11, v10
	v_add3_u32 v5, v5, v9, v8
	v_lshl_add_u64 v[8:9], v[6:7], 0, 6
	v_add3_u32 v33, v20, v33, v11
	v_add3_u32 v49, v20, v49, v11
	v_mul_lo_u32 v10, s11, v8
	v_mul_lo_u32 v11, s10, v9
	v_mad_u64_u32 v[8:9], s[4:5], s10, v8, 0
	v_mul_lo_u32 v13, s10, v13
	v_mul_lo_u32 v21, s11, v12
	v_add3_u32 v9, v9, v11, v10
	v_lshl_add_u64 v[10:11], v[6:7], 0, 5
	v_add3_u32 v35, v21, v35, v13
	v_add3_u32 v51, v21, v51, v13
	;; [unrolled: 9-line block ×4, first 2 shown]
	v_mul_lo_u32 v16, s11, v14
	v_mul_lo_u32 v17, s10, v15
	v_mad_u64_u32 v[14:15], s[4:5], s10, v14, 0
	v_mul_lo_u32 v19, s10, v19
	v_mul_lo_u32 v24, s11, v18
	v_add3_u32 v15, v15, v17, v16
	v_lshl_add_u64 v[16:17], v[6:7], 0, 2
	s_load_dword s3, s[0:1], 0x44
	v_lshlrev_b64 v[4:5], 1, v[4:5]
	v_add3_u32 v41, v24, v41, v19
	v_add3_u32 v57, v24, v57, v19
	v_mul_lo_u32 v18, s11, v16
	v_mul_lo_u32 v19, s10, v17
	v_mad_u64_u32 v[16:17], s[4:5], s10, v16, 0
	v_lshl_add_u64 v[64:65], s[12:13], 0, v[4:5]
	v_lshl_add_u64 v[66:67], s[14:15], 0, v[4:5]
	v_lshlrev_b64 v[4:5], 1, v[8:9]
	v_add3_u32 v17, v17, v19, v18
	v_mov_b64_e32 v[18:19], s[10:11]
	v_lshl_add_u64 v[68:69], s[12:13], 0, v[4:5]
	v_lshl_add_u64 v[70:71], s[14:15], 0, v[4:5]
	v_lshlrev_b64 v[4:5], 1, v[10:11]
	v_mul_lo_u32 v2, s11, v6
	v_mad_u64_u32 v[18:19], s[4:5], s10, v6, v[18:19]
	v_mul_lo_u32 v20, s10, v7
	v_mad_u64_u32 v[6:7], s[4:5], s10, v6, 0
	v_lshl_add_u64 v[72:73], s[12:13], 0, v[4:5]
	v_lshl_add_u64 v[74:75], s[14:15], 0, v[4:5]
	v_lshlrev_b64 v[4:5], 1, v[12:13]
	s_add_u32 s4, s0, 64
	v_lshl_add_u64 v[76:77], s[12:13], 0, v[4:5]
	v_lshl_add_u64 v[78:79], s[14:15], 0, v[4:5]
	v_lshlrev_b64 v[4:5], 1, v[14:15]
	v_add3_u32 v7, v7, v20, v2
	v_add3_u32 v19, v2, v19, v20
	s_addc_u32 s5, s1, 0
	s_waitcnt lgkmcnt(0)
	s_lshl_b32 s3, s3, 6
	v_lshl_add_u64 v[80:81], s[12:13], 0, v[4:5]
	v_lshl_add_u64 v[82:83], s[14:15], 0, v[4:5]
	v_lshlrev_b64 v[4:5], 1, v[16:17]
	v_mbcnt_lo_u32_b32 v2, -1, 0
	s_add_u32 s6, s28, 63
	s_mul_i32 s17, s11, s3
	s_mul_hi_u32 s18, s10, s3
	v_lshlrev_b64 v[6:7], 1, v[6:7]
	v_lshl_add_u64 v[84:85], s[12:13], 0, v[4:5]
	v_lshl_add_u64 v[86:87], s[14:15], 0, v[4:5]
	v_lshlrev_b64 v[4:5], 1, v[18:19]
	v_mbcnt_hi_u32_b32 v2, -1, v2
	s_addc_u32 s7, 0, 0
	s_add_i32 s19, s18, s17
	s_mul_i32 s18, s10, s3
	v_lshl_add_u64 v[60:61], s[12:13], 0, v[6:7]
	v_lshl_add_u64 v[62:63], s[14:15], 0, v[6:7]
	;; [unrolled: 1-line block ×4, first 2 shown]
	s_movk_i32 s12, 0xffc1
	s_movk_i32 s14, 0xffc2
	;; [unrolled: 1-line block ×8, first 2 shown]
	v_lshlrev_b32_e32 v2, 2, v2
	s_lshl_b64 s[30:31], s[18:19], 1
	s_mov_b32 s13, -1
	s_mov_b32 s15, -1
	;; [unrolled: 1-line block ×8, first 2 shown]
	v_and_b32_e32 v97, 0x100, v2
	v_mov_b32_e32 v42, v3
	v_mov_b32_e32 v43, v3
	s_branch .LBB101_55
.LBB101_52:                             ;   in Loop: Header=BB101_55 Depth=1
	s_or_b64 exec, exec, s[20:21]
.LBB101_53:                             ;   in Loop: Header=BB101_55 Depth=1
	s_or_b64 exec, exec, s[18:19]
	v_lshl_add_u64 v[4:5], v[60:61], 0, v[28:29]
	global_load_ushort v2, v[4:5], off
	v_lshl_add_u64 v[4:5], v[62:63], 0, v[28:29]
	global_load_ushort v8, v[4:5], off
	;; [unrolled: 2-line block ×16, first 2 shown]
	s_waitcnt vmcnt(17)
	ds_bpermute_b32 v23, v97, v7
	ds_bpermute_b32 v25, v97, v7 offset:4
	s_waitcnt vmcnt(16)
	ds_bpermute_b32 v22, v97, v6
	ds_bpermute_b32 v43, v97, v7 offset:8
	ds_bpermute_b32 v95, v97, v7 offset:12
	;; [unrolled: 1-line block ×13, first 2 shown]
	s_waitcnt vmcnt(15)
	v_lshlrev_b32_e32 v4, 16, v2
	s_waitcnt vmcnt(14)
	v_lshlrev_b32_e32 v2, 16, v8
	s_waitcnt lgkmcnt(14)
	v_sub_f32_e32 v2, v2, v23
	s_waitcnt vmcnt(13)
	v_lshlrev_b32_e32 v6, 16, v9
	v_mul_f32_e32 v2, v2, v4
	s_waitcnt vmcnt(12)
	v_lshlrev_b32_e32 v7, 16, v10
	s_waitcnt vmcnt(11)
	v_lshlrev_b32_e32 v8, 16, v11
	;; [unrolled: 2-line block ×13, first 2 shown]
	v_sub_f32_e32 v5, v7, v25
	s_waitcnt lgkmcnt(12)
	v_sub_f32_e32 v7, v9, v43
	s_waitcnt lgkmcnt(11)
	;; [unrolled: 2-line block ×5, first 2 shown]
	v_sub_f32_e32 v15, v17, v103
	v_mul_f32_e32 v17, v5, v6
	v_mul_f32_e32 v5, v2, v22
	;; [unrolled: 1-line block ×3, first 2 shown]
	s_waitcnt lgkmcnt(7)
	v_mul_f32_e32 v7, v17, v24
	v_pk_add_f32 v[4:5], v[92:93], v[4:5]
	v_mul_f32_e32 v21, v9, v10
	s_waitcnt lgkmcnt(6)
	v_mul_f32_e32 v9, v20, v42
	v_pk_add_f32 v[4:5], v[4:5], v[6:7]
	v_mul_f32_e32 v23, v11, v12
	;; [unrolled: 4-line block ×4, first 2 shown]
	s_waitcnt lgkmcnt(2)
	v_mul_f32_e32 v15, v25, v100
	v_pk_add_f32 v[4:5], v[4:5], v[12:13]
	v_sub_f32_e32 v2, v19, v105
	s_waitcnt lgkmcnt(1)
	v_mul_f32_e32 v17, v43, v102
	v_pk_add_f32 v[4:5], v[4:5], v[14:15]
	v_mul_f32_e32 v2, v2, v18
	v_pk_add_f32 v[4:5], v[4:5], v[16:17]
	s_waitcnt lgkmcnt(0)
	v_mul_f32_e32 v19, v2, v104
	v_pk_add_f32 v[42:43], v[4:5], v[18:19]
.LBB101_54:                             ;   in Loop: Header=BB101_55 Depth=1
	s_add_u32 s28, s28, s3
	s_addc_u32 s29, s29, 0
	v_mov_b64_e32 v[4:5], s[8:9]
	s_add_u32 s6, s6, s3
	v_cmp_ge_i64_e32 vcc, s[28:29], v[4:5]
	s_addc_u32 s7, s7, 0
	v_lshl_add_u64 v[30:31], v[30:31], 0, s[30:31]
	v_lshl_add_u64 v[32:33], v[32:33], 0, s[30:31]
	;; [unrolled: 1-line block ×30, first 2 shown]
	s_cbranch_vccnz .LBB101_81
.LBB101_55:                             ; =>This Inner Loop Header: Depth=1
	v_mov_b64_e32 v[4:5], s[8:9]
	v_cmp_ge_i64_e32 vcc, s[6:7], v[4:5]
	v_mov_b32_e32 v92, v42
	v_mov_b32_e32 v93, v43
	v_lshl_add_u64 v[94:95], v[26:27], 0, s[6:7]
	s_cbranch_vccz .LBB101_77
; %bb.56:                               ;   in Loop: Header=BB101_55 Depth=1
	s_load_dword s17, s[4:5], 0xc
	v_mov_b32_e32 v42, 0
	v_mov_b32_e32 v43, 0
	s_waitcnt lgkmcnt(0)
	s_and_b32 s17, s17, 0xffff
	v_mad_u32_u24 v2, v96, s17, v1
	v_and_b32_e32 v2, 63, v2
	v_cmp_gt_u32_e32 vcc, 8, v2
	s_and_saveexec_b64 s[18:19], vcc
	s_cbranch_execz .LBB101_60
; %bb.57:                               ;   in Loop: Header=BB101_55 Depth=1
	v_lshl_add_u64 v[4:5], v[94:95], 0, v[2:3]
	v_lshl_add_u64 v[4:5], v[4:5], 0, s[12:13]
	v_cmp_gt_i64_e32 vcc, s[8:9], v[4:5]
	v_mov_b32_e32 v43, 0
	v_mov_b32_e32 v42, 0
	s_and_saveexec_b64 s[20:21], vcc
	s_cbranch_execz .LBB101_59
; %bb.58:                               ;   in Loop: Header=BB101_55 Depth=1
	v_lshlrev_b64 v[4:5], 2, v[4:5]
	v_lshl_add_u64 v[6:7], s[26:27], 0, v[4:5]
	v_lshl_add_u64 v[4:5], s[24:25], 0, v[4:5]
	global_load_dword v43, v[4:5], off
	global_load_dword v42, v[6:7], off
.LBB101_59:                             ;   in Loop: Header=BB101_55 Depth=1
	s_or_b64 exec, exec, s[20:21]
.LBB101_60:                             ;   in Loop: Header=BB101_55 Depth=1
	s_or_b64 exec, exec, s[18:19]
	s_mov_b32 s17, s16
	s_mov_b32 s18, s16
	;; [unrolled: 1-line block ×7, first 2 shown]
	v_mov_b64_e32 v[10:11], s[16:17]
	v_mov_b64_e32 v[16:17], s[22:23]
	v_lshl_add_u64 v[4:5], v[94:95], 0, s[12:13]
	v_mov_b64_e32 v[12:13], s[18:19]
	v_mov_b64_e32 v[14:15], s[20:21]
	;; [unrolled: 1-line block ×3, first 2 shown]
	v_cmp_gt_i64_e32 vcc, s[8:9], v[4:5]
	v_mov_b64_e32 v[22:23], v[14:15]
	v_mov_b64_e32 v[20:21], v[12:13]
	;; [unrolled: 1-line block ×3, first 2 shown]
	s_and_saveexec_b64 s[18:19], vcc
	s_cbranch_execz .LBB101_62
; %bb.61:                               ;   in Loop: Header=BB101_55 Depth=1
	v_lshl_add_u64 v[4:5], v[60:61], 0, v[28:29]
	global_load_ushort v2, v[4:5], off
	v_lshl_add_u64 v[4:5], v[62:63], 0, v[28:29]
	global_load_ushort v10, v[4:5], off
	v_mov_b32_e32 v8, v3
	v_mov_b32_e32 v9, v3
	;; [unrolled: 1-line block ×13, first 2 shown]
	s_waitcnt vmcnt(1)
	v_lshlrev_b32_e32 v2, 16, v2
	v_mov_b64_e32 v[24:25], v[8:9]
	s_waitcnt vmcnt(0)
	v_lshlrev_b32_e32 v10, 16, v10
	v_mov_b64_e32 v[22:23], v[6:7]
	v_mov_b64_e32 v[20:21], v[4:5]
	;; [unrolled: 1-line block ×3, first 2 shown]
.LBB101_62:                             ;   in Loop: Header=BB101_55 Depth=1
	s_or_b64 exec, exec, s[18:19]
	v_lshl_add_u64 v[4:5], v[94:95], 0, s[14:15]
	v_cmp_gt_i64_e32 vcc, s[8:9], v[4:5]
	s_and_saveexec_b64 s[18:19], vcc
	s_cbranch_execz .LBB101_64
; %bb.63:                               ;   in Loop: Header=BB101_55 Depth=1
	v_lshl_add_u64 v[4:5], v[88:89], 0, v[28:29]
	global_load_ushort v2, v[4:5], off
	v_lshl_add_u64 v[4:5], v[90:91], 0, v[28:29]
	global_load_ushort v4, v[4:5], off
	s_waitcnt vmcnt(1)
	v_lshlrev_b32_e32 v19, 16, v2
	s_waitcnt vmcnt(0)
	v_lshlrev_b32_e32 v11, 16, v4
.LBB101_64:                             ;   in Loop: Header=BB101_55 Depth=1
	s_or_b64 exec, exec, s[18:19]
	v_lshl_add_u64 v[4:5], v[94:95], 0, s[34:35]
	v_cmp_gt_i64_e32 vcc, s[8:9], v[4:5]
	s_and_saveexec_b64 s[18:19], vcc
	s_cbranch_execz .LBB101_66
; %bb.65:                               ;   in Loop: Header=BB101_55 Depth=1
	v_lshl_add_u64 v[4:5], v[84:85], 0, v[28:29]
	global_load_ushort v2, v[4:5], off
	v_lshl_add_u64 v[4:5], v[86:87], 0, v[28:29]
	global_load_ushort v4, v[4:5], off
	s_waitcnt vmcnt(1)
	v_lshlrev_b32_e32 v20, 16, v2
	s_waitcnt vmcnt(0)
	v_lshlrev_b32_e32 v12, 16, v4
.LBB101_66:                             ;   in Loop: Header=BB101_55 Depth=1
	;; [unrolled: 15-line block ×7, first 2 shown]
	s_or_b64 exec, exec, s[18:19]
	s_waitcnt vmcnt(1)
	ds_bpermute_b32 v2, v97, v43
	s_waitcnt vmcnt(0)
	ds_bpermute_b32 v4, v97, v42
	ds_bpermute_b32 v7, v97, v43 offset:4
	ds_bpermute_b32 v6, v97, v42 offset:4
	;; [unrolled: 1-line block ×3, first 2 shown]
	s_waitcnt lgkmcnt(4)
	v_sub_f32_e32 v2, v10, v2
	v_mul_f32_e32 v2, v18, v2
	s_waitcnt lgkmcnt(3)
	v_mul_f32_e32 v5, v2, v4
	ds_bpermute_b32 v4, v97, v42 offset:8
	s_waitcnt lgkmcnt(3)
	v_sub_f32_e32 v2, v11, v7
	v_mul_f32_e32 v2, v19, v2
	s_waitcnt lgkmcnt(2)
	v_mul_f32_e32 v7, v2, v6
	s_waitcnt lgkmcnt(1)
	v_sub_f32_e32 v2, v12, v8
	ds_bpermute_b32 v6, v97, v43 offset:12
	v_mul_f32_e32 v2, v20, v2
	s_waitcnt lgkmcnt(1)
	v_mul_f32_e32 v9, v2, v4
	ds_bpermute_b32 v2, v97, v42 offset:12
	ds_bpermute_b32 v4, v97, v43 offset:16
	ds_bpermute_b32 v8, v97, v42 offset:16
	s_waitcnt lgkmcnt(3)
	v_sub_f32_e32 v6, v13, v6
	v_mul_f32_e32 v6, v21, v6
	s_waitcnt lgkmcnt(2)
	v_mul_f32_e32 v11, v6, v2
	s_waitcnt lgkmcnt(1)
	v_sub_f32_e32 v2, v14, v4
	ds_bpermute_b32 v4, v97, v43 offset:20
	v_mul_f32_e32 v2, v22, v2
	s_waitcnt lgkmcnt(1)
	v_mul_f32_e32 v13, v2, v8
	ds_bpermute_b32 v2, v97, v42 offset:20
	ds_bpermute_b32 v6, v97, v43 offset:24
	;; [unrolled: 1-line block ×3, first 2 shown]
	s_waitcnt lgkmcnt(3)
	v_sub_f32_e32 v4, v15, v4
	v_mul_f32_e32 v4, v23, v4
	s_waitcnt lgkmcnt(2)
	v_mul_f32_e32 v15, v4, v2
	s_waitcnt lgkmcnt(1)
	v_sub_f32_e32 v2, v16, v6
	v_mul_f32_e32 v2, v24, v2
	s_waitcnt lgkmcnt(0)
	v_mul_f32_e32 v99, v2, v8
	v_mov_b32_e32 v4, v18
	ds_bpermute_b32 v2, v97, v43 offset:28
	v_pk_add_f32 v[4:5], v[92:93], v[4:5]
	v_mov_b32_e32 v6, v19
	v_pk_add_f32 v[4:5], v[6:7], v[4:5]
	v_mov_b32_e32 v8, v20
	ds_bpermute_b32 v6, v97, v42 offset:28
	v_pk_add_f32 v[4:5], v[8:9], v[4:5]
	v_mov_b32_e32 v10, v21
	v_pk_add_f32 v[4:5], v[10:11], v[4:5]
	v_mov_b32_e32 v12, v22
	;; [unrolled: 2-line block ×3, first 2 shown]
	s_waitcnt lgkmcnt(1)
	v_sub_f32_e32 v2, v17, v2
	v_pk_add_f32 v[4:5], v[14:15], v[4:5]
	v_mov_b32_e32 v98, v24
	v_mul_f32_e32 v2, v25, v2
	v_pk_add_f32 v[4:5], v[98:99], v[4:5]
	s_waitcnt lgkmcnt(0)
	v_mul_f32_e32 v7, v2, v6
	v_mov_b32_e32 v6, v25
	v_pk_add_f32 v[42:43], v[6:7], v[4:5]
	s_branch .LBB101_54
.LBB101_77:                             ;   in Loop: Header=BB101_55 Depth=1
                                        ; implicit-def: $vgpr43
	s_cbranch_execz .LBB101_54
; %bb.78:                               ;   in Loop: Header=BB101_55 Depth=1
	s_load_dword s17, s[4:5], 0x0
	v_mov_b32_e32 v6, 0
	v_mov_b32_e32 v7, 0
	s_waitcnt lgkmcnt(0)
	s_cmp_lt_u32 s2, s17
	s_cselect_b32 s17, 12, 18
	s_add_u32 s18, s4, s17
	s_addc_u32 s19, s5, 0
	global_load_ushort v2, v3, s[18:19]
	s_waitcnt vmcnt(0)
	v_mad_u32_u24 v2, v96, v2, v1
	v_and_b32_e32 v2, 63, v2
	v_cmp_gt_u32_e32 vcc, 8, v2
	s_and_saveexec_b64 s[18:19], vcc
	s_cbranch_execz .LBB101_53
; %bb.79:                               ;   in Loop: Header=BB101_55 Depth=1
	v_lshl_add_u64 v[4:5], v[94:95], 0, v[2:3]
	v_lshl_add_u64 v[4:5], v[4:5], 0, s[12:13]
	v_cmp_gt_i64_e32 vcc, s[8:9], v[4:5]
	v_mov_b32_e32 v7, 0
	v_mov_b32_e32 v6, 0
	s_and_saveexec_b64 s[20:21], vcc
	s_cbranch_execz .LBB101_52
; %bb.80:                               ;   in Loop: Header=BB101_55 Depth=1
	v_lshlrev_b64 v[4:5], 2, v[4:5]
	v_lshl_add_u64 v[8:9], s[26:27], 0, v[4:5]
	v_lshl_add_u64 v[4:5], s[24:25], 0, v[4:5]
	global_load_dword v7, v[4:5], off
	global_load_dword v6, v[8:9], off
	s_branch .LBB101_52
.LBB101_81:
	v_bfe_u32 v6, v0, 10, 10
	v_and_b32_e32 v0, 0x3ff, v0
	s_movk_i32 s3, 0x41
	v_mad_u32_u24 v1, v6, s3, v0
	v_lshl_add_u32 v1, v1, 2, 0
	v_lshrrev_b32_e32 v8, 6, v0
	ds_write_b32 v1, v43
	ds_write_b32 v1, v42 offset:2080
	v_add_u32_e32 v1, v8, v6
	s_mov_b32 s3, 0
	v_cmp_gt_u32_e32 vcc, 64, v1
	s_waitcnt lgkmcnt(0)
	s_barrier
	s_and_saveexec_b64 s[4:5], vcc
	s_cbranch_execz .LBB101_91
; %bb.82:
	v_and_b32_e32 v1, 63, v0
	s_load_dwordx4 s[4:7], s[0:1], 0x30
	v_cmp_gt_u32_e64 s[0:1], 8, v1
	v_mul_u32_u24_e32 v13, 0x41, v1
	v_mbcnt_lo_u32_b32 v1, -1, 0
	v_mbcnt_hi_u32_b32 v1, -1, v1
	v_and_b32_e32 v2, 64, v1
	v_add_u32_e32 v2, 64, v2
	s_lshl_b64 s[8:9], s[2:3], 6
	v_cmp_eq_u32_e64 s[2:3], 0, v0
	v_xor_b32_e32 v0, 4, v1
	v_cmp_lt_i32_e32 vcc, v0, v2
	v_mov_b32_e32 v9, 0
	v_mov_b32_e32 v7, v9
	v_cndmask_b32_e32 v0, v1, v0, vcc
	v_lshlrev_b32_e32 v10, 2, v0
	v_xor_b32_e32 v0, 2, v1
	v_cmp_lt_i32_e32 vcc, v0, v2
	s_waitcnt lgkmcnt(0)
	s_cmp_lg_u64 s[4:5], 0
	s_cselect_b64 s[14:15], -1, 0
	v_cndmask_b32_e32 v0, v1, v0, vcc
	v_lshlrev_b32_e32 v11, 2, v0
	v_xor_b32_e32 v0, 1, v1
	v_cmp_lt_i32_e32 vcc, v0, v2
	s_cmp_lg_u64 s[6:7], 0
	s_mov_b64 s[12:13], 0
	v_cndmask_b32_e32 v0, v1, v0, vcc
	v_lshlrev_b32_e32 v12, 2, v0
	v_lshl_add_u64 v[0:1], v[8:9], 0, v[6:7]
	v_lshl_add_u64 v[2:3], v[0:1], 0, s[8:9]
	v_lshlrev_b64 v[4:5], 1, v[2:3]
	v_add3_u32 v6, v13, v6, v8
	v_lshl_add_u64 v[2:3], s[6:7], 0, v[4:5]
	v_lshl_add_u32 v8, v6, 2, 0
	v_cndmask_b32_e64 v6, 0, 1, s[14:15]
	s_cselect_b64 s[6:7], -1, 0
	v_lshl_add_u64 v[4:5], s[4:5], 0, v[4:5]
	v_cmp_ne_u32_e64 s[4:5], 1, v6
	v_cndmask_b32_e64 v6, 0, 1, s[6:7]
	s_movk_i32 s16, 0x7fff
	v_cmp_ne_u32_e64 s[6:7], 1, v6
	v_mov_b32_e32 v9, 0x7fc0
                                        ; implicit-def: $vgpr6
	s_branch .LBB101_84
.LBB101_83:                             ;   in Loop: Header=BB101_84 Depth=1
	s_or_b64 exec, exec, s[14:15]
	v_lshl_add_u64 v[0:1], v[0:1], 0, 8
	v_add_u32_e32 v13, -8, v0
	v_cmp_lt_u32_e32 vcc, 55, v13
	v_lshl_add_u64 v[2:3], v[2:3], 0, 16
	v_lshl_add_u64 v[4:5], v[4:5], 0, 16
	s_or_b64 s[12:13], vcc, s[12:13]
	v_add_u32_e32 v8, 32, v8
	s_andn2_b64 exec, exec, s[12:13]
	s_cbranch_execz .LBB101_91
.LBB101_84:                             ; =>This Inner Loop Header: Depth=1
	s_and_saveexec_b64 s[14:15], s[0:1]
	s_cbranch_execz .LBB101_86
; %bb.85:                               ;   in Loop: Header=BB101_84 Depth=1
	ds_read_b32 v7, v8
	ds_read_b32 v6, v8 offset:2080
.LBB101_86:                             ;   in Loop: Header=BB101_84 Depth=1
	s_or_b64 exec, exec, s[14:15]
	s_waitcnt lgkmcnt(1)
	ds_bpermute_b32 v15, v10, v7
	s_waitcnt lgkmcnt(1)
	ds_bpermute_b32 v14, v10, v6
	v_lshl_add_u64 v[16:17], s[8:9], 0, v[0:1]
	v_cmp_gt_i64_e32 vcc, s[10:11], v[16:17]
	s_and_b64 s[18:19], s[2:3], vcc
	s_waitcnt lgkmcnt(0)
	v_pk_add_f32 v[6:7], v[6:7], v[14:15]
	ds_bpermute_b32 v15, v11, v7
	ds_bpermute_b32 v14, v11, v6
	s_waitcnt lgkmcnt(0)
	v_pk_add_f32 v[6:7], v[6:7], v[14:15]
	ds_bpermute_b32 v15, v12, v7
	ds_bpermute_b32 v14, v12, v6
	s_waitcnt lgkmcnt(0)
	v_pk_add_f32 v[6:7], v[6:7], v[14:15]
	s_and_saveexec_b64 s[14:15], s[18:19]
	s_cbranch_execz .LBB101_83
; %bb.87:                               ;   in Loop: Header=BB101_84 Depth=1
	s_and_b64 vcc, exec, s[4:5]
	s_cbranch_vccnz .LBB101_89
; %bb.88:                               ;   in Loop: Header=BB101_84 Depth=1
	v_bfe_u32 v13, v7, 16, 1
	v_add3_u32 v13, v7, v13, s16
	v_lshrrev_b32_e32 v13, 16, v13
	v_cmp_o_f32_e32 vcc, v7, v7
	s_nop 1
	v_cndmask_b32_e32 v13, v9, v13, vcc
	global_store_short v[4:5], v13, off
.LBB101_89:                             ;   in Loop: Header=BB101_84 Depth=1
	s_and_b64 vcc, exec, s[6:7]
	s_cbranch_vccnz .LBB101_83
; %bb.90:                               ;   in Loop: Header=BB101_84 Depth=1
	v_bfe_u32 v13, v6, 16, 1
	v_add3_u32 v13, v6, v13, s16
	v_lshrrev_b32_e32 v13, 16, v13
	v_cmp_o_f32_e32 vcc, v6, v6
	s_nop 1
	v_cndmask_b32_e32 v13, v9, v13, vcc
	global_store_short v[2:3], v13, off
	s_branch .LBB101_83
.LBB101_91:
	s_endpgm
	.section	.rodata,"a",@progbits
	.p2align	6, 0x0
	.amdhsa_kernel _ZN2at6native12_GLOBAL__N_135GammaBetaBackwardCUDAKernelTemplateIN3c108BFloat16EfLj64ELj8ELj64ELb0ELb0ELb0EEEvllPKT_S7_PKT0_SA_PS5_SB_
		.amdhsa_group_segment_fixed_size 0
		.amdhsa_private_segment_fixed_size 0
		.amdhsa_kernarg_size 320
		.amdhsa_user_sgpr_count 2
		.amdhsa_user_sgpr_dispatch_ptr 0
		.amdhsa_user_sgpr_queue_ptr 0
		.amdhsa_user_sgpr_kernarg_segment_ptr 1
		.amdhsa_user_sgpr_dispatch_id 0
		.amdhsa_user_sgpr_kernarg_preload_length 0
		.amdhsa_user_sgpr_kernarg_preload_offset 0
		.amdhsa_user_sgpr_private_segment_size 0
		.amdhsa_uses_dynamic_stack 0
		.amdhsa_enable_private_segment 0
		.amdhsa_system_sgpr_workgroup_id_x 1
		.amdhsa_system_sgpr_workgroup_id_y 1
		.amdhsa_system_sgpr_workgroup_id_z 0
		.amdhsa_system_sgpr_workgroup_info 0
		.amdhsa_system_vgpr_workitem_id 1
		.amdhsa_next_free_vgpr 106
		.amdhsa_next_free_sgpr 58
		.amdhsa_accum_offset 108
		.amdhsa_reserve_vcc 1
		.amdhsa_float_round_mode_32 0
		.amdhsa_float_round_mode_16_64 0
		.amdhsa_float_denorm_mode_32 3
		.amdhsa_float_denorm_mode_16_64 3
		.amdhsa_dx10_clamp 1
		.amdhsa_ieee_mode 1
		.amdhsa_fp16_overflow 0
		.amdhsa_tg_split 0
		.amdhsa_exception_fp_ieee_invalid_op 0
		.amdhsa_exception_fp_denorm_src 0
		.amdhsa_exception_fp_ieee_div_zero 0
		.amdhsa_exception_fp_ieee_overflow 0
		.amdhsa_exception_fp_ieee_underflow 0
		.amdhsa_exception_fp_ieee_inexact 0
		.amdhsa_exception_int_div_zero 0
	.end_amdhsa_kernel
	.section	.text._ZN2at6native12_GLOBAL__N_135GammaBetaBackwardCUDAKernelTemplateIN3c108BFloat16EfLj64ELj8ELj64ELb0ELb0ELb0EEEvllPKT_S7_PKT0_SA_PS5_SB_,"axG",@progbits,_ZN2at6native12_GLOBAL__N_135GammaBetaBackwardCUDAKernelTemplateIN3c108BFloat16EfLj64ELj8ELj64ELb0ELb0ELb0EEEvllPKT_S7_PKT0_SA_PS5_SB_,comdat
.Lfunc_end101:
	.size	_ZN2at6native12_GLOBAL__N_135GammaBetaBackwardCUDAKernelTemplateIN3c108BFloat16EfLj64ELj8ELj64ELb0ELb0ELb0EEEvllPKT_S7_PKT0_SA_PS5_SB_, .Lfunc_end101-_ZN2at6native12_GLOBAL__N_135GammaBetaBackwardCUDAKernelTemplateIN3c108BFloat16EfLj64ELj8ELj64ELb0ELb0ELb0EEEvllPKT_S7_PKT0_SA_PS5_SB_
                                        ; -- End function
	.section	.AMDGPU.csdata,"",@progbits
; Kernel info:
; codeLenInByte = 7644
; NumSgprs: 64
; NumVgprs: 106
; NumAgprs: 0
; TotalNumVgprs: 106
; ScratchSize: 0
; MemoryBound: 0
; FloatMode: 240
; IeeeMode: 1
; LDSByteSize: 0 bytes/workgroup (compile time only)
; SGPRBlocks: 7
; VGPRBlocks: 13
; NumSGPRsForWavesPerEU: 64
; NumVGPRsForWavesPerEU: 106
; AccumOffset: 108
; Occupancy: 4
; WaveLimiterHint : 0
; COMPUTE_PGM_RSRC2:SCRATCH_EN: 0
; COMPUTE_PGM_RSRC2:USER_SGPR: 2
; COMPUTE_PGM_RSRC2:TRAP_HANDLER: 0
; COMPUTE_PGM_RSRC2:TGID_X_EN: 1
; COMPUTE_PGM_RSRC2:TGID_Y_EN: 1
; COMPUTE_PGM_RSRC2:TGID_Z_EN: 0
; COMPUTE_PGM_RSRC2:TIDIG_COMP_CNT: 1
; COMPUTE_PGM_RSRC3_GFX90A:ACCUM_OFFSET: 26
; COMPUTE_PGM_RSRC3_GFX90A:TG_SPLIT: 0
	.section	.text._ZN2at6native12_GLOBAL__N_135GammaBetaBackwardCUDAKernelTemplateIN3c108BFloat16EfLj64ELj16ELj128ELb0ELb1ELb0EEEvllPKT_S7_PKT0_SA_PS5_SB_,"axG",@progbits,_ZN2at6native12_GLOBAL__N_135GammaBetaBackwardCUDAKernelTemplateIN3c108BFloat16EfLj64ELj16ELj128ELb0ELb1ELb0EEEvllPKT_S7_PKT0_SA_PS5_SB_,comdat
	.globl	_ZN2at6native12_GLOBAL__N_135GammaBetaBackwardCUDAKernelTemplateIN3c108BFloat16EfLj64ELj16ELj128ELb0ELb1ELb0EEEvllPKT_S7_PKT0_SA_PS5_SB_ ; -- Begin function _ZN2at6native12_GLOBAL__N_135GammaBetaBackwardCUDAKernelTemplateIN3c108BFloat16EfLj64ELj16ELj128ELb0ELb1ELb0EEEvllPKT_S7_PKT0_SA_PS5_SB_
	.p2align	8
	.type	_ZN2at6native12_GLOBAL__N_135GammaBetaBackwardCUDAKernelTemplateIN3c108BFloat16EfLj64ELj16ELj128ELb0ELb1ELb0EEEvllPKT_S7_PKT0_SA_PS5_SB_,@function
_ZN2at6native12_GLOBAL__N_135GammaBetaBackwardCUDAKernelTemplateIN3c108BFloat16EfLj64ELj16ELj128ELb0ELb1ELb0EEEvllPKT_S7_PKT0_SA_PS5_SB_: ; @_ZN2at6native12_GLOBAL__N_135GammaBetaBackwardCUDAKernelTemplateIN3c108BFloat16EfLj64ELj16ELj128ELb0ELb1ELb0EEEvllPKT_S7_PKT0_SA_PS5_SB_
; %bb.0:
	s_load_dwordx4 s[16:19], s[0:1], 0x0
	s_lshl_b32 s6, s3, 7
	s_mov_b32 s7, 0
	v_bfe_u32 v12, v0, 10, 10
	s_waitcnt lgkmcnt(0)
	v_mov_b64_e32 v[2:3], s[16:17]
	v_cmp_lt_i64_e32 vcc, s[6:7], v[2:3]
	s_cbranch_vccnz .LBB102_2
; %bb.1:
	s_mov_b64 s[4:5], 0
	v_bfe_u32 v4, v0, 10, 10
	s_branch .LBB102_3
.LBB102_2:
	s_mov_b64 s[4:5], -1
                                        ; implicit-def: $vgpr4
.LBB102_3:
	v_and_b32_e32 v10, 0x3ff, v0
	s_andn2_b64 vcc, exec, s[4:5]
	v_mov_b32_e32 v1, s7
	v_mbcnt_lo_u32_b32 v11, -1, 0
	v_mov_b32_e32 v0, s7
	s_cbranch_vccnz .LBB102_11
; %bb.4:
	s_load_dword s3, s[0:1], 0x4c
	s_load_dword s20, s[0:1], 0x44
	s_load_dwordx8 s[8:15], s[0:1], 0x10
	v_lshlrev_b32_e32 v0, 3, v12
	v_mbcnt_hi_u32_b32 v4, -1, v11
	s_waitcnt lgkmcnt(0)
	s_and_b32 s3, s3, 0xffff
	v_mad_u32_u24 v1, v12, s3, v10
	v_and_b32_e32 v2, 63, v1
	v_mov_b32_e32 v1, 0
	v_mov_b32_e32 v3, v1
	v_lshl_add_u64 v[8:9], v[0:1], 0, s[6:7]
	v_cmp_gt_u32_e64 s[4:5], 8, v2
	s_lshl_b32 s20, s20, 7
	v_lshl_add_u64 v[2:3], v[8:9], 0, v[2:3]
	v_mul_lo_u32 v0, s19, v8
	v_mul_lo_u32 v21, s18, v9
	v_mad_u64_u32 v[8:9], s[24:25], s18, v8, 0
	v_lshl_add_u32 v6, s2, 6, v10
	v_mov_b32_e32 v7, v1
	v_lshlrev_b32_e32 v4, 2, v4
	s_mul_i32 s3, s19, s20
	s_mul_hi_u32 s24, s18, s20
	s_mov_b32 s21, 0
	v_and_b32_e32 v13, 0x100, v4
	v_add3_u32 v9, v9, v21, v0
	v_lshlrev_b64 v[6:7], 1, v[6:7]
	s_add_i32 s25, s24, s3
	s_mul_i32 s24, s18, s20
	v_or_b32_e32 v14, 4, v13
	v_or_b32_e32 v15, 8, v13
	;; [unrolled: 1-line block ×7, first 2 shown]
	v_lshlrev_b64 v[4:5], 2, v[2:3]
	s_lshl_b64 s[22:23], s[20:21], 2
	v_lshl_add_u64 v[6:7], v[8:9], 1, v[6:7]
	s_lshl_b64 s[24:25], s[24:25], 1
	s_lshl_b64 s[18:19], s[18:19], 1
	v_mov_b64_e32 v[8:9], s[16:17]
	v_mov_b32_e32 v0, v1
	s_branch .LBB102_7
.LBB102_5:                              ;   in Loop: Header=BB102_7 Depth=1
	s_or_b64 exec, exec, s[28:29]
.LBB102_6:                              ;   in Loop: Header=BB102_7 Depth=1
	s_or_b64 exec, exec, s[26:27]
	v_lshl_add_u64 v[24:25], s[8:9], 0, v[6:7]
	v_lshl_add_u64 v[26:27], s[10:11], 0, v[6:7]
	global_load_ushort v23, v[24:25], off
	global_load_ushort v28, v[26:27], off
	v_lshl_add_u64 v[24:25], v[24:25], 0, s[18:19]
	v_lshl_add_u64 v[26:27], v[26:27], 0, s[18:19]
	global_load_ushort v29, v[24:25], off
	global_load_ushort v30, v[26:27], off
	;; [unrolled: 4-line block ×8, first 2 shown]
	s_waitcnt vmcnt(17)
	ds_bpermute_b32 v26, v13, v21
	ds_bpermute_b32 v43, v14, v21
	s_waitcnt vmcnt(16)
	ds_bpermute_b32 v25, v13, v22
	ds_bpermute_b32 v45, v15, v21
	;; [unrolled: 1-line block ×14, first 2 shown]
	s_add_u32 s6, s6, s20
	s_addc_u32 s7, s7, 0
	v_cmp_lt_i64_e32 vcc, s[6:7], v[8:9]
	v_lshl_add_u64 v[4:5], v[4:5], 0, s[22:23]
	v_lshl_add_u64 v[2:3], v[2:3], 0, s[20:21]
	;; [unrolled: 1-line block ×3, first 2 shown]
	s_and_b64 vcc, exec, vcc
	s_waitcnt vmcnt(15)
	v_lshlrev_b32_e32 v22, 16, v23
	s_waitcnt vmcnt(14)
	v_lshlrev_b32_e32 v23, 16, v28
	s_waitcnt lgkmcnt(14)
	v_sub_f32_e32 v23, v23, v26
	v_mul_f32_e32 v23, v23, v22
	s_waitcnt vmcnt(13)
	v_lshlrev_b32_e32 v24, 16, v29
	s_waitcnt vmcnt(12)
	v_lshlrev_b32_e32 v28, 16, v30
	v_sub_f32_e32 v30, v28, v43
	s_waitcnt lgkmcnt(13)
	v_mul_f32_e32 v23, v23, v25
	s_waitcnt vmcnt(11)
	v_lshlrev_b32_e32 v26, 16, v31
	s_waitcnt vmcnt(10)
	v_lshlrev_b32_e32 v29, 16, v32
	v_mul_f32_e32 v25, v30, v24
	s_waitcnt lgkmcnt(12)
	v_sub_f32_e32 v29, v29, v45
	s_waitcnt vmcnt(9)
	v_lshlrev_b32_e32 v28, 16, v33
	s_waitcnt vmcnt(8)
	v_lshlrev_b32_e32 v31, 16, v34
	s_waitcnt lgkmcnt(11)
	v_mul_f32_e32 v25, v25, v27
	v_mul_f32_e32 v27, v29, v26
	s_waitcnt lgkmcnt(10)
	v_sub_f32_e32 v29, v31, v47
	s_waitcnt vmcnt(6)
	v_lshlrev_b32_e32 v32, 16, v36
	v_pk_add_f32 v[0:1], v[0:1], v[22:23]
	v_lshlrev_b32_e32 v30, 16, v35
	s_waitcnt lgkmcnt(9)
	v_mul_f32_e32 v27, v27, v44
	s_waitcnt vmcnt(4)
	v_lshlrev_b32_e32 v23, 16, v38
	v_mul_f32_e32 v29, v29, v28
	s_waitcnt lgkmcnt(6)
	v_sub_f32_e32 v31, v32, v49
	v_pk_add_f32 v[0:1], v[0:1], v[24:25]
	v_lshlrev_b32_e32 v22, 16, v37
	s_waitcnt vmcnt(2)
	v_lshlrev_b32_e32 v25, 16, v40
	v_mul_f32_e32 v29, v29, v46
	v_mul_f32_e32 v31, v31, v30
	s_waitcnt lgkmcnt(2)
	v_sub_f32_e32 v23, v23, v51
	v_pk_add_f32 v[0:1], v[0:1], v[26:27]
	v_lshlrev_b32_e32 v24, 16, v39
	s_waitcnt vmcnt(0)
	v_lshlrev_b32_e32 v27, 16, v42
	v_mul_f32_e32 v31, v31, v48
	v_mul_f32_e32 v23, v23, v22
	s_waitcnt lgkmcnt(1)
	v_sub_f32_e32 v25, v25, v53
	v_pk_add_f32 v[0:1], v[0:1], v[28:29]
	v_lshlrev_b32_e32 v26, 16, v41
	v_mul_f32_e32 v23, v23, v50
	v_mul_f32_e32 v25, v25, v24
	v_pk_add_f32 v[0:1], v[0:1], v[30:31]
	s_waitcnt lgkmcnt(0)
	v_sub_f32_e32 v21, v27, v21
	v_mul_f32_e32 v25, v25, v52
	v_pk_add_f32 v[0:1], v[0:1], v[22:23]
	v_mul_f32_e32 v21, v21, v26
	v_pk_add_f32 v[0:1], v[0:1], v[24:25]
	;; [unrolled: 2-line block ×3, first 2 shown]
	s_cbranch_vccz .LBB102_10
.LBB102_7:                              ; =>This Inner Loop Header: Depth=1
	v_mov_b32_e32 v22, 0
	v_mov_b32_e32 v21, 0
	s_and_saveexec_b64 s[26:27], s[4:5]
	s_cbranch_execz .LBB102_6
; %bb.8:                                ;   in Loop: Header=BB102_7 Depth=1
	v_cmp_gt_i64_e32 vcc, s[16:17], v[2:3]
	v_mov_b32_e32 v21, 0
	v_mov_b32_e32 v22, 0
	s_and_saveexec_b64 s[28:29], vcc
	s_cbranch_execz .LBB102_5
; %bb.9:                                ;   in Loop: Header=BB102_7 Depth=1
	v_lshl_add_u64 v[26:27], s[12:13], 0, v[4:5]
	v_lshl_add_u64 v[24:25], s[14:15], 0, v[4:5]
	global_load_dword v21, v[26:27], off
	global_load_dword v22, v[24:25], off
	s_branch .LBB102_5
.LBB102_10:
	v_mov_b32_e32 v4, v12
.LBB102_11:
	s_load_dwordx4 s[4:7], s[0:1], 0x30
	s_movk_i32 s0, 0x41
	v_mad_u32_u24 v2, v4, s0, v10
	v_lshl_add_u32 v2, v2, 2, 0
	v_lshrrev_b32_e32 v12, 6, v10
	ds_write_b32 v2, v1
	ds_write_b32 v2, v0 offset:4160
	v_add_u32_e32 v0, v12, v4
	s_mov_b32 s3, 0
	v_cmp_gt_u32_e32 vcc, 64, v0
	s_waitcnt lgkmcnt(0)
	s_barrier
	s_and_saveexec_b64 s[0:1], vcc
	s_cbranch_execz .LBB102_21
; %bb.12:
	v_and_b32_e32 v1, 63, v10
	v_cmp_gt_u32_e64 s[0:1], 16, v1
	v_mul_u32_u24_e32 v13, 0x41, v1
	v_mbcnt_hi_u32_b32 v1, -1, v11
	v_and_b32_e32 v2, 64, v1
	v_add_u32_e32 v2, 64, v2
	v_xor_b32_e32 v3, 8, v1
	v_cmp_lt_i32_e32 vcc, v3, v2
	s_lshl_b64 s[10:11], s[2:3], 6
	v_mov_b32_e32 v5, 0
	v_cndmask_b32_e32 v3, v1, v3, vcc
	v_lshlrev_b32_e32 v6, 2, v3
	v_xor_b32_e32 v3, 4, v1
	v_cmp_lt_i32_e32 vcc, v3, v2
	v_cmp_eq_u32_e64 s[2:3], 0, v10
	v_add_u32_e32 v10, -16, v0
	v_cndmask_b32_e32 v3, v1, v3, vcc
	v_lshlrev_b32_e32 v7, 2, v3
	v_xor_b32_e32 v3, 2, v1
	v_cmp_lt_i32_e32 vcc, v3, v2
	v_or_b32_e32 v0, s10, v12
	s_cmp_lg_u64 s[4:5], 0
	v_cndmask_b32_e32 v3, v1, v3, vcc
	v_lshlrev_b32_e32 v8, 2, v3
	v_xor_b32_e32 v3, 1, v1
	v_cmp_lt_i32_e32 vcc, v3, v2
	s_cselect_b64 s[12:13], -1, 0
	s_cmp_lg_u64 s[6:7], 0
	v_cndmask_b32_e32 v1, v1, v3, vcc
	v_lshlrev_b32_e32 v9, 2, v1
	v_mov_b32_e32 v1, s11
	v_lshl_add_u64 v[0:1], v[0:1], 0, v[4:5]
	v_lshlrev_b64 v[2:3], 1, v[0:1]
	v_add3_u32 v4, v13, v4, v12
	v_lshl_add_u64 v[0:1], s[6:7], 0, v[2:3]
	v_lshl_add_u32 v11, v4, 2, 0
	v_cndmask_b32_e64 v4, 0, 1, s[12:13]
	s_cselect_b64 s[6:7], -1, 0
	v_lshl_add_u64 v[2:3], s[4:5], 0, v[2:3]
	v_cmp_ne_u32_e64 s[4:5], 1, v4
	v_cndmask_b32_e64 v4, 0, 1, s[6:7]
	s_mov_b64 s[8:9], 0
	s_movk_i32 s12, 0x7fff
	v_cmp_ne_u32_e64 s[6:7], 1, v4
	v_mov_b32_e32 v12, 0x7fc0
                                        ; implicit-def: $vgpr4
	s_branch .LBB102_14
.LBB102_13:                             ;   in Loop: Header=BB102_14 Depth=1
	s_or_b64 exec, exec, s[10:11]
	v_add_u32_e32 v10, 16, v10
	v_cmp_lt_u32_e32 vcc, 47, v10
	v_lshl_add_u64 v[0:1], v[0:1], 0, 32
	v_lshl_add_u64 v[2:3], v[2:3], 0, 32
	s_or_b64 s[8:9], vcc, s[8:9]
	v_add_u32_e32 v11, 64, v11
	s_andn2_b64 exec, exec, s[8:9]
	s_cbranch_execz .LBB102_21
.LBB102_14:                             ; =>This Inner Loop Header: Depth=1
	s_and_saveexec_b64 s[10:11], s[0:1]
	s_cbranch_execz .LBB102_16
; %bb.15:                               ;   in Loop: Header=BB102_14 Depth=1
	ds_read_b32 v5, v11
	ds_read_b32 v4, v11 offset:4160
.LBB102_16:                             ;   in Loop: Header=BB102_14 Depth=1
	s_or_b64 exec, exec, s[10:11]
	s_waitcnt lgkmcnt(1)
	ds_bpermute_b32 v15, v6, v5
	s_waitcnt lgkmcnt(1)
	ds_bpermute_b32 v14, v6, v4
	s_waitcnt lgkmcnt(0)
	v_pk_add_f32 v[4:5], v[4:5], v[14:15]
	ds_bpermute_b32 v15, v7, v5
	ds_bpermute_b32 v14, v7, v4
	s_waitcnt lgkmcnt(0)
	v_pk_add_f32 v[4:5], v[4:5], v[14:15]
	ds_bpermute_b32 v15, v8, v5
	;; [unrolled: 4-line block ×3, first 2 shown]
	ds_bpermute_b32 v14, v9, v4
	s_waitcnt lgkmcnt(0)
	v_pk_add_f32 v[4:5], v[4:5], v[14:15]
	s_and_saveexec_b64 s[10:11], s[2:3]
	s_cbranch_execz .LBB102_13
; %bb.17:                               ;   in Loop: Header=BB102_14 Depth=1
	s_and_b64 vcc, exec, s[4:5]
	s_cbranch_vccnz .LBB102_19
; %bb.18:                               ;   in Loop: Header=BB102_14 Depth=1
	v_bfe_u32 v13, v5, 16, 1
	v_add3_u32 v13, v5, v13, s12
	v_lshrrev_b32_e32 v13, 16, v13
	v_cmp_o_f32_e32 vcc, v5, v5
	s_nop 1
	v_cndmask_b32_e32 v13, v12, v13, vcc
	global_store_short v[2:3], v13, off
.LBB102_19:                             ;   in Loop: Header=BB102_14 Depth=1
	s_and_b64 vcc, exec, s[6:7]
	s_cbranch_vccnz .LBB102_13
; %bb.20:                               ;   in Loop: Header=BB102_14 Depth=1
	v_bfe_u32 v13, v4, 16, 1
	v_add3_u32 v13, v4, v13, s12
	v_lshrrev_b32_e32 v13, 16, v13
	v_cmp_o_f32_e32 vcc, v4, v4
	s_nop 1
	v_cndmask_b32_e32 v13, v12, v13, vcc
	global_store_short v[0:1], v13, off
	s_branch .LBB102_13
.LBB102_21:
	s_endpgm
	.section	.rodata,"a",@progbits
	.p2align	6, 0x0
	.amdhsa_kernel _ZN2at6native12_GLOBAL__N_135GammaBetaBackwardCUDAKernelTemplateIN3c108BFloat16EfLj64ELj16ELj128ELb0ELb1ELb0EEEvllPKT_S7_PKT0_SA_PS5_SB_
		.amdhsa_group_segment_fixed_size 0
		.amdhsa_private_segment_fixed_size 0
		.amdhsa_kernarg_size 320
		.amdhsa_user_sgpr_count 2
		.amdhsa_user_sgpr_dispatch_ptr 0
		.amdhsa_user_sgpr_queue_ptr 0
		.amdhsa_user_sgpr_kernarg_segment_ptr 1
		.amdhsa_user_sgpr_dispatch_id 0
		.amdhsa_user_sgpr_kernarg_preload_length 0
		.amdhsa_user_sgpr_kernarg_preload_offset 0
		.amdhsa_user_sgpr_private_segment_size 0
		.amdhsa_uses_dynamic_stack 0
		.amdhsa_enable_private_segment 0
		.amdhsa_system_sgpr_workgroup_id_x 1
		.amdhsa_system_sgpr_workgroup_id_y 1
		.amdhsa_system_sgpr_workgroup_id_z 0
		.amdhsa_system_sgpr_workgroup_info 0
		.amdhsa_system_vgpr_workitem_id 1
		.amdhsa_next_free_vgpr 55
		.amdhsa_next_free_sgpr 30
		.amdhsa_accum_offset 56
		.amdhsa_reserve_vcc 1
		.amdhsa_float_round_mode_32 0
		.amdhsa_float_round_mode_16_64 0
		.amdhsa_float_denorm_mode_32 3
		.amdhsa_float_denorm_mode_16_64 3
		.amdhsa_dx10_clamp 1
		.amdhsa_ieee_mode 1
		.amdhsa_fp16_overflow 0
		.amdhsa_tg_split 0
		.amdhsa_exception_fp_ieee_invalid_op 0
		.amdhsa_exception_fp_denorm_src 0
		.amdhsa_exception_fp_ieee_div_zero 0
		.amdhsa_exception_fp_ieee_overflow 0
		.amdhsa_exception_fp_ieee_underflow 0
		.amdhsa_exception_fp_ieee_inexact 0
		.amdhsa_exception_int_div_zero 0
	.end_amdhsa_kernel
	.section	.text._ZN2at6native12_GLOBAL__N_135GammaBetaBackwardCUDAKernelTemplateIN3c108BFloat16EfLj64ELj16ELj128ELb0ELb1ELb0EEEvllPKT_S7_PKT0_SA_PS5_SB_,"axG",@progbits,_ZN2at6native12_GLOBAL__N_135GammaBetaBackwardCUDAKernelTemplateIN3c108BFloat16EfLj64ELj16ELj128ELb0ELb1ELb0EEEvllPKT_S7_PKT0_SA_PS5_SB_,comdat
.Lfunc_end102:
	.size	_ZN2at6native12_GLOBAL__N_135GammaBetaBackwardCUDAKernelTemplateIN3c108BFloat16EfLj64ELj16ELj128ELb0ELb1ELb0EEEvllPKT_S7_PKT0_SA_PS5_SB_, .Lfunc_end102-_ZN2at6native12_GLOBAL__N_135GammaBetaBackwardCUDAKernelTemplateIN3c108BFloat16EfLj64ELj16ELj128ELb0ELb1ELb0EEEvllPKT_S7_PKT0_SA_PS5_SB_
                                        ; -- End function
	.section	.AMDGPU.csdata,"",@progbits
; Kernel info:
; codeLenInByte = 1796
; NumSgprs: 36
; NumVgprs: 55
; NumAgprs: 0
; TotalNumVgprs: 55
; ScratchSize: 0
; MemoryBound: 0
; FloatMode: 240
; IeeeMode: 1
; LDSByteSize: 0 bytes/workgroup (compile time only)
; SGPRBlocks: 4
; VGPRBlocks: 6
; NumSGPRsForWavesPerEU: 36
; NumVGPRsForWavesPerEU: 55
; AccumOffset: 56
; Occupancy: 8
; WaveLimiterHint : 0
; COMPUTE_PGM_RSRC2:SCRATCH_EN: 0
; COMPUTE_PGM_RSRC2:USER_SGPR: 2
; COMPUTE_PGM_RSRC2:TRAP_HANDLER: 0
; COMPUTE_PGM_RSRC2:TGID_X_EN: 1
; COMPUTE_PGM_RSRC2:TGID_Y_EN: 1
; COMPUTE_PGM_RSRC2:TGID_Z_EN: 0
; COMPUTE_PGM_RSRC2:TIDIG_COMP_CNT: 1
; COMPUTE_PGM_RSRC3_GFX90A:ACCUM_OFFSET: 13
; COMPUTE_PGM_RSRC3_GFX90A:TG_SPLIT: 0
	.section	.text._ZN2at6native12_GLOBAL__N_135GammaBetaBackwardCUDAKernelTemplateIN3c108BFloat16EfLj64ELj16ELj128ELb0ELb0ELb0EEEvllPKT_S7_PKT0_SA_PS5_SB_,"axG",@progbits,_ZN2at6native12_GLOBAL__N_135GammaBetaBackwardCUDAKernelTemplateIN3c108BFloat16EfLj64ELj16ELj128ELb0ELb0ELb0EEEvllPKT_S7_PKT0_SA_PS5_SB_,comdat
	.globl	_ZN2at6native12_GLOBAL__N_135GammaBetaBackwardCUDAKernelTemplateIN3c108BFloat16EfLj64ELj16ELj128ELb0ELb0ELb0EEEvllPKT_S7_PKT0_SA_PS5_SB_ ; -- Begin function _ZN2at6native12_GLOBAL__N_135GammaBetaBackwardCUDAKernelTemplateIN3c108BFloat16EfLj64ELj16ELj128ELb0ELb0ELb0EEEvllPKT_S7_PKT0_SA_PS5_SB_
	.p2align	8
	.type	_ZN2at6native12_GLOBAL__N_135GammaBetaBackwardCUDAKernelTemplateIN3c108BFloat16EfLj64ELj16ELj128ELb0ELb0ELb0EEEvllPKT_S7_PKT0_SA_PS5_SB_,@function
_ZN2at6native12_GLOBAL__N_135GammaBetaBackwardCUDAKernelTemplateIN3c108BFloat16EfLj64ELj16ELj128ELb0ELb0ELb0EEEvllPKT_S7_PKT0_SA_PS5_SB_: ; @_ZN2at6native12_GLOBAL__N_135GammaBetaBackwardCUDAKernelTemplateIN3c108BFloat16EfLj64ELj16ELj128ELb0ELb0ELb0EEEvllPKT_S7_PKT0_SA_PS5_SB_
; %bb.0:
	s_load_dwordx8 s[8:15], s[0:1], 0x0
	s_load_dwordx4 s[24:27], s[0:1], 0x20
	s_lshl_b32 s33, s2, 6
	s_mov_b32 s16, 0
	s_or_b32 s4, s33, 63
	s_mov_b32 s5, s16
	s_waitcnt lgkmcnt(0)
	v_mov_b64_e32 v[2:3], s[10:11]
	v_cmp_ge_i64_e32 vcc, s[4:5], v[2:3]
	s_lshl_b32 s28, s3, 7
	s_mov_b32 s29, s16
	v_mov_b64_e32 v[2:3], s[8:9]
	v_cmp_lt_i64_e64 s[4:5], s[28:29], v[2:3]
	s_nop 1
	v_cndmask_b32_e64 v1, 0, 1, s[4:5]
	v_cmp_ne_u32_e64 s[4:5], 1, v1
	s_cbranch_vccz .LBB103_48
; %bb.1:
	v_mov_b32_e32 v43, 0
	s_and_b64 vcc, exec, s[4:5]
	v_mov_b32_e32 v42, v43
	s_cbranch_vccnz .LBB103_49
; %bb.2:
	v_mov_b32_e32 v3, 0
	v_bfe_u32 v66, v0, 10, 10
	s_load_dword s3, s[0:1], 0x44
	v_lshlrev_b32_e32 v26, 3, v66
	v_mov_b32_e32 v27, v3
	v_and_b32_e32 v1, 0x3ff, v0
	v_lshl_add_u64 v[4:5], v[26:27], 0, s[28:29]
	v_add_u32_e32 v2, s33, v1
	v_lshl_add_u64 v[6:7], v[4:5], 0, 7
	s_add_u32 s30, s0, 64
	v_cmp_gt_i64_e64 s[6:7], s[10:11], v[2:3]
	v_lshlrev_b64 v[28:29], 1, v[2:3]
	v_mul_lo_u32 v2, s11, v6
	v_mul_lo_u32 v8, s10, v7
	v_mad_u64_u32 v[6:7], s[18:19], s10, v6, 0
	s_addc_u32 s31, s1, 0
	s_waitcnt lgkmcnt(0)
	s_lshl_b32 s3, s3, 7
	v_add3_u32 v7, v7, v8, v2
	v_lshlrev_b64 v[6:7], 1, v[6:7]
	s_mul_i32 s17, s11, s3
	s_mul_hi_u32 s18, s10, s3
	v_lshl_add_u64 v[30:31], s[12:13], 0, v[6:7]
	s_add_i32 s19, s18, s17
	s_mul_i32 s18, s10, s3
	v_lshl_add_u64 v[32:33], s[14:15], 0, v[6:7]
	v_lshl_add_u64 v[6:7], v[4:5], 0, 6
	s_lshl_b64 s[34:35], s[18:19], 1
	v_mul_lo_u32 v2, s11, v6
	v_mul_lo_u32 v8, s10, v7
	v_mad_u64_u32 v[6:7], s[18:19], s10, v6, 0
	v_add3_u32 v7, v7, v8, v2
	v_lshlrev_b64 v[6:7], 1, v[6:7]
	v_lshl_add_u64 v[34:35], s[12:13], 0, v[6:7]
	v_lshl_add_u64 v[36:37], s[14:15], 0, v[6:7]
	v_lshl_add_u64 v[6:7], v[4:5], 0, 5
	v_mul_lo_u32 v2, s11, v6
	v_mul_lo_u32 v8, s10, v7
	v_mad_u64_u32 v[6:7], s[18:19], s10, v6, 0
	v_add3_u32 v7, v7, v8, v2
	v_lshlrev_b64 v[6:7], 1, v[6:7]
	v_lshl_add_u64 v[38:39], s[12:13], 0, v[6:7]
	v_lshl_add_u64 v[40:41], s[14:15], 0, v[6:7]
	v_lshl_add_u64 v[6:7], v[4:5], 0, 4
	;; [unrolled: 8-line block ×4, first 2 shown]
	v_mul_lo_u32 v2, s11, v6
	v_mul_lo_u32 v8, s10, v7
	v_mad_u64_u32 v[6:7], s[18:19], s10, v6, 0
	v_add3_u32 v7, v7, v8, v2
	v_lshlrev_b64 v[6:7], 1, v[6:7]
	v_lshl_add_u64 v[52:53], s[12:13], 0, v[6:7]
	v_lshl_add_u64 v[54:55], s[14:15], 0, v[6:7]
	v_mov_b64_e32 v[6:7], s[10:11]
	v_mad_u64_u32 v[6:7], s[18:19], s10, v4, v[6:7]
	v_mul_lo_u32 v2, s10, v5
	v_mul_lo_u32 v8, s11, v4
	v_mad_u64_u32 v[4:5], s[18:19], s10, v4, 0
	v_add3_u32 v7, v8, v7, v2
	v_add3_u32 v5, v5, v2, v8
	v_mbcnt_lo_u32_b32 v2, -1, 0
	v_mbcnt_hi_u32_b32 v2, -1, v2
	v_lshlrev_b64 v[6:7], 1, v[6:7]
	s_add_u32 s36, s28, 0x7f
	v_lshlrev_b64 v[4:5], 1, v[4:5]
	s_movk_i32 s38, 0xff81
	s_movk_i32 s40, 0xff82
	;; [unrolled: 1-line block ×8, first 2 shown]
	v_lshlrev_b32_e32 v2, 2, v2
	v_lshl_add_u64 v[56:57], s[12:13], 0, v[6:7]
	v_lshl_add_u64 v[58:59], s[14:15], 0, v[6:7]
	s_addc_u32 s37, 0, 0
	v_lshl_add_u64 v[60:61], s[12:13], 0, v[4:5]
	v_lshl_add_u64 v[62:63], s[14:15], 0, v[4:5]
	s_mov_b32 s39, -1
	s_mov_b32 s41, -1
	;; [unrolled: 1-line block ×8, first 2 shown]
	v_and_b32_e32 v67, 0x100, v2
	s_mov_b64 s[54:55], s[28:29]
	v_mov_b32_e32 v42, v3
	v_mov_b32_e32 v43, v3
	s_branch .LBB103_5
.LBB103_3:                              ;   in Loop: Header=BB103_5 Depth=1
	s_or_b64 exec, exec, s[18:19]
	s_waitcnt vmcnt(1)
	ds_bpermute_b32 v2, v67, v69
	ds_bpermute_b32 v4, v67, v69 offset:4
	s_waitcnt vmcnt(0)
	ds_bpermute_b32 v5, v67, v68
	ds_bpermute_b32 v6, v67, v68 offset:4
	ds_bpermute_b32 v8, v67, v68 offset:12
	s_waitcnt lgkmcnt(4)
	v_sub_f32_e32 v2, v10, v2
	v_mul_f32_e32 v2, v18, v2
	s_waitcnt lgkmcnt(3)
	v_sub_f32_e32 v4, v11, v4
	s_waitcnt lgkmcnt(2)
	v_mul_f32_e32 v5, v2, v5
	ds_bpermute_b32 v2, v67, v69 offset:8
	v_mul_f32_e32 v4, v19, v4
	s_waitcnt lgkmcnt(2)
	v_mul_f32_e32 v7, v4, v6
	ds_bpermute_b32 v4, v67, v68 offset:8
	ds_bpermute_b32 v6, v67, v69 offset:12
	s_waitcnt lgkmcnt(2)
	v_sub_f32_e32 v2, v12, v2
	v_mul_f32_e32 v2, v20, v2
	v_mov_b32_e32 v10, v21
	s_waitcnt lgkmcnt(1)
	v_mul_f32_e32 v9, v2, v4
	s_waitcnt lgkmcnt(0)
	v_sub_f32_e32 v2, v13, v6
	ds_bpermute_b32 v4, v67, v69 offset:16
	v_mul_f32_e32 v2, v21, v2
	v_mul_f32_e32 v11, v2, v8
	ds_bpermute_b32 v2, v67, v68 offset:16
	ds_bpermute_b32 v6, v67, v69 offset:20
	;; [unrolled: 1-line block ×3, first 2 shown]
	s_waitcnt lgkmcnt(3)
	v_sub_f32_e32 v4, v14, v4
	v_mul_f32_e32 v4, v22, v4
	s_waitcnt lgkmcnt(2)
	v_mul_f32_e32 v13, v4, v2
	s_waitcnt lgkmcnt(1)
	v_sub_f32_e32 v2, v15, v6
	v_mul_f32_e32 v2, v23, v2
	s_waitcnt lgkmcnt(0)
	v_mul_f32_e32 v15, v2, v8
	v_mov_b32_e32 v4, v18
	ds_bpermute_b32 v2, v67, v69 offset:24
	v_pk_add_f32 v[4:5], v[42:43], v[4:5]
	v_mov_b32_e32 v6, v19
	v_pk_add_f32 v[4:5], v[6:7], v[4:5]
	ds_bpermute_b32 v7, v67, v68 offset:24
	v_mov_b32_e32 v8, v20
	v_pk_add_f32 v[4:5], v[8:9], v[4:5]
	v_mov_b32_e32 v12, v22
	v_pk_add_f32 v[4:5], v[10:11], v[4:5]
	s_waitcnt lgkmcnt(1)
	v_sub_f32_e32 v8, v16, v2
	v_pk_add_f32 v[4:5], v[12:13], v[4:5]
	v_mov_b32_e32 v14, v23
	v_mul_f32_e32 v8, v24, v8
	v_pk_add_f32 v[4:5], v[14:15], v[4:5]
	s_waitcnt lgkmcnt(0)
	v_mul_f32_e32 v9, v8, v7
	v_mov_b32_e32 v8, v24
	ds_bpermute_b32 v2, v67, v68 offset:28
	ds_bpermute_b32 v6, v67, v69 offset:28
	v_pk_add_f32 v[4:5], v[8:9], v[4:5]
.LBB103_4:                              ;   in Loop: Header=BB103_5 Depth=1
	s_waitcnt lgkmcnt(0)
	v_sub_f32_e32 v6, v17, v6
	v_mul_f32_e32 v6, v25, v6
	v_mul_f32_e32 v7, v6, v2
	v_mov_b32_e32 v6, v25
	s_add_u32 s54, s54, s3
	v_pk_add_f32 v[42:43], v[4:5], v[6:7]
	s_addc_u32 s55, s55, 0
	v_mov_b64_e32 v[4:5], s[8:9]
	s_add_u32 s36, s36, s3
	v_cmp_lt_i64_e32 vcc, s[54:55], v[4:5]
	v_lshl_add_u64 v[30:31], v[30:31], 0, s[34:35]
	v_lshl_add_u64 v[32:33], v[32:33], 0, s[34:35]
	;; [unrolled: 1-line block ×14, first 2 shown]
	s_addc_u32 s37, s37, 0
	v_lshl_add_u64 v[60:61], v[60:61], 0, s[34:35]
	v_lshl_add_u64 v[62:63], v[62:63], 0, s[34:35]
	s_cbranch_vccz .LBB103_49
.LBB103_5:                              ; =>This Inner Loop Header: Depth=1
	v_mov_b64_e32 v[4:5], s[8:9]
	v_cmp_ge_i64_e32 vcc, s[36:37], v[4:5]
	v_lshl_add_u64 v[64:65], v[26:27], 0, s[36:37]
	s_cbranch_vccz .LBB103_27
; %bb.6:                                ;   in Loop: Header=BB103_5 Depth=1
	s_load_dword s17, s[30:31], 0xc
	v_mov_b32_e32 v68, 0
	v_mov_b32_e32 v69, 0
	s_waitcnt lgkmcnt(0)
	s_and_b32 s17, s17, 0xffff
	v_mad_u32_u24 v2, v66, s17, v1
	v_and_b32_e32 v2, 63, v2
	v_cmp_gt_u32_e32 vcc, 8, v2
	s_and_saveexec_b64 s[18:19], vcc
	s_cbranch_execz .LBB103_10
; %bb.7:                                ;   in Loop: Header=BB103_5 Depth=1
	v_lshl_add_u64 v[4:5], v[64:65], 0, v[2:3]
	v_lshl_add_u64 v[4:5], v[4:5], 0, s[38:39]
	v_cmp_gt_i64_e32 vcc, s[8:9], v[4:5]
	v_mov_b32_e32 v69, 0
	v_mov_b32_e32 v68, 0
	s_and_saveexec_b64 s[20:21], vcc
	s_cbranch_execz .LBB103_9
; %bb.8:                                ;   in Loop: Header=BB103_5 Depth=1
	v_lshlrev_b64 v[4:5], 2, v[4:5]
	v_lshl_add_u64 v[6:7], s[26:27], 0, v[4:5]
	v_lshl_add_u64 v[4:5], s[24:25], 0, v[4:5]
	global_load_dword v69, v[4:5], off
	global_load_dword v68, v[6:7], off
.LBB103_9:                              ;   in Loop: Header=BB103_5 Depth=1
	s_or_b64 exec, exec, s[20:21]
.LBB103_10:                             ;   in Loop: Header=BB103_5 Depth=1
	s_or_b64 exec, exec, s[18:19]
	s_mov_b32 s17, s16
	s_mov_b32 s18, s16
	;; [unrolled: 1-line block ×7, first 2 shown]
	v_mov_b64_e32 v[10:11], s[16:17]
	v_lshl_add_u64 v[4:5], v[64:65], 0, s[38:39]
	v_mov_b64_e32 v[16:17], s[22:23]
	v_cmp_gt_i64_e32 vcc, s[8:9], v[4:5]
	v_mov_b64_e32 v[12:13], s[18:19]
	v_mov_b64_e32 v[14:15], s[20:21]
	;; [unrolled: 1-line block ×3, first 2 shown]
	s_and_b64 s[56:57], s[6:7], vcc
	v_mov_b64_e32 v[22:23], v[14:15]
	v_mov_b64_e32 v[20:21], v[12:13]
	;; [unrolled: 1-line block ×3, first 2 shown]
	s_and_saveexec_b64 s[18:19], s[56:57]
	s_cbranch_execz .LBB103_12
; %bb.11:                               ;   in Loop: Header=BB103_5 Depth=1
	v_lshl_add_u64 v[4:5], v[60:61], 0, v[28:29]
	global_load_ushort v2, v[4:5], off
	v_lshl_add_u64 v[4:5], v[62:63], 0, v[28:29]
	global_load_ushort v10, v[4:5], off
	v_mov_b32_e32 v8, v3
	v_mov_b32_e32 v9, v3
	;; [unrolled: 1-line block ×13, first 2 shown]
	s_waitcnt vmcnt(1)
	v_lshlrev_b32_e32 v2, 16, v2
	v_mov_b64_e32 v[24:25], v[8:9]
	s_waitcnt vmcnt(0)
	v_lshlrev_b32_e32 v10, 16, v10
	v_mov_b64_e32 v[22:23], v[6:7]
	v_mov_b64_e32 v[20:21], v[4:5]
	;; [unrolled: 1-line block ×3, first 2 shown]
.LBB103_12:                             ;   in Loop: Header=BB103_5 Depth=1
	s_or_b64 exec, exec, s[18:19]
	v_lshl_add_u64 v[4:5], v[64:65], 0, s[40:41]
	v_cmp_gt_i64_e32 vcc, s[8:9], v[4:5]
	s_and_b64 s[20:21], s[6:7], vcc
	s_and_saveexec_b64 s[18:19], s[20:21]
	s_cbranch_execz .LBB103_14
; %bb.13:                               ;   in Loop: Header=BB103_5 Depth=1
	v_lshl_add_u64 v[4:5], v[56:57], 0, v[28:29]
	global_load_ushort v2, v[4:5], off
	v_lshl_add_u64 v[4:5], v[58:59], 0, v[28:29]
	global_load_ushort v4, v[4:5], off
	s_waitcnt vmcnt(1)
	v_lshlrev_b32_e32 v19, 16, v2
	s_waitcnt vmcnt(0)
	v_lshlrev_b32_e32 v11, 16, v4
.LBB103_14:                             ;   in Loop: Header=BB103_5 Depth=1
	s_or_b64 exec, exec, s[18:19]
	v_lshl_add_u64 v[4:5], v[64:65], 0, s[42:43]
	v_cmp_gt_i64_e32 vcc, s[8:9], v[4:5]
	s_and_b64 s[20:21], s[6:7], vcc
	s_and_saveexec_b64 s[18:19], s[20:21]
	s_cbranch_execz .LBB103_16
; %bb.15:                               ;   in Loop: Header=BB103_5 Depth=1
	v_lshl_add_u64 v[4:5], v[52:53], 0, v[28:29]
	global_load_ushort v2, v[4:5], off
	v_lshl_add_u64 v[4:5], v[54:55], 0, v[28:29]
	global_load_ushort v4, v[4:5], off
	s_waitcnt vmcnt(1)
	v_lshlrev_b32_e32 v20, 16, v2
	s_waitcnt vmcnt(0)
	v_lshlrev_b32_e32 v12, 16, v4
.LBB103_16:                             ;   in Loop: Header=BB103_5 Depth=1
	;; [unrolled: 16-line block ×7, first 2 shown]
	s_or_b64 exec, exec, s[18:19]
	s_waitcnt vmcnt(1)
	ds_bpermute_b32 v2, v67, v69
	ds_bpermute_b32 v4, v67, v69 offset:4
	s_waitcnt vmcnt(0)
	ds_bpermute_b32 v5, v67, v68
	ds_bpermute_b32 v6, v67, v68 offset:4
	ds_bpermute_b32 v8, v67, v68 offset:12
	s_waitcnt lgkmcnt(4)
	v_sub_f32_e32 v2, v10, v2
	v_mul_f32_e32 v2, v18, v2
	s_waitcnt lgkmcnt(3)
	v_sub_f32_e32 v4, v11, v4
	s_waitcnt lgkmcnt(2)
	v_mul_f32_e32 v5, v2, v5
	ds_bpermute_b32 v2, v67, v69 offset:8
	v_mul_f32_e32 v4, v19, v4
	s_waitcnt lgkmcnt(2)
	v_mul_f32_e32 v7, v4, v6
	ds_bpermute_b32 v4, v67, v68 offset:8
	ds_bpermute_b32 v6, v67, v69 offset:12
	s_waitcnt lgkmcnt(2)
	v_sub_f32_e32 v2, v12, v2
	v_mul_f32_e32 v2, v20, v2
	v_mov_b32_e32 v10, v21
	s_waitcnt lgkmcnt(1)
	v_mul_f32_e32 v9, v2, v4
	s_waitcnt lgkmcnt(0)
	v_sub_f32_e32 v2, v13, v6
	ds_bpermute_b32 v4, v67, v69 offset:16
	v_mul_f32_e32 v2, v21, v2
	v_mul_f32_e32 v11, v2, v8
	ds_bpermute_b32 v2, v67, v68 offset:16
	ds_bpermute_b32 v6, v67, v69 offset:20
	;; [unrolled: 1-line block ×3, first 2 shown]
	s_waitcnt lgkmcnt(3)
	v_sub_f32_e32 v4, v14, v4
	v_mul_f32_e32 v4, v22, v4
	s_waitcnt lgkmcnt(2)
	v_mul_f32_e32 v13, v4, v2
	s_waitcnt lgkmcnt(1)
	v_sub_f32_e32 v2, v15, v6
	v_mul_f32_e32 v2, v23, v2
	s_waitcnt lgkmcnt(0)
	v_mul_f32_e32 v15, v2, v8
	ds_bpermute_b32 v2, v67, v69 offset:24
	v_mov_b32_e32 v4, v18
	v_pk_add_f32 v[4:5], v[42:43], v[4:5]
	v_mov_b32_e32 v6, v19
	v_pk_add_f32 v[4:5], v[6:7], v[4:5]
	ds_bpermute_b32 v7, v67, v68 offset:24
	v_mov_b32_e32 v8, v20
	s_waitcnt lgkmcnt(1)
	v_sub_f32_e32 v2, v16, v2
	v_pk_add_f32 v[4:5], v[8:9], v[4:5]
	v_mul_f32_e32 v8, v24, v2
	ds_bpermute_b32 v2, v67, v68 offset:28
	ds_bpermute_b32 v6, v67, v69 offset:28
	v_pk_add_f32 v[4:5], v[10:11], v[4:5]
	v_mov_b32_e32 v12, v22
	v_pk_add_f32 v[4:5], v[12:13], v[4:5]
	v_mov_b32_e32 v14, v23
	v_pk_add_f32 v[4:5], v[14:15], v[4:5]
	s_waitcnt lgkmcnt(2)
	v_mul_f32_e32 v9, v8, v7
	v_mov_b32_e32 v8, v24
	v_pk_add_f32 v[4:5], v[8:9], v[4:5]
	s_branch .LBB103_4
.LBB103_27:                             ;   in Loop: Header=BB103_5 Depth=1
                                        ; implicit-def: $vgpr4_vgpr5
                                        ; implicit-def: $vgpr2
                                        ; implicit-def: $vgpr10_vgpr11_vgpr12_vgpr13_vgpr14_vgpr15_vgpr16_vgpr17
                                        ; implicit-def: $vgpr18_vgpr19_vgpr20_vgpr21_vgpr22_vgpr23_vgpr24_vgpr25
                                        ; implicit-def: $vgpr6
	s_cbranch_execz .LBB103_4
; %bb.28:                               ;   in Loop: Header=BB103_5 Depth=1
	s_load_dword s17, s[30:31], 0x0
	v_mov_b32_e32 v68, 0
	v_mov_b32_e32 v69, 0
	s_waitcnt lgkmcnt(0)
	s_cmp_lt_u32 s2, s17
	s_cselect_b32 s17, 12, 18
	s_add_u32 s18, s30, s17
	s_addc_u32 s19, s31, 0
	global_load_ushort v2, v3, s[18:19]
	s_waitcnt vmcnt(0)
	v_mad_u32_u24 v2, v66, v2, v1
	v_and_b32_e32 v2, 63, v2
	v_cmp_gt_u32_e32 vcc, 8, v2
	s_and_saveexec_b64 s[18:19], vcc
	s_cbranch_execz .LBB103_32
; %bb.29:                               ;   in Loop: Header=BB103_5 Depth=1
	v_lshl_add_u64 v[4:5], v[64:65], 0, v[2:3]
	v_lshl_add_u64 v[4:5], v[4:5], 0, s[38:39]
	v_cmp_gt_i64_e32 vcc, s[8:9], v[4:5]
	v_mov_b32_e32 v69, 0
	v_mov_b32_e32 v68, 0
	s_and_saveexec_b64 s[20:21], vcc
	s_cbranch_execz .LBB103_31
; %bb.30:                               ;   in Loop: Header=BB103_5 Depth=1
	v_lshlrev_b64 v[4:5], 2, v[4:5]
	v_lshl_add_u64 v[6:7], s[26:27], 0, v[4:5]
	v_lshl_add_u64 v[4:5], s[24:25], 0, v[4:5]
	global_load_dword v69, v[4:5], off
	global_load_dword v68, v[6:7], off
.LBB103_31:                             ;   in Loop: Header=BB103_5 Depth=1
	s_or_b64 exec, exec, s[20:21]
.LBB103_32:                             ;   in Loop: Header=BB103_5 Depth=1
	s_or_b64 exec, exec, s[18:19]
	s_mov_b32 s17, s16
	s_mov_b32 s18, s16
	;; [unrolled: 1-line block ×7, first 2 shown]
	v_mov_b64_e32 v[10:11], s[16:17]
	v_mov_b64_e32 v[16:17], s[22:23]
	;; [unrolled: 1-line block ×8, first 2 shown]
	s_and_saveexec_b64 s[18:19], s[6:7]
	s_cbranch_execnz .LBB103_40
; %bb.33:                               ;   in Loop: Header=BB103_5 Depth=1
	s_or_b64 exec, exec, s[18:19]
	s_and_saveexec_b64 s[18:19], s[6:7]
	s_cbranch_execnz .LBB103_41
.LBB103_34:                             ;   in Loop: Header=BB103_5 Depth=1
	s_or_b64 exec, exec, s[18:19]
	s_and_saveexec_b64 s[18:19], s[6:7]
	s_cbranch_execnz .LBB103_42
.LBB103_35:                             ;   in Loop: Header=BB103_5 Depth=1
	s_or_b64 exec, exec, s[18:19]
	s_and_saveexec_b64 s[18:19], s[6:7]
	s_cbranch_execnz .LBB103_43
.LBB103_36:                             ;   in Loop: Header=BB103_5 Depth=1
	s_or_b64 exec, exec, s[18:19]
	s_and_saveexec_b64 s[18:19], s[6:7]
	s_cbranch_execnz .LBB103_44
.LBB103_37:                             ;   in Loop: Header=BB103_5 Depth=1
	s_or_b64 exec, exec, s[18:19]
	s_and_saveexec_b64 s[18:19], s[6:7]
	s_cbranch_execnz .LBB103_45
.LBB103_38:                             ;   in Loop: Header=BB103_5 Depth=1
	s_or_b64 exec, exec, s[18:19]
	s_and_saveexec_b64 s[18:19], s[6:7]
	s_cbranch_execnz .LBB103_46
.LBB103_39:                             ;   in Loop: Header=BB103_5 Depth=1
	s_or_b64 exec, exec, s[18:19]
	s_and_saveexec_b64 s[18:19], s[6:7]
	s_cbranch_execz .LBB103_3
	s_branch .LBB103_47
.LBB103_40:                             ;   in Loop: Header=BB103_5 Depth=1
	v_lshl_add_u64 v[4:5], v[60:61], 0, v[28:29]
	global_load_ushort v2, v[4:5], off
	v_lshl_add_u64 v[4:5], v[62:63], 0, v[28:29]
	global_load_ushort v10, v[4:5], off
	v_mov_b32_e32 v8, v3
	v_mov_b32_e32 v9, v3
	;; [unrolled: 1-line block ×13, first 2 shown]
	s_waitcnt vmcnt(1)
	v_lshlrev_b32_e32 v2, 16, v2
	v_mov_b64_e32 v[24:25], v[8:9]
	s_waitcnt vmcnt(0)
	v_lshlrev_b32_e32 v10, 16, v10
	v_mov_b64_e32 v[22:23], v[6:7]
	v_mov_b64_e32 v[20:21], v[4:5]
	;; [unrolled: 1-line block ×3, first 2 shown]
	s_or_b64 exec, exec, s[18:19]
	s_and_saveexec_b64 s[18:19], s[6:7]
	s_cbranch_execz .LBB103_34
.LBB103_41:                             ;   in Loop: Header=BB103_5 Depth=1
	v_lshl_add_u64 v[4:5], v[56:57], 0, v[28:29]
	global_load_ushort v2, v[4:5], off
	v_lshl_add_u64 v[4:5], v[58:59], 0, v[28:29]
	global_load_ushort v4, v[4:5], off
	s_waitcnt vmcnt(1)
	v_lshlrev_b32_e32 v19, 16, v2
	s_waitcnt vmcnt(0)
	v_lshlrev_b32_e32 v11, 16, v4
	s_or_b64 exec, exec, s[18:19]
	s_and_saveexec_b64 s[18:19], s[6:7]
	s_cbranch_execz .LBB103_35
.LBB103_42:                             ;   in Loop: Header=BB103_5 Depth=1
	v_lshl_add_u64 v[4:5], v[52:53], 0, v[28:29]
	global_load_ushort v2, v[4:5], off
	v_lshl_add_u64 v[4:5], v[54:55], 0, v[28:29]
	global_load_ushort v4, v[4:5], off
	s_waitcnt vmcnt(1)
	v_lshlrev_b32_e32 v20, 16, v2
	s_waitcnt vmcnt(0)
	v_lshlrev_b32_e32 v12, 16, v4
	s_or_b64 exec, exec, s[18:19]
	s_and_saveexec_b64 s[18:19], s[6:7]
	s_cbranch_execz .LBB103_36
.LBB103_43:                             ;   in Loop: Header=BB103_5 Depth=1
	v_lshl_add_u64 v[4:5], v[48:49], 0, v[28:29]
	global_load_ushort v2, v[4:5], off
	v_lshl_add_u64 v[4:5], v[50:51], 0, v[28:29]
	global_load_ushort v4, v[4:5], off
	s_waitcnt vmcnt(1)
	v_lshlrev_b32_e32 v21, 16, v2
	s_waitcnt vmcnt(0)
	v_lshlrev_b32_e32 v13, 16, v4
	s_or_b64 exec, exec, s[18:19]
	s_and_saveexec_b64 s[18:19], s[6:7]
	s_cbranch_execz .LBB103_37
.LBB103_44:                             ;   in Loop: Header=BB103_5 Depth=1
	v_lshl_add_u64 v[4:5], v[44:45], 0, v[28:29]
	global_load_ushort v2, v[4:5], off
	v_lshl_add_u64 v[4:5], v[46:47], 0, v[28:29]
	global_load_ushort v4, v[4:5], off
	s_waitcnt vmcnt(1)
	v_lshlrev_b32_e32 v22, 16, v2
	s_waitcnt vmcnt(0)
	v_lshlrev_b32_e32 v14, 16, v4
	s_or_b64 exec, exec, s[18:19]
	s_and_saveexec_b64 s[18:19], s[6:7]
	s_cbranch_execz .LBB103_38
.LBB103_45:                             ;   in Loop: Header=BB103_5 Depth=1
	v_lshl_add_u64 v[4:5], v[38:39], 0, v[28:29]
	global_load_ushort v2, v[4:5], off
	v_lshl_add_u64 v[4:5], v[40:41], 0, v[28:29]
	global_load_ushort v4, v[4:5], off
	s_waitcnt vmcnt(1)
	v_lshlrev_b32_e32 v23, 16, v2
	s_waitcnt vmcnt(0)
	v_lshlrev_b32_e32 v15, 16, v4
	s_or_b64 exec, exec, s[18:19]
	s_and_saveexec_b64 s[18:19], s[6:7]
	s_cbranch_execz .LBB103_39
.LBB103_46:                             ;   in Loop: Header=BB103_5 Depth=1
	v_lshl_add_u64 v[4:5], v[34:35], 0, v[28:29]
	global_load_ushort v2, v[4:5], off
	v_lshl_add_u64 v[4:5], v[36:37], 0, v[28:29]
	global_load_ushort v4, v[4:5], off
	s_waitcnt vmcnt(1)
	v_lshlrev_b32_e32 v24, 16, v2
	s_waitcnt vmcnt(0)
	v_lshlrev_b32_e32 v16, 16, v4
	s_or_b64 exec, exec, s[18:19]
	s_and_saveexec_b64 s[18:19], s[6:7]
	s_cbranch_execz .LBB103_3
.LBB103_47:                             ;   in Loop: Header=BB103_5 Depth=1
	v_lshl_add_u64 v[4:5], v[30:31], 0, v[28:29]
	global_load_ushort v2, v[4:5], off
	v_lshl_add_u64 v[4:5], v[32:33], 0, v[28:29]
	global_load_ushort v4, v[4:5], off
	s_waitcnt vmcnt(1)
	v_lshlrev_b32_e32 v25, 16, v2
	s_waitcnt vmcnt(0)
	v_lshlrev_b32_e32 v17, 16, v4
	s_branch .LBB103_3
.LBB103_48:
                                        ; implicit-def: $vgpr43
	s_branch .LBB103_50
.LBB103_49:
	s_cbranch_execnz .LBB103_81
.LBB103_50:
	v_mov_b32_e32 v43, 0
	s_mov_b32 s16, 0
	s_and_b64 vcc, exec, s[4:5]
	v_mov_b32_e32 v42, v43
	s_cbranch_vccnz .LBB103_81
; %bb.51:
	v_and_b32_e32 v1, 0x3ff, v0
	v_add_u32_e32 v2, s33, v1
	v_mov_b32_e32 v3, 0
	v_bfe_u32 v96, v0, 10, 10
	v_lshlrev_b64 v[28:29], 1, v[2:3]
	v_lshlrev_b32_e32 v2, 4, v96
	v_lshl_add_u64 v[4:5], s[28:29], 1, v[2:3]
	v_lshl_add_u64 v[6:7], v[4:5], 0, 2
	v_mov_b64_e32 v[8:9], s[12:13]
	v_lshl_add_u64 v[10:11], v[4:5], 0, 4
	v_lshl_add_u64 v[12:13], v[4:5], 0, 6
	;; [unrolled: 1-line block ×6, first 2 shown]
	v_mad_u64_u32 v[30:31], s[4:5], s10, v6, v[8:9]
	v_mad_u64_u32 v[32:33], s[4:5], s10, v10, v[8:9]
	;; [unrolled: 1-line block ×7, first 2 shown]
	v_mov_b64_e32 v[8:9], s[14:15]
	v_lshlrev_b32_e32 v26, 3, v96
	v_mov_b32_e32 v27, v3
	v_mul_lo_u32 v2, s10, v7
	v_mul_lo_u32 v7, s11, v6
	v_mad_u64_u32 v[46:47], s[4:5], s10, v6, v[8:9]
	v_add3_u32 v31, v7, v31, v2
	v_mul_lo_u32 v5, s10, v5
	v_mul_lo_u32 v25, s11, v4
	v_add3_u32 v47, v7, v47, v2
	v_lshl_add_u64 v[6:7], v[26:27], 0, s[28:29]
	v_mad_u64_u32 v[58:59], s[4:5], s10, v4, v[8:9]
	v_add3_u32 v45, v25, v45, v5
	v_add3_u32 v59, v25, v59, v5
	v_lshl_add_u64 v[4:5], v[6:7], 0, 7
	v_mad_u64_u32 v[48:49], s[4:5], s10, v10, v[8:9]
	v_mad_u64_u32 v[50:51], s[4:5], s10, v12, v[8:9]
	v_mad_u64_u32 v[52:53], s[4:5], s10, v14, v[8:9]
	v_mad_u64_u32 v[54:55], s[4:5], s10, v16, v[8:9]
	v_mad_u64_u32 v[56:57], s[4:5], s10, v18, v[8:9]
	v_mul_lo_u32 v8, s11, v4
	v_mul_lo_u32 v9, s10, v5
	v_mad_u64_u32 v[4:5], s[4:5], s10, v4, 0
	v_mul_lo_u32 v11, s10, v11
	v_mul_lo_u32 v20, s11, v10
	v_add3_u32 v5, v5, v9, v8
	v_lshl_add_u64 v[8:9], v[6:7], 0, 6
	v_add3_u32 v33, v20, v33, v11
	v_add3_u32 v49, v20, v49, v11
	v_mul_lo_u32 v10, s11, v8
	v_mul_lo_u32 v11, s10, v9
	v_mad_u64_u32 v[8:9], s[4:5], s10, v8, 0
	v_mul_lo_u32 v13, s10, v13
	v_mul_lo_u32 v21, s11, v12
	v_add3_u32 v9, v9, v11, v10
	v_lshl_add_u64 v[10:11], v[6:7], 0, 5
	v_add3_u32 v35, v21, v35, v13
	v_add3_u32 v51, v21, v51, v13
	;; [unrolled: 9-line block ×4, first 2 shown]
	v_mul_lo_u32 v16, s11, v14
	v_mul_lo_u32 v17, s10, v15
	v_mad_u64_u32 v[14:15], s[4:5], s10, v14, 0
	v_mul_lo_u32 v19, s10, v19
	v_mul_lo_u32 v24, s11, v18
	v_add3_u32 v15, v15, v17, v16
	v_lshl_add_u64 v[16:17], v[6:7], 0, 2
	s_load_dword s3, s[0:1], 0x44
	v_lshlrev_b64 v[4:5], 1, v[4:5]
	v_add3_u32 v41, v24, v41, v19
	v_add3_u32 v57, v24, v57, v19
	v_mul_lo_u32 v18, s11, v16
	v_mul_lo_u32 v19, s10, v17
	v_mad_u64_u32 v[16:17], s[4:5], s10, v16, 0
	v_lshl_add_u64 v[64:65], s[12:13], 0, v[4:5]
	v_lshl_add_u64 v[66:67], s[14:15], 0, v[4:5]
	v_lshlrev_b64 v[4:5], 1, v[8:9]
	v_add3_u32 v17, v17, v19, v18
	v_mov_b64_e32 v[18:19], s[10:11]
	v_lshl_add_u64 v[68:69], s[12:13], 0, v[4:5]
	v_lshl_add_u64 v[70:71], s[14:15], 0, v[4:5]
	v_lshlrev_b64 v[4:5], 1, v[10:11]
	v_mul_lo_u32 v2, s11, v6
	v_mad_u64_u32 v[18:19], s[4:5], s10, v6, v[18:19]
	v_mul_lo_u32 v20, s10, v7
	v_mad_u64_u32 v[6:7], s[4:5], s10, v6, 0
	v_lshl_add_u64 v[72:73], s[12:13], 0, v[4:5]
	v_lshl_add_u64 v[74:75], s[14:15], 0, v[4:5]
	v_lshlrev_b64 v[4:5], 1, v[12:13]
	s_add_u32 s4, s0, 64
	v_lshl_add_u64 v[76:77], s[12:13], 0, v[4:5]
	v_lshl_add_u64 v[78:79], s[14:15], 0, v[4:5]
	v_lshlrev_b64 v[4:5], 1, v[14:15]
	v_add3_u32 v7, v7, v20, v2
	v_add3_u32 v19, v2, v19, v20
	s_addc_u32 s5, s1, 0
	s_waitcnt lgkmcnt(0)
	s_lshl_b32 s3, s3, 7
	v_lshl_add_u64 v[80:81], s[12:13], 0, v[4:5]
	v_lshl_add_u64 v[82:83], s[14:15], 0, v[4:5]
	v_lshlrev_b64 v[4:5], 1, v[16:17]
	v_mbcnt_lo_u32_b32 v2, -1, 0
	s_add_u32 s6, s28, 0x7f
	s_mul_i32 s17, s11, s3
	s_mul_hi_u32 s18, s10, s3
	v_lshlrev_b64 v[6:7], 1, v[6:7]
	v_lshl_add_u64 v[84:85], s[12:13], 0, v[4:5]
	v_lshl_add_u64 v[86:87], s[14:15], 0, v[4:5]
	v_lshlrev_b64 v[4:5], 1, v[18:19]
	v_mbcnt_hi_u32_b32 v2, -1, v2
	s_addc_u32 s7, 0, 0
	s_add_i32 s19, s18, s17
	s_mul_i32 s18, s10, s3
	v_lshl_add_u64 v[60:61], s[12:13], 0, v[6:7]
	v_lshl_add_u64 v[62:63], s[14:15], 0, v[6:7]
	v_lshl_add_u64 v[88:89], s[12:13], 0, v[4:5]
	v_lshl_add_u64 v[90:91], s[14:15], 0, v[4:5]
	s_movk_i32 s12, 0xff81
	s_movk_i32 s14, 0xff82
	;; [unrolled: 1-line block ×8, first 2 shown]
	v_lshlrev_b32_e32 v2, 2, v2
	s_lshl_b64 s[30:31], s[18:19], 1
	s_mov_b32 s13, -1
	s_mov_b32 s15, -1
	;; [unrolled: 1-line block ×8, first 2 shown]
	v_and_b32_e32 v97, 0x100, v2
	v_mov_b32_e32 v42, v3
	v_mov_b32_e32 v43, v3
	s_branch .LBB103_55
.LBB103_52:                             ;   in Loop: Header=BB103_55 Depth=1
	s_or_b64 exec, exec, s[20:21]
.LBB103_53:                             ;   in Loop: Header=BB103_55 Depth=1
	s_or_b64 exec, exec, s[18:19]
	v_lshl_add_u64 v[4:5], v[60:61], 0, v[28:29]
	global_load_ushort v2, v[4:5], off
	v_lshl_add_u64 v[4:5], v[62:63], 0, v[28:29]
	global_load_ushort v8, v[4:5], off
	;; [unrolled: 2-line block ×16, first 2 shown]
	s_waitcnt vmcnt(17)
	ds_bpermute_b32 v23, v97, v7
	ds_bpermute_b32 v25, v97, v7 offset:4
	s_waitcnt vmcnt(16)
	ds_bpermute_b32 v22, v97, v6
	ds_bpermute_b32 v43, v97, v7 offset:8
	ds_bpermute_b32 v95, v97, v7 offset:12
	;; [unrolled: 1-line block ×13, first 2 shown]
	s_waitcnt vmcnt(15)
	v_lshlrev_b32_e32 v4, 16, v2
	s_waitcnt vmcnt(14)
	v_lshlrev_b32_e32 v2, 16, v8
	s_waitcnt lgkmcnt(14)
	v_sub_f32_e32 v2, v2, v23
	s_waitcnt vmcnt(13)
	v_lshlrev_b32_e32 v6, 16, v9
	v_mul_f32_e32 v2, v2, v4
	s_waitcnt vmcnt(12)
	v_lshlrev_b32_e32 v7, 16, v10
	s_waitcnt vmcnt(11)
	v_lshlrev_b32_e32 v8, 16, v11
	;; [unrolled: 2-line block ×13, first 2 shown]
	v_sub_f32_e32 v5, v7, v25
	s_waitcnt lgkmcnt(12)
	v_sub_f32_e32 v7, v9, v43
	s_waitcnt lgkmcnt(11)
	;; [unrolled: 2-line block ×5, first 2 shown]
	v_sub_f32_e32 v15, v17, v103
	v_mul_f32_e32 v17, v5, v6
	v_mul_f32_e32 v5, v2, v22
	;; [unrolled: 1-line block ×3, first 2 shown]
	s_waitcnt lgkmcnt(7)
	v_mul_f32_e32 v7, v17, v24
	v_pk_add_f32 v[4:5], v[92:93], v[4:5]
	v_mul_f32_e32 v21, v9, v10
	s_waitcnt lgkmcnt(6)
	v_mul_f32_e32 v9, v20, v42
	v_pk_add_f32 v[4:5], v[4:5], v[6:7]
	v_mul_f32_e32 v23, v11, v12
	;; [unrolled: 4-line block ×4, first 2 shown]
	s_waitcnt lgkmcnt(2)
	v_mul_f32_e32 v15, v25, v100
	v_pk_add_f32 v[4:5], v[4:5], v[12:13]
	v_sub_f32_e32 v2, v19, v105
	s_waitcnt lgkmcnt(1)
	v_mul_f32_e32 v17, v43, v102
	v_pk_add_f32 v[4:5], v[4:5], v[14:15]
	v_mul_f32_e32 v2, v2, v18
	v_pk_add_f32 v[4:5], v[4:5], v[16:17]
	s_waitcnt lgkmcnt(0)
	v_mul_f32_e32 v19, v2, v104
	v_pk_add_f32 v[42:43], v[4:5], v[18:19]
.LBB103_54:                             ;   in Loop: Header=BB103_55 Depth=1
	s_add_u32 s28, s28, s3
	s_addc_u32 s29, s29, 0
	v_mov_b64_e32 v[4:5], s[8:9]
	s_add_u32 s6, s6, s3
	v_cmp_ge_i64_e32 vcc, s[28:29], v[4:5]
	s_addc_u32 s7, s7, 0
	v_lshl_add_u64 v[30:31], v[30:31], 0, s[30:31]
	v_lshl_add_u64 v[32:33], v[32:33], 0, s[30:31]
	;; [unrolled: 1-line block ×30, first 2 shown]
	s_cbranch_vccnz .LBB103_81
.LBB103_55:                             ; =>This Inner Loop Header: Depth=1
	v_mov_b64_e32 v[4:5], s[8:9]
	v_cmp_ge_i64_e32 vcc, s[6:7], v[4:5]
	v_mov_b32_e32 v92, v42
	v_mov_b32_e32 v93, v43
	v_lshl_add_u64 v[94:95], v[26:27], 0, s[6:7]
	s_cbranch_vccz .LBB103_77
; %bb.56:                               ;   in Loop: Header=BB103_55 Depth=1
	s_load_dword s17, s[4:5], 0xc
	v_mov_b32_e32 v42, 0
	v_mov_b32_e32 v43, 0
	s_waitcnt lgkmcnt(0)
	s_and_b32 s17, s17, 0xffff
	v_mad_u32_u24 v2, v96, s17, v1
	v_and_b32_e32 v2, 63, v2
	v_cmp_gt_u32_e32 vcc, 8, v2
	s_and_saveexec_b64 s[18:19], vcc
	s_cbranch_execz .LBB103_60
; %bb.57:                               ;   in Loop: Header=BB103_55 Depth=1
	v_lshl_add_u64 v[4:5], v[94:95], 0, v[2:3]
	v_lshl_add_u64 v[4:5], v[4:5], 0, s[12:13]
	v_cmp_gt_i64_e32 vcc, s[8:9], v[4:5]
	v_mov_b32_e32 v43, 0
	v_mov_b32_e32 v42, 0
	s_and_saveexec_b64 s[20:21], vcc
	s_cbranch_execz .LBB103_59
; %bb.58:                               ;   in Loop: Header=BB103_55 Depth=1
	v_lshlrev_b64 v[4:5], 2, v[4:5]
	v_lshl_add_u64 v[6:7], s[26:27], 0, v[4:5]
	v_lshl_add_u64 v[4:5], s[24:25], 0, v[4:5]
	global_load_dword v43, v[4:5], off
	global_load_dword v42, v[6:7], off
.LBB103_59:                             ;   in Loop: Header=BB103_55 Depth=1
	s_or_b64 exec, exec, s[20:21]
.LBB103_60:                             ;   in Loop: Header=BB103_55 Depth=1
	s_or_b64 exec, exec, s[18:19]
	s_mov_b32 s17, s16
	s_mov_b32 s18, s16
	;; [unrolled: 1-line block ×7, first 2 shown]
	v_mov_b64_e32 v[10:11], s[16:17]
	v_mov_b64_e32 v[16:17], s[22:23]
	v_lshl_add_u64 v[4:5], v[94:95], 0, s[12:13]
	v_mov_b64_e32 v[12:13], s[18:19]
	v_mov_b64_e32 v[14:15], s[20:21]
	;; [unrolled: 1-line block ×3, first 2 shown]
	v_cmp_gt_i64_e32 vcc, s[8:9], v[4:5]
	v_mov_b64_e32 v[22:23], v[14:15]
	v_mov_b64_e32 v[20:21], v[12:13]
	;; [unrolled: 1-line block ×3, first 2 shown]
	s_and_saveexec_b64 s[18:19], vcc
	s_cbranch_execz .LBB103_62
; %bb.61:                               ;   in Loop: Header=BB103_55 Depth=1
	v_lshl_add_u64 v[4:5], v[60:61], 0, v[28:29]
	global_load_ushort v2, v[4:5], off
	v_lshl_add_u64 v[4:5], v[62:63], 0, v[28:29]
	global_load_ushort v10, v[4:5], off
	v_mov_b32_e32 v8, v3
	v_mov_b32_e32 v9, v3
	;; [unrolled: 1-line block ×13, first 2 shown]
	s_waitcnt vmcnt(1)
	v_lshlrev_b32_e32 v2, 16, v2
	v_mov_b64_e32 v[24:25], v[8:9]
	s_waitcnt vmcnt(0)
	v_lshlrev_b32_e32 v10, 16, v10
	v_mov_b64_e32 v[22:23], v[6:7]
	v_mov_b64_e32 v[20:21], v[4:5]
	;; [unrolled: 1-line block ×3, first 2 shown]
.LBB103_62:                             ;   in Loop: Header=BB103_55 Depth=1
	s_or_b64 exec, exec, s[18:19]
	v_lshl_add_u64 v[4:5], v[94:95], 0, s[14:15]
	v_cmp_gt_i64_e32 vcc, s[8:9], v[4:5]
	s_and_saveexec_b64 s[18:19], vcc
	s_cbranch_execz .LBB103_64
; %bb.63:                               ;   in Loop: Header=BB103_55 Depth=1
	v_lshl_add_u64 v[4:5], v[88:89], 0, v[28:29]
	global_load_ushort v2, v[4:5], off
	v_lshl_add_u64 v[4:5], v[90:91], 0, v[28:29]
	global_load_ushort v4, v[4:5], off
	s_waitcnt vmcnt(1)
	v_lshlrev_b32_e32 v19, 16, v2
	s_waitcnt vmcnt(0)
	v_lshlrev_b32_e32 v11, 16, v4
.LBB103_64:                             ;   in Loop: Header=BB103_55 Depth=1
	s_or_b64 exec, exec, s[18:19]
	v_lshl_add_u64 v[4:5], v[94:95], 0, s[34:35]
	v_cmp_gt_i64_e32 vcc, s[8:9], v[4:5]
	s_and_saveexec_b64 s[18:19], vcc
	s_cbranch_execz .LBB103_66
; %bb.65:                               ;   in Loop: Header=BB103_55 Depth=1
	v_lshl_add_u64 v[4:5], v[84:85], 0, v[28:29]
	global_load_ushort v2, v[4:5], off
	v_lshl_add_u64 v[4:5], v[86:87], 0, v[28:29]
	global_load_ushort v4, v[4:5], off
	s_waitcnt vmcnt(1)
	v_lshlrev_b32_e32 v20, 16, v2
	s_waitcnt vmcnt(0)
	v_lshlrev_b32_e32 v12, 16, v4
.LBB103_66:                             ;   in Loop: Header=BB103_55 Depth=1
	;; [unrolled: 15-line block ×7, first 2 shown]
	s_or_b64 exec, exec, s[18:19]
	s_waitcnt vmcnt(1)
	ds_bpermute_b32 v2, v97, v43
	s_waitcnt vmcnt(0)
	ds_bpermute_b32 v4, v97, v42
	ds_bpermute_b32 v7, v97, v43 offset:4
	ds_bpermute_b32 v6, v97, v42 offset:4
	;; [unrolled: 1-line block ×3, first 2 shown]
	s_waitcnt lgkmcnt(4)
	v_sub_f32_e32 v2, v10, v2
	v_mul_f32_e32 v2, v18, v2
	s_waitcnt lgkmcnt(3)
	v_mul_f32_e32 v5, v2, v4
	ds_bpermute_b32 v4, v97, v42 offset:8
	s_waitcnt lgkmcnt(3)
	v_sub_f32_e32 v2, v11, v7
	v_mul_f32_e32 v2, v19, v2
	s_waitcnt lgkmcnt(2)
	v_mul_f32_e32 v7, v2, v6
	s_waitcnt lgkmcnt(1)
	v_sub_f32_e32 v2, v12, v8
	ds_bpermute_b32 v6, v97, v43 offset:12
	v_mul_f32_e32 v2, v20, v2
	s_waitcnt lgkmcnt(1)
	v_mul_f32_e32 v9, v2, v4
	ds_bpermute_b32 v2, v97, v42 offset:12
	ds_bpermute_b32 v4, v97, v43 offset:16
	;; [unrolled: 1-line block ×3, first 2 shown]
	s_waitcnt lgkmcnt(3)
	v_sub_f32_e32 v6, v13, v6
	v_mul_f32_e32 v6, v21, v6
	s_waitcnt lgkmcnt(2)
	v_mul_f32_e32 v11, v6, v2
	s_waitcnt lgkmcnt(1)
	v_sub_f32_e32 v2, v14, v4
	ds_bpermute_b32 v4, v97, v43 offset:20
	v_mul_f32_e32 v2, v22, v2
	s_waitcnt lgkmcnt(1)
	v_mul_f32_e32 v13, v2, v8
	ds_bpermute_b32 v2, v97, v42 offset:20
	ds_bpermute_b32 v6, v97, v43 offset:24
	;; [unrolled: 1-line block ×3, first 2 shown]
	s_waitcnt lgkmcnt(3)
	v_sub_f32_e32 v4, v15, v4
	v_mul_f32_e32 v4, v23, v4
	s_waitcnt lgkmcnt(2)
	v_mul_f32_e32 v15, v4, v2
	s_waitcnt lgkmcnt(1)
	v_sub_f32_e32 v2, v16, v6
	v_mul_f32_e32 v2, v24, v2
	s_waitcnt lgkmcnt(0)
	v_mul_f32_e32 v99, v2, v8
	v_mov_b32_e32 v4, v18
	ds_bpermute_b32 v2, v97, v43 offset:28
	v_pk_add_f32 v[4:5], v[92:93], v[4:5]
	v_mov_b32_e32 v6, v19
	v_pk_add_f32 v[4:5], v[6:7], v[4:5]
	v_mov_b32_e32 v8, v20
	ds_bpermute_b32 v6, v97, v42 offset:28
	v_pk_add_f32 v[4:5], v[8:9], v[4:5]
	v_mov_b32_e32 v10, v21
	v_pk_add_f32 v[4:5], v[10:11], v[4:5]
	v_mov_b32_e32 v12, v22
	;; [unrolled: 2-line block ×3, first 2 shown]
	s_waitcnt lgkmcnt(1)
	v_sub_f32_e32 v2, v17, v2
	v_pk_add_f32 v[4:5], v[14:15], v[4:5]
	v_mov_b32_e32 v98, v24
	v_mul_f32_e32 v2, v25, v2
	v_pk_add_f32 v[4:5], v[98:99], v[4:5]
	s_waitcnt lgkmcnt(0)
	v_mul_f32_e32 v7, v2, v6
	v_mov_b32_e32 v6, v25
	v_pk_add_f32 v[42:43], v[6:7], v[4:5]
	s_branch .LBB103_54
.LBB103_77:                             ;   in Loop: Header=BB103_55 Depth=1
                                        ; implicit-def: $vgpr43
	s_cbranch_execz .LBB103_54
; %bb.78:                               ;   in Loop: Header=BB103_55 Depth=1
	s_load_dword s17, s[4:5], 0x0
	v_mov_b32_e32 v6, 0
	v_mov_b32_e32 v7, 0
	s_waitcnt lgkmcnt(0)
	s_cmp_lt_u32 s2, s17
	s_cselect_b32 s17, 12, 18
	s_add_u32 s18, s4, s17
	s_addc_u32 s19, s5, 0
	global_load_ushort v2, v3, s[18:19]
	s_waitcnt vmcnt(0)
	v_mad_u32_u24 v2, v96, v2, v1
	v_and_b32_e32 v2, 63, v2
	v_cmp_gt_u32_e32 vcc, 8, v2
	s_and_saveexec_b64 s[18:19], vcc
	s_cbranch_execz .LBB103_53
; %bb.79:                               ;   in Loop: Header=BB103_55 Depth=1
	v_lshl_add_u64 v[4:5], v[94:95], 0, v[2:3]
	v_lshl_add_u64 v[4:5], v[4:5], 0, s[12:13]
	v_cmp_gt_i64_e32 vcc, s[8:9], v[4:5]
	v_mov_b32_e32 v7, 0
	v_mov_b32_e32 v6, 0
	s_and_saveexec_b64 s[20:21], vcc
	s_cbranch_execz .LBB103_52
; %bb.80:                               ;   in Loop: Header=BB103_55 Depth=1
	v_lshlrev_b64 v[4:5], 2, v[4:5]
	v_lshl_add_u64 v[8:9], s[26:27], 0, v[4:5]
	v_lshl_add_u64 v[4:5], s[24:25], 0, v[4:5]
	global_load_dword v7, v[4:5], off
	global_load_dword v6, v[8:9], off
	s_branch .LBB103_52
.LBB103_81:
	v_bfe_u32 v6, v0, 10, 10
	v_and_b32_e32 v0, 0x3ff, v0
	s_movk_i32 s3, 0x41
	v_mad_u32_u24 v1, v6, s3, v0
	v_lshl_add_u32 v1, v1, 2, 0
	v_lshrrev_b32_e32 v8, 6, v0
	ds_write_b32 v1, v43
	ds_write_b32 v1, v42 offset:4160
	v_add_u32_e32 v1, v8, v6
	s_mov_b32 s3, 0
	v_cmp_gt_u32_e32 vcc, 64, v1
	s_waitcnt lgkmcnt(0)
	s_barrier
	s_and_saveexec_b64 s[4:5], vcc
	s_cbranch_execz .LBB103_91
; %bb.82:
	v_and_b32_e32 v1, 63, v0
	s_load_dwordx4 s[4:7], s[0:1], 0x30
	v_cmp_gt_u32_e64 s[0:1], 16, v1
	v_mul_u32_u24_e32 v14, 0x41, v1
	v_mbcnt_lo_u32_b32 v1, -1, 0
	v_mbcnt_hi_u32_b32 v1, -1, v1
	v_and_b32_e32 v2, 64, v1
	v_add_u32_e32 v2, 64, v2
	s_lshl_b64 s[8:9], s[2:3], 6
	v_cmp_eq_u32_e64 s[2:3], 0, v0
	v_xor_b32_e32 v0, 8, v1
	v_cmp_lt_i32_e32 vcc, v0, v2
	v_mov_b32_e32 v9, 0
	v_mov_b32_e32 v7, v9
	v_cndmask_b32_e32 v0, v1, v0, vcc
	v_lshlrev_b32_e32 v10, 2, v0
	v_xor_b32_e32 v0, 4, v1
	v_cmp_lt_i32_e32 vcc, v0, v2
	s_waitcnt lgkmcnt(0)
	s_cmp_lg_u64 s[4:5], 0
	s_cselect_b64 s[14:15], -1, 0
	v_cndmask_b32_e32 v0, v1, v0, vcc
	v_lshlrev_b32_e32 v11, 2, v0
	v_xor_b32_e32 v0, 2, v1
	v_cmp_lt_i32_e32 vcc, v0, v2
	s_cmp_lg_u64 s[6:7], 0
	s_mov_b64 s[12:13], 0
	v_cndmask_b32_e32 v0, v1, v0, vcc
	v_lshlrev_b32_e32 v12, 2, v0
	v_xor_b32_e32 v0, 1, v1
	v_cmp_lt_i32_e32 vcc, v0, v2
	s_movk_i32 s16, 0x7fff
	s_nop 0
	v_cndmask_b32_e32 v0, v1, v0, vcc
	v_lshlrev_b32_e32 v13, 2, v0
	v_lshl_add_u64 v[0:1], v[8:9], 0, v[6:7]
	v_lshl_add_u64 v[2:3], v[0:1], 0, s[8:9]
	v_lshlrev_b64 v[4:5], 1, v[2:3]
	v_add3_u32 v6, v14, v6, v8
	v_lshl_add_u64 v[2:3], s[6:7], 0, v[4:5]
	v_lshl_add_u32 v8, v6, 2, 0
	v_cndmask_b32_e64 v6, 0, 1, s[14:15]
	s_cselect_b64 s[6:7], -1, 0
	v_lshl_add_u64 v[4:5], s[4:5], 0, v[4:5]
	v_cmp_ne_u32_e64 s[4:5], 1, v6
	v_cndmask_b32_e64 v6, 0, 1, s[6:7]
	v_cmp_ne_u32_e64 s[6:7], 1, v6
	v_mov_b32_e32 v9, 0x7fc0
                                        ; implicit-def: $vgpr6
	s_branch .LBB103_84
.LBB103_83:                             ;   in Loop: Header=BB103_84 Depth=1
	s_or_b64 exec, exec, s[14:15]
	v_lshl_add_u64 v[0:1], v[0:1], 0, 16
	v_add_u32_e32 v14, -16, v0
	v_cmp_lt_u32_e32 vcc, 47, v14
	v_lshl_add_u64 v[2:3], v[2:3], 0, 32
	v_lshl_add_u64 v[4:5], v[4:5], 0, 32
	s_or_b64 s[12:13], vcc, s[12:13]
	v_add_u32_e32 v8, 64, v8
	s_andn2_b64 exec, exec, s[12:13]
	s_cbranch_execz .LBB103_91
.LBB103_84:                             ; =>This Inner Loop Header: Depth=1
	s_and_saveexec_b64 s[14:15], s[0:1]
	s_cbranch_execz .LBB103_86
; %bb.85:                               ;   in Loop: Header=BB103_84 Depth=1
	ds_read_b32 v7, v8
	ds_read_b32 v6, v8 offset:4160
.LBB103_86:                             ;   in Loop: Header=BB103_84 Depth=1
	s_or_b64 exec, exec, s[14:15]
	s_waitcnt lgkmcnt(1)
	ds_bpermute_b32 v15, v10, v7
	s_waitcnt lgkmcnt(1)
	ds_bpermute_b32 v14, v10, v6
	v_lshl_add_u64 v[16:17], s[8:9], 0, v[0:1]
	v_cmp_gt_i64_e32 vcc, s[10:11], v[16:17]
	s_and_b64 s[18:19], s[2:3], vcc
	s_waitcnt lgkmcnt(0)
	v_pk_add_f32 v[6:7], v[6:7], v[14:15]
	ds_bpermute_b32 v15, v11, v7
	ds_bpermute_b32 v14, v11, v6
	s_waitcnt lgkmcnt(0)
	v_pk_add_f32 v[6:7], v[6:7], v[14:15]
	ds_bpermute_b32 v15, v12, v7
	ds_bpermute_b32 v14, v12, v6
	;; [unrolled: 4-line block ×3, first 2 shown]
	s_waitcnt lgkmcnt(0)
	v_pk_add_f32 v[6:7], v[6:7], v[14:15]
	s_and_saveexec_b64 s[14:15], s[18:19]
	s_cbranch_execz .LBB103_83
; %bb.87:                               ;   in Loop: Header=BB103_84 Depth=1
	s_and_b64 vcc, exec, s[4:5]
	s_cbranch_vccnz .LBB103_89
; %bb.88:                               ;   in Loop: Header=BB103_84 Depth=1
	v_bfe_u32 v14, v7, 16, 1
	v_add3_u32 v14, v7, v14, s16
	v_lshrrev_b32_e32 v14, 16, v14
	v_cmp_o_f32_e32 vcc, v7, v7
	s_nop 1
	v_cndmask_b32_e32 v14, v9, v14, vcc
	global_store_short v[4:5], v14, off
.LBB103_89:                             ;   in Loop: Header=BB103_84 Depth=1
	s_and_b64 vcc, exec, s[6:7]
	s_cbranch_vccnz .LBB103_83
; %bb.90:                               ;   in Loop: Header=BB103_84 Depth=1
	v_bfe_u32 v14, v6, 16, 1
	v_add3_u32 v14, v6, v14, s16
	v_lshrrev_b32_e32 v14, 16, v14
	v_cmp_o_f32_e32 vcc, v6, v6
	s_nop 1
	v_cndmask_b32_e32 v14, v9, v14, vcc
	global_store_short v[2:3], v14, off
	s_branch .LBB103_83
.LBB103_91:
	s_endpgm
	.section	.rodata,"a",@progbits
	.p2align	6, 0x0
	.amdhsa_kernel _ZN2at6native12_GLOBAL__N_135GammaBetaBackwardCUDAKernelTemplateIN3c108BFloat16EfLj64ELj16ELj128ELb0ELb0ELb0EEEvllPKT_S7_PKT0_SA_PS5_SB_
		.amdhsa_group_segment_fixed_size 0
		.amdhsa_private_segment_fixed_size 0
		.amdhsa_kernarg_size 320
		.amdhsa_user_sgpr_count 2
		.amdhsa_user_sgpr_dispatch_ptr 0
		.amdhsa_user_sgpr_queue_ptr 0
		.amdhsa_user_sgpr_kernarg_segment_ptr 1
		.amdhsa_user_sgpr_dispatch_id 0
		.amdhsa_user_sgpr_kernarg_preload_length 0
		.amdhsa_user_sgpr_kernarg_preload_offset 0
		.amdhsa_user_sgpr_private_segment_size 0
		.amdhsa_uses_dynamic_stack 0
		.amdhsa_enable_private_segment 0
		.amdhsa_system_sgpr_workgroup_id_x 1
		.amdhsa_system_sgpr_workgroup_id_y 1
		.amdhsa_system_sgpr_workgroup_id_z 0
		.amdhsa_system_sgpr_workgroup_info 0
		.amdhsa_system_vgpr_workitem_id 1
		.amdhsa_next_free_vgpr 106
		.amdhsa_next_free_sgpr 58
		.amdhsa_accum_offset 108
		.amdhsa_reserve_vcc 1
		.amdhsa_float_round_mode_32 0
		.amdhsa_float_round_mode_16_64 0
		.amdhsa_float_denorm_mode_32 3
		.amdhsa_float_denorm_mode_16_64 3
		.amdhsa_dx10_clamp 1
		.amdhsa_ieee_mode 1
		.amdhsa_fp16_overflow 0
		.amdhsa_tg_split 0
		.amdhsa_exception_fp_ieee_invalid_op 0
		.amdhsa_exception_fp_denorm_src 0
		.amdhsa_exception_fp_ieee_div_zero 0
		.amdhsa_exception_fp_ieee_overflow 0
		.amdhsa_exception_fp_ieee_underflow 0
		.amdhsa_exception_fp_ieee_inexact 0
		.amdhsa_exception_int_div_zero 0
	.end_amdhsa_kernel
	.section	.text._ZN2at6native12_GLOBAL__N_135GammaBetaBackwardCUDAKernelTemplateIN3c108BFloat16EfLj64ELj16ELj128ELb0ELb0ELb0EEEvllPKT_S7_PKT0_SA_PS5_SB_,"axG",@progbits,_ZN2at6native12_GLOBAL__N_135GammaBetaBackwardCUDAKernelTemplateIN3c108BFloat16EfLj64ELj16ELj128ELb0ELb0ELb0EEEvllPKT_S7_PKT0_SA_PS5_SB_,comdat
.Lfunc_end103:
	.size	_ZN2at6native12_GLOBAL__N_135GammaBetaBackwardCUDAKernelTemplateIN3c108BFloat16EfLj64ELj16ELj128ELb0ELb0ELb0EEEvllPKT_S7_PKT0_SA_PS5_SB_, .Lfunc_end103-_ZN2at6native12_GLOBAL__N_135GammaBetaBackwardCUDAKernelTemplateIN3c108BFloat16EfLj64ELj16ELj128ELb0ELb0ELb0EEEvllPKT_S7_PKT0_SA_PS5_SB_
                                        ; -- End function
	.section	.AMDGPU.csdata,"",@progbits
; Kernel info:
; codeLenInByte = 7700
; NumSgprs: 64
; NumVgprs: 106
; NumAgprs: 0
; TotalNumVgprs: 106
; ScratchSize: 0
; MemoryBound: 0
; FloatMode: 240
; IeeeMode: 1
; LDSByteSize: 0 bytes/workgroup (compile time only)
; SGPRBlocks: 7
; VGPRBlocks: 13
; NumSGPRsForWavesPerEU: 64
; NumVGPRsForWavesPerEU: 106
; AccumOffset: 108
; Occupancy: 4
; WaveLimiterHint : 0
; COMPUTE_PGM_RSRC2:SCRATCH_EN: 0
; COMPUTE_PGM_RSRC2:USER_SGPR: 2
; COMPUTE_PGM_RSRC2:TRAP_HANDLER: 0
; COMPUTE_PGM_RSRC2:TGID_X_EN: 1
; COMPUTE_PGM_RSRC2:TGID_Y_EN: 1
; COMPUTE_PGM_RSRC2:TGID_Z_EN: 0
; COMPUTE_PGM_RSRC2:TIDIG_COMP_CNT: 1
; COMPUTE_PGM_RSRC3_GFX90A:ACCUM_OFFSET: 26
; COMPUTE_PGM_RSRC3_GFX90A:TG_SPLIT: 0
	.section	.text._ZN2at6native12_GLOBAL__N_135GammaBetaBackwardCUDAKernelTemplateIN3c108BFloat16EfLj64ELj16ELj256ELb0ELb1ELb0EEEvllPKT_S7_PKT0_SA_PS5_SB_,"axG",@progbits,_ZN2at6native12_GLOBAL__N_135GammaBetaBackwardCUDAKernelTemplateIN3c108BFloat16EfLj64ELj16ELj256ELb0ELb1ELb0EEEvllPKT_S7_PKT0_SA_PS5_SB_,comdat
	.globl	_ZN2at6native12_GLOBAL__N_135GammaBetaBackwardCUDAKernelTemplateIN3c108BFloat16EfLj64ELj16ELj256ELb0ELb1ELb0EEEvllPKT_S7_PKT0_SA_PS5_SB_ ; -- Begin function _ZN2at6native12_GLOBAL__N_135GammaBetaBackwardCUDAKernelTemplateIN3c108BFloat16EfLj64ELj16ELj256ELb0ELb1ELb0EEEvllPKT_S7_PKT0_SA_PS5_SB_
	.p2align	8
	.type	_ZN2at6native12_GLOBAL__N_135GammaBetaBackwardCUDAKernelTemplateIN3c108BFloat16EfLj64ELj16ELj256ELb0ELb1ELb0EEEvllPKT_S7_PKT0_SA_PS5_SB_,@function
_ZN2at6native12_GLOBAL__N_135GammaBetaBackwardCUDAKernelTemplateIN3c108BFloat16EfLj64ELj16ELj256ELb0ELb1ELb0EEEvllPKT_S7_PKT0_SA_PS5_SB_: ; @_ZN2at6native12_GLOBAL__N_135GammaBetaBackwardCUDAKernelTemplateIN3c108BFloat16EfLj64ELj16ELj256ELb0ELb1ELb0EEEvllPKT_S7_PKT0_SA_PS5_SB_
; %bb.0:
	s_load_dwordx4 s[16:19], s[0:1], 0x0
	s_lshl_b32 s6, s3, 8
	s_mov_b32 s7, 0
	v_bfe_u32 v12, v0, 10, 10
	s_waitcnt lgkmcnt(0)
	v_mov_b64_e32 v[2:3], s[16:17]
	v_cmp_lt_i64_e32 vcc, s[6:7], v[2:3]
	s_cbranch_vccnz .LBB104_2
; %bb.1:
	s_mov_b64 s[4:5], 0
	v_bfe_u32 v4, v0, 10, 10
	s_branch .LBB104_3
.LBB104_2:
	s_mov_b64 s[4:5], -1
                                        ; implicit-def: $vgpr4
.LBB104_3:
	v_and_b32_e32 v10, 0x3ff, v0
	s_andn2_b64 vcc, exec, s[4:5]
	v_mov_b32_e32 v9, s7
	v_mbcnt_lo_u32_b32 v11, -1, 0
	v_mov_b32_e32 v8, s7
	s_cbranch_vccnz .LBB104_11
; %bb.4:
	s_load_dword s3, s[0:1], 0x4c
	s_load_dword s20, s[0:1], 0x44
	s_load_dwordx8 s[8:15], s[0:1], 0x10
	v_lshlrev_b32_e32 v8, 4, v12
	v_mov_b32_e32 v9, 0
	s_waitcnt lgkmcnt(0)
	s_and_b32 s3, s3, 0xffff
	v_mad_u32_u24 v0, v12, s3, v10
	v_and_b32_e32 v0, 63, v0
	v_mov_b32_e32 v1, v9
	v_lshl_add_u64 v[6:7], v[8:9], 0, s[6:7]
	v_cmp_gt_u32_e64 s[4:5], 16, v0
	v_mbcnt_hi_u32_b32 v2, -1, v11
	s_lshl_b32 s20, s20, 8
	v_lshl_add_u64 v[0:1], v[6:7], 0, v[0:1]
	v_mul_lo_u32 v8, s19, v6
	v_mul_lo_u32 v29, s18, v7
	v_mad_u64_u32 v[6:7], s[24:25], s18, v6, 0
	v_lshl_add_u32 v4, s2, 6, v10
	v_mov_b32_e32 v5, v9
	v_lshlrev_b32_e32 v2, 2, v2
	s_mul_i32 s3, s19, s20
	s_mul_hi_u32 s24, s18, s20
	s_mov_b32 s21, 0
	v_and_b32_e32 v13, 0x100, v2
	v_add3_u32 v7, v7, v29, v8
	v_lshlrev_b64 v[4:5], 1, v[4:5]
	s_add_i32 s25, s24, s3
	s_mul_i32 s24, s18, s20
	v_or_b32_e32 v14, 4, v13
	v_or_b32_e32 v15, 8, v13
	;; [unrolled: 1-line block ×15, first 2 shown]
	v_lshlrev_b64 v[2:3], 2, v[0:1]
	s_lshl_b64 s[22:23], s[20:21], 2
	v_lshl_add_u64 v[4:5], v[6:7], 1, v[4:5]
	s_lshl_b64 s[24:25], s[24:25], 1
	s_lshl_b64 s[18:19], s[18:19], 1
	v_mov_b64_e32 v[6:7], s[16:17]
	v_mov_b32_e32 v8, v9
	s_branch .LBB104_7
.LBB104_5:                              ;   in Loop: Header=BB104_7 Depth=1
	s_or_b64 exec, exec, s[28:29]
.LBB104_6:                              ;   in Loop: Header=BB104_7 Depth=1
	s_or_b64 exec, exec, s[26:27]
	v_lshl_add_u64 v[32:33], s[10:11], 0, v[4:5]
	global_load_ushort v31, v[32:33], off
	v_lshl_add_u64 v[34:35], s[8:9], 0, v[4:5]
	global_load_ushort v36, v[34:35], off
	;; [unrolled: 2-line block ×10, first 2 shown]
	s_waitcnt vmcnt(11)
	ds_bpermute_b32 v46, v13, v30
	s_waitcnt vmcnt(10)
	ds_bpermute_b32 v37, v13, v29
	ds_bpermute_b32 v48, v14, v30
	v_lshl_add_u64 v[32:33], v[32:33], 0, s[18:19]
	ds_bpermute_b32 v47, v14, v29
	v_lshl_add_u64 v[34:35], v[34:35], 0, s[18:19]
	global_load_ushort v55, v[34:35], off
	v_lshl_add_u64 v[34:35], v[34:35], 0, s[18:19]
	ds_bpermute_b32 v50, v15, v30
	ds_bpermute_b32 v49, v15, v29
	;; [unrolled: 1-line block ×6, first 2 shown]
	s_add_u32 s6, s6, s20
	s_addc_u32 s7, s7, 0
	v_cmp_lt_i64_e32 vcc, s[6:7], v[6:7]
	v_lshl_add_u64 v[2:3], v[2:3], 0, s[22:23]
	v_lshl_add_u64 v[0:1], v[0:1], 0, s[20:21]
	;; [unrolled: 1-line block ×3, first 2 shown]
	s_and_b64 vcc, exec, vcc
	s_waitcnt vmcnt(10)
	v_lshlrev_b32_e32 v31, 16, v31
	s_waitcnt lgkmcnt(9)
	v_sub_f32_e32 v31, v31, v46
	s_waitcnt vmcnt(9)
	v_lshlrev_b32_e32 v36, 16, v36
	v_mul_f32_e32 v31, v31, v36
	s_waitcnt lgkmcnt(8)
	v_mul_f32_e32 v37, v31, v37
	global_load_ushort v31, v[32:33], off
	s_waitcnt vmcnt(9)
	v_lshlrev_b32_e32 v38, 16, v38
	s_waitcnt lgkmcnt(7)
	v_sub_f32_e32 v48, v38, v48
	s_waitcnt vmcnt(8)
	v_lshlrev_b32_e32 v38, 16, v39
	v_lshl_add_u64 v[32:33], v[32:33], 0, s[18:19]
	v_mul_f32_e32 v39, v48, v38
	s_waitcnt lgkmcnt(6)
	v_mul_f32_e32 v39, v39, v47
	global_load_ushort v47, v[32:33], off
	global_load_ushort v46, v[34:35], off
	v_lshl_add_u64 v[32:33], v[32:33], 0, s[18:19]
	v_lshl_add_u64 v[34:35], v[34:35], 0, s[18:19]
	global_load_ushort v56, v[32:33], off
	global_load_ushort v48, v[34:35], off
	v_lshl_add_u64 v[32:33], v[32:33], 0, s[18:19]
	v_pk_add_f32 v[8:9], v[8:9], v[36:37]
	v_lshl_add_u64 v[34:35], v[34:35], 0, s[18:19]
	s_waitcnt vmcnt(11)
	v_lshlrev_b32_e32 v36, 16, v40
	global_load_ushort v40, v[32:33], off
	global_load_ushort v57, v[34:35], off
	s_waitcnt lgkmcnt(5)
	v_sub_f32_e32 v37, v36, v50
	s_waitcnt vmcnt(12)
	v_lshlrev_b32_e32 v36, 16, v41
	v_mul_f32_e32 v37, v37, v36
	v_lshl_add_u64 v[34:35], v[34:35], 0, s[18:19]
	v_lshl_add_u64 v[32:33], v[32:33], 0, s[18:19]
	s_waitcnt lgkmcnt(4)
	v_mul_f32_e32 v37, v37, v49
	global_load_ushort v41, v[34:35], off
	global_load_ushort v49, v[32:33], off
	v_pk_add_f32 v[8:9], v[8:9], v[38:39]
	v_lshl_add_u64 v[32:33], v[32:33], 0, s[18:19]
	s_waitcnt vmcnt(13)
	v_lshlrev_b32_e32 v38, 16, v42
	v_lshl_add_u64 v[34:35], v[34:35], 0, s[18:19]
	s_waitcnt lgkmcnt(3)
	v_sub_f32_e32 v39, v38, v52
	s_waitcnt vmcnt(12)
	v_lshlrev_b32_e32 v38, 16, v43
	global_load_ushort v43, v[32:33], off
	global_load_ushort v50, v[34:35], off
	v_lshl_add_u64 v[32:33], v[32:33], 0, s[18:19]
	v_mul_f32_e32 v39, v39, v38
	v_lshl_add_u64 v[34:35], v[34:35], 0, s[18:19]
	global_load_ushort v52, v[32:33], off
	s_waitcnt lgkmcnt(2)
	v_mul_f32_e32 v39, v39, v51
	global_load_ushort v51, v[34:35], off
	v_pk_add_f32 v[8:9], v[8:9], v[36:37]
	s_waitcnt vmcnt(15)
	v_lshlrev_b32_e32 v36, 16, v44
	s_waitcnt lgkmcnt(1)
	v_sub_f32_e32 v37, v36, v54
	s_waitcnt vmcnt(14)
	v_lshlrev_b32_e32 v36, 16, v45
	v_lshl_add_u64 v[32:33], v[32:33], 0, s[18:19]
	v_mul_f32_e32 v37, v37, v36
	v_lshl_add_u64 v[34:35], v[34:35], 0, s[18:19]
	s_waitcnt lgkmcnt(0)
	v_mul_f32_e32 v37, v37, v53
	global_load_ushort v53, v[32:33], off
	global_load_ushort v58, v[34:35], off
	v_lshl_add_u64 v[32:33], v[32:33], 0, s[18:19]
	v_lshl_add_u64 v[34:35], v[34:35], 0, s[18:19]
	global_load_ushort v59, v[32:33], off
	global_load_ushort v54, v[34:35], off
	v_lshl_add_u64 v[32:33], v[32:33], 0, s[18:19]
	v_lshl_add_u64 v[34:35], v[34:35], 0, s[18:19]
	global_load_ushort v62, v[32:33], off
	v_lshl_add_u64 v[32:33], v[32:33], 0, s[18:19]
	global_load_ushort v60, v[34:35], off
	;; [unrolled: 2-line block ×3, first 2 shown]
	global_load_ushort v61, v[34:35], off
	ds_bpermute_b32 v33, v18, v30
	ds_bpermute_b32 v34, v18, v29
	s_waitcnt vmcnt(21)
	v_lshlrev_b32_e32 v32, 16, v55
	ds_bpermute_b32 v35, v19, v30
	v_pk_add_f32 v[8:9], v[8:9], v[38:39]
	ds_bpermute_b32 v39, v21, v30
	v_pk_add_f32 v[8:9], v[8:9], v[36:37]
	ds_bpermute_b32 v37, v20, v30
	ds_bpermute_b32 v42, v22, v30
	;; [unrolled: 1-line block ×4, first 2 shown]
	s_waitcnt vmcnt(20)
	v_lshlrev_b32_e32 v31, 16, v31
	s_waitcnt lgkmcnt(7)
	v_sub_f32_e32 v31, v31, v33
	v_mul_f32_e32 v31, v31, v32
	s_waitcnt lgkmcnt(6)
	v_mul_f32_e32 v33, v31, v34
	ds_bpermute_b32 v31, v19, v29
	v_pk_add_f32 v[8:9], v[8:9], v[32:33]
	s_waitcnt vmcnt(19)
	v_lshlrev_b32_e32 v36, 16, v47
	s_waitcnt vmcnt(18)
	v_lshlrev_b32_e32 v34, 16, v46
	s_waitcnt lgkmcnt(6)
	v_sub_f32_e32 v35, v36, v35
	v_mul_f32_e32 v35, v35, v34
	s_waitcnt lgkmcnt(0)
	v_mul_f32_e32 v35, v35, v31
	ds_bpermute_b32 v31, v20, v29
	s_waitcnt vmcnt(17)
	v_lshlrev_b32_e32 v38, 16, v56
	s_waitcnt vmcnt(16)
	v_lshlrev_b32_e32 v36, 16, v48
	v_sub_f32_e32 v37, v38, v37
	v_mul_f32_e32 v37, v37, v36
	s_waitcnt lgkmcnt(0)
	v_mul_f32_e32 v37, v37, v31
	ds_bpermute_b32 v31, v21, v29
	s_waitcnt vmcnt(15)
	v_lshlrev_b32_e32 v40, 16, v40
	s_waitcnt vmcnt(14)
	v_lshlrev_b32_e32 v38, 16, v57
	;; [unrolled: 9-line block ×3, first 2 shown]
	v_sub_f32_e32 v41, v41, v42
	v_mul_f32_e32 v41, v41, v40
	s_waitcnt lgkmcnt(0)
	v_mul_f32_e32 v41, v41, v31
	ds_bpermute_b32 v31, v23, v29
	ds_bpermute_b32 v47, v25, v30
	;; [unrolled: 1-line block ×3, first 2 shown]
	s_waitcnt vmcnt(11)
	v_lshlrev_b32_e32 v43, 16, v43
	s_waitcnt vmcnt(10)
	v_lshlrev_b32_e32 v42, 16, v50
	v_sub_f32_e32 v43, v43, v44
	v_mul_f32_e32 v43, v43, v42
	s_waitcnt lgkmcnt(2)
	v_mul_f32_e32 v43, v43, v31
	ds_bpermute_b32 v31, v24, v29
	s_waitcnt vmcnt(9)
	v_lshlrev_b32_e32 v46, 16, v52
	s_waitcnt vmcnt(8)
	v_lshlrev_b32_e32 v44, 16, v51
	v_sub_f32_e32 v45, v46, v45
	v_mul_f32_e32 v45, v45, v44
	s_waitcnt lgkmcnt(0)
	v_mul_f32_e32 v45, v45, v31
	ds_bpermute_b32 v31, v25, v29
	ds_bpermute_b32 v51, v27, v30
	v_pk_add_f32 v[8:9], v[8:9], v[34:35]
	ds_bpermute_b32 v30, v28, v30
	v_pk_add_f32 v[8:9], v[8:9], v[36:37]
	s_waitcnt vmcnt(7)
	v_lshlrev_b32_e32 v48, 16, v53
	s_waitcnt vmcnt(6)
	v_lshlrev_b32_e32 v46, 16, v58
	v_sub_f32_e32 v47, v48, v47
	v_mul_f32_e32 v47, v47, v46
	s_waitcnt lgkmcnt(2)
	v_mul_f32_e32 v47, v47, v31
	ds_bpermute_b32 v31, v26, v29
	s_waitcnt vmcnt(5)
	v_lshlrev_b32_e32 v50, 16, v59
	s_waitcnt vmcnt(4)
	v_lshlrev_b32_e32 v48, 16, v54
	v_sub_f32_e32 v49, v50, v49
	ds_bpermute_b32 v53, v27, v29
	v_pk_add_f32 v[8:9], v[8:9], v[38:39]
	v_mul_f32_e32 v49, v49, v48
	v_pk_add_f32 v[8:9], v[8:9], v[40:41]
	ds_bpermute_b32 v29, v28, v29
	s_waitcnt lgkmcnt(2)
	v_mul_f32_e32 v49, v49, v31
	s_waitcnt vmcnt(3)
	v_lshlrev_b32_e32 v31, 16, v62
	v_pk_add_f32 v[8:9], v[8:9], v[42:43]
	s_waitcnt vmcnt(2)
	v_lshlrev_b32_e32 v50, 16, v60
	v_sub_f32_e32 v31, v31, v51
	s_waitcnt vmcnt(1)
	v_lshlrev_b32_e32 v54, 16, v63
	v_pk_add_f32 v[8:9], v[8:9], v[44:45]
	s_waitcnt vmcnt(0)
	v_lshlrev_b32_e32 v52, 16, v61
	v_mul_f32_e32 v31, v31, v50
	v_pk_add_f32 v[8:9], v[8:9], v[46:47]
	v_sub_f32_e32 v30, v54, v30
	s_waitcnt lgkmcnt(1)
	v_mul_f32_e32 v51, v31, v53
	v_pk_add_f32 v[8:9], v[8:9], v[48:49]
	v_mul_f32_e32 v30, v30, v52
	v_pk_add_f32 v[8:9], v[8:9], v[50:51]
	s_waitcnt lgkmcnt(0)
	v_mul_f32_e32 v53, v30, v29
	v_pk_add_f32 v[8:9], v[8:9], v[52:53]
	s_cbranch_vccz .LBB104_10
.LBB104_7:                              ; =>This Inner Loop Header: Depth=1
	v_mov_b32_e32 v29, 0
	v_mov_b32_e32 v30, 0
	s_and_saveexec_b64 s[26:27], s[4:5]
	s_cbranch_execz .LBB104_6
; %bb.8:                                ;   in Loop: Header=BB104_7 Depth=1
	v_cmp_gt_i64_e32 vcc, s[16:17], v[0:1]
	v_mov_b32_e32 v30, 0
	v_mov_b32_e32 v29, 0
	s_and_saveexec_b64 s[28:29], vcc
	s_cbranch_execz .LBB104_5
; %bb.9:                                ;   in Loop: Header=BB104_7 Depth=1
	v_lshl_add_u64 v[34:35], s[12:13], 0, v[2:3]
	v_lshl_add_u64 v[32:33], s[14:15], 0, v[2:3]
	global_load_dword v30, v[34:35], off
	global_load_dword v29, v[32:33], off
	s_branch .LBB104_5
.LBB104_10:
	v_mov_b32_e32 v4, v12
.LBB104_11:
	s_load_dwordx4 s[4:7], s[0:1], 0x30
	s_movk_i32 s0, 0x41
	v_mad_u32_u24 v0, v4, s0, v10
	v_lshl_add_u32 v0, v0, 2, 0
	v_lshrrev_b32_e32 v12, 6, v10
	ds_write_b32 v0, v9
	ds_write_b32 v0, v8 offset:4160
	v_add_u32_e32 v0, v12, v4
	s_mov_b32 s3, 0
	v_cmp_gt_u32_e32 vcc, 64, v0
	s_waitcnt lgkmcnt(0)
	s_barrier
	s_and_saveexec_b64 s[0:1], vcc
	s_cbranch_execz .LBB104_21
; %bb.12:
	v_and_b32_e32 v1, 63, v10
	v_cmp_gt_u32_e64 s[0:1], 16, v1
	v_mul_u32_u24_e32 v13, 0x41, v1
	v_mbcnt_hi_u32_b32 v1, -1, v11
	v_and_b32_e32 v2, 64, v1
	v_add_u32_e32 v2, 64, v2
	v_xor_b32_e32 v3, 8, v1
	v_cmp_lt_i32_e32 vcc, v3, v2
	s_lshl_b64 s[10:11], s[2:3], 6
	v_mov_b32_e32 v5, 0
	v_cndmask_b32_e32 v3, v1, v3, vcc
	v_lshlrev_b32_e32 v6, 2, v3
	v_xor_b32_e32 v3, 4, v1
	v_cmp_lt_i32_e32 vcc, v3, v2
	v_cmp_eq_u32_e64 s[2:3], 0, v10
	v_add_u32_e32 v10, -16, v0
	v_cndmask_b32_e32 v3, v1, v3, vcc
	v_lshlrev_b32_e32 v7, 2, v3
	v_xor_b32_e32 v3, 2, v1
	v_cmp_lt_i32_e32 vcc, v3, v2
	v_or_b32_e32 v0, s10, v12
	s_cmp_lg_u64 s[4:5], 0
	v_cndmask_b32_e32 v3, v1, v3, vcc
	v_lshlrev_b32_e32 v8, 2, v3
	v_xor_b32_e32 v3, 1, v1
	v_cmp_lt_i32_e32 vcc, v3, v2
	s_cselect_b64 s[12:13], -1, 0
	s_cmp_lg_u64 s[6:7], 0
	v_cndmask_b32_e32 v1, v1, v3, vcc
	v_lshlrev_b32_e32 v9, 2, v1
	v_mov_b32_e32 v1, s11
	v_lshl_add_u64 v[0:1], v[0:1], 0, v[4:5]
	v_lshlrev_b64 v[2:3], 1, v[0:1]
	v_add3_u32 v4, v13, v4, v12
	v_lshl_add_u64 v[0:1], s[6:7], 0, v[2:3]
	v_lshl_add_u32 v11, v4, 2, 0
	v_cndmask_b32_e64 v4, 0, 1, s[12:13]
	s_cselect_b64 s[6:7], -1, 0
	v_lshl_add_u64 v[2:3], s[4:5], 0, v[2:3]
	v_cmp_ne_u32_e64 s[4:5], 1, v4
	v_cndmask_b32_e64 v4, 0, 1, s[6:7]
	s_mov_b64 s[8:9], 0
	s_movk_i32 s12, 0x7fff
	v_cmp_ne_u32_e64 s[6:7], 1, v4
	v_mov_b32_e32 v12, 0x7fc0
                                        ; implicit-def: $vgpr4
	s_branch .LBB104_14
.LBB104_13:                             ;   in Loop: Header=BB104_14 Depth=1
	s_or_b64 exec, exec, s[10:11]
	v_add_u32_e32 v10, 16, v10
	v_cmp_lt_u32_e32 vcc, 47, v10
	v_lshl_add_u64 v[0:1], v[0:1], 0, 32
	v_lshl_add_u64 v[2:3], v[2:3], 0, 32
	s_or_b64 s[8:9], vcc, s[8:9]
	v_add_u32_e32 v11, 64, v11
	s_andn2_b64 exec, exec, s[8:9]
	s_cbranch_execz .LBB104_21
.LBB104_14:                             ; =>This Inner Loop Header: Depth=1
	s_and_saveexec_b64 s[10:11], s[0:1]
	s_cbranch_execz .LBB104_16
; %bb.15:                               ;   in Loop: Header=BB104_14 Depth=1
	ds_read_b32 v5, v11
	ds_read_b32 v4, v11 offset:4160
.LBB104_16:                             ;   in Loop: Header=BB104_14 Depth=1
	s_or_b64 exec, exec, s[10:11]
	s_waitcnt lgkmcnt(1)
	ds_bpermute_b32 v15, v6, v5
	s_waitcnt lgkmcnt(1)
	ds_bpermute_b32 v14, v6, v4
	s_waitcnt lgkmcnt(0)
	v_pk_add_f32 v[4:5], v[4:5], v[14:15]
	ds_bpermute_b32 v15, v7, v5
	ds_bpermute_b32 v14, v7, v4
	s_waitcnt lgkmcnt(0)
	v_pk_add_f32 v[4:5], v[4:5], v[14:15]
	ds_bpermute_b32 v15, v8, v5
	;; [unrolled: 4-line block ×3, first 2 shown]
	ds_bpermute_b32 v14, v9, v4
	s_waitcnt lgkmcnt(0)
	v_pk_add_f32 v[4:5], v[4:5], v[14:15]
	s_and_saveexec_b64 s[10:11], s[2:3]
	s_cbranch_execz .LBB104_13
; %bb.17:                               ;   in Loop: Header=BB104_14 Depth=1
	s_and_b64 vcc, exec, s[4:5]
	s_cbranch_vccnz .LBB104_19
; %bb.18:                               ;   in Loop: Header=BB104_14 Depth=1
	v_bfe_u32 v13, v5, 16, 1
	v_add3_u32 v13, v5, v13, s12
	v_lshrrev_b32_e32 v13, 16, v13
	v_cmp_o_f32_e32 vcc, v5, v5
	s_nop 1
	v_cndmask_b32_e32 v13, v12, v13, vcc
	global_store_short v[2:3], v13, off
.LBB104_19:                             ;   in Loop: Header=BB104_14 Depth=1
	s_and_b64 vcc, exec, s[6:7]
	s_cbranch_vccnz .LBB104_13
; %bb.20:                               ;   in Loop: Header=BB104_14 Depth=1
	v_bfe_u32 v13, v4, 16, 1
	v_add3_u32 v13, v4, v13, s12
	v_lshrrev_b32_e32 v13, 16, v13
	v_cmp_o_f32_e32 vcc, v4, v4
	s_nop 1
	v_cndmask_b32_e32 v13, v12, v13, vcc
	global_store_short v[0:1], v13, off
	s_branch .LBB104_13
.LBB104_21:
	s_endpgm
	.section	.rodata,"a",@progbits
	.p2align	6, 0x0
	.amdhsa_kernel _ZN2at6native12_GLOBAL__N_135GammaBetaBackwardCUDAKernelTemplateIN3c108BFloat16EfLj64ELj16ELj256ELb0ELb1ELb0EEEvllPKT_S7_PKT0_SA_PS5_SB_
		.amdhsa_group_segment_fixed_size 0
		.amdhsa_private_segment_fixed_size 0
		.amdhsa_kernarg_size 320
		.amdhsa_user_sgpr_count 2
		.amdhsa_user_sgpr_dispatch_ptr 0
		.amdhsa_user_sgpr_queue_ptr 0
		.amdhsa_user_sgpr_kernarg_segment_ptr 1
		.amdhsa_user_sgpr_dispatch_id 0
		.amdhsa_user_sgpr_kernarg_preload_length 0
		.amdhsa_user_sgpr_kernarg_preload_offset 0
		.amdhsa_user_sgpr_private_segment_size 0
		.amdhsa_uses_dynamic_stack 0
		.amdhsa_enable_private_segment 0
		.amdhsa_system_sgpr_workgroup_id_x 1
		.amdhsa_system_sgpr_workgroup_id_y 1
		.amdhsa_system_sgpr_workgroup_id_z 0
		.amdhsa_system_sgpr_workgroup_info 0
		.amdhsa_system_vgpr_workitem_id 1
		.amdhsa_next_free_vgpr 64
		.amdhsa_next_free_sgpr 30
		.amdhsa_accum_offset 64
		.amdhsa_reserve_vcc 1
		.amdhsa_float_round_mode_32 0
		.amdhsa_float_round_mode_16_64 0
		.amdhsa_float_denorm_mode_32 3
		.amdhsa_float_denorm_mode_16_64 3
		.amdhsa_dx10_clamp 1
		.amdhsa_ieee_mode 1
		.amdhsa_fp16_overflow 0
		.amdhsa_tg_split 0
		.amdhsa_exception_fp_ieee_invalid_op 0
		.amdhsa_exception_fp_denorm_src 0
		.amdhsa_exception_fp_ieee_div_zero 0
		.amdhsa_exception_fp_ieee_overflow 0
		.amdhsa_exception_fp_ieee_underflow 0
		.amdhsa_exception_fp_ieee_inexact 0
		.amdhsa_exception_int_div_zero 0
	.end_amdhsa_kernel
	.section	.text._ZN2at6native12_GLOBAL__N_135GammaBetaBackwardCUDAKernelTemplateIN3c108BFloat16EfLj64ELj16ELj256ELb0ELb1ELb0EEEvllPKT_S7_PKT0_SA_PS5_SB_,"axG",@progbits,_ZN2at6native12_GLOBAL__N_135GammaBetaBackwardCUDAKernelTemplateIN3c108BFloat16EfLj64ELj16ELj256ELb0ELb1ELb0EEEvllPKT_S7_PKT0_SA_PS5_SB_,comdat
.Lfunc_end104:
	.size	_ZN2at6native12_GLOBAL__N_135GammaBetaBackwardCUDAKernelTemplateIN3c108BFloat16EfLj64ELj16ELj256ELb0ELb1ELb0EEEvllPKT_S7_PKT0_SA_PS5_SB_, .Lfunc_end104-_ZN2at6native12_GLOBAL__N_135GammaBetaBackwardCUDAKernelTemplateIN3c108BFloat16EfLj64ELj16ELj256ELb0ELb1ELb0EEEvllPKT_S7_PKT0_SA_PS5_SB_
                                        ; -- End function
	.section	.AMDGPU.csdata,"",@progbits
; Kernel info:
; codeLenInByte = 2568
; NumSgprs: 36
; NumVgprs: 64
; NumAgprs: 0
; TotalNumVgprs: 64
; ScratchSize: 0
; MemoryBound: 0
; FloatMode: 240
; IeeeMode: 1
; LDSByteSize: 0 bytes/workgroup (compile time only)
; SGPRBlocks: 4
; VGPRBlocks: 7
; NumSGPRsForWavesPerEU: 36
; NumVGPRsForWavesPerEU: 64
; AccumOffset: 64
; Occupancy: 8
; WaveLimiterHint : 0
; COMPUTE_PGM_RSRC2:SCRATCH_EN: 0
; COMPUTE_PGM_RSRC2:USER_SGPR: 2
; COMPUTE_PGM_RSRC2:TRAP_HANDLER: 0
; COMPUTE_PGM_RSRC2:TGID_X_EN: 1
; COMPUTE_PGM_RSRC2:TGID_Y_EN: 1
; COMPUTE_PGM_RSRC2:TGID_Z_EN: 0
; COMPUTE_PGM_RSRC2:TIDIG_COMP_CNT: 1
; COMPUTE_PGM_RSRC3_GFX90A:ACCUM_OFFSET: 15
; COMPUTE_PGM_RSRC3_GFX90A:TG_SPLIT: 0
	.section	.text._ZN2at6native12_GLOBAL__N_135GammaBetaBackwardCUDAKernelTemplateIN3c108BFloat16EfLj64ELj16ELj256ELb0ELb0ELb0EEEvllPKT_S7_PKT0_SA_PS5_SB_,"axG",@progbits,_ZN2at6native12_GLOBAL__N_135GammaBetaBackwardCUDAKernelTemplateIN3c108BFloat16EfLj64ELj16ELj256ELb0ELb0ELb0EEEvllPKT_S7_PKT0_SA_PS5_SB_,comdat
	.globl	_ZN2at6native12_GLOBAL__N_135GammaBetaBackwardCUDAKernelTemplateIN3c108BFloat16EfLj64ELj16ELj256ELb0ELb0ELb0EEEvllPKT_S7_PKT0_SA_PS5_SB_ ; -- Begin function _ZN2at6native12_GLOBAL__N_135GammaBetaBackwardCUDAKernelTemplateIN3c108BFloat16EfLj64ELj16ELj256ELb0ELb0ELb0EEEvllPKT_S7_PKT0_SA_PS5_SB_
	.p2align	8
	.type	_ZN2at6native12_GLOBAL__N_135GammaBetaBackwardCUDAKernelTemplateIN3c108BFloat16EfLj64ELj16ELj256ELb0ELb0ELb0EEEvllPKT_S7_PKT0_SA_PS5_SB_,@function
_ZN2at6native12_GLOBAL__N_135GammaBetaBackwardCUDAKernelTemplateIN3c108BFloat16EfLj64ELj16ELj256ELb0ELb0ELb0EEEvllPKT_S7_PKT0_SA_PS5_SB_: ; @_ZN2at6native12_GLOBAL__N_135GammaBetaBackwardCUDAKernelTemplateIN3c108BFloat16EfLj64ELj16ELj256ELb0ELb0ELb0EEEvllPKT_S7_PKT0_SA_PS5_SB_
; %bb.0:
	s_load_dwordx8 s[24:31], s[0:1], 0x0
	s_load_dwordx4 s[36:39], s[0:1], 0x20
	s_lshl_b32 s33, s2, 6
	s_mov_b32 s8, 0
	v_mov_b32_e32 v103, v0
	s_or_b32 s4, s33, 63
	s_mov_b32 s5, s8
	s_waitcnt lgkmcnt(0)
	v_mov_b64_e32 v[0:1], s[26:27]
	v_cmp_ge_i64_e32 vcc, s[4:5], v[0:1]
	s_lshl_b32 s34, s3, 8
	s_mov_b32 s35, s8
	v_mov_b64_e32 v[0:1], s[24:25]
	v_cmp_lt_i64_e64 s[4:5], s[34:35], v[0:1]
	s_nop 1
	v_cndmask_b32_e64 v0, 0, 1, s[4:5]
	v_cmp_ne_u32_e64 s[4:5], 1, v0
	s_cbranch_vccz .LBB105_80
; %bb.1:
	v_mov_b32_e32 v99, 0
	s_and_b64 vcc, exec, s[4:5]
	v_mov_b32_e32 v98, v99
	s_cbranch_vccnz .LBB105_82
; %bb.2:
	v_mov_b32_e32 v3, 0
	v_bfe_u32 v121, v103, 10, 10
	s_load_dword s3, s[0:1], 0x44
	v_lshlrev_b32_e32 v0, 4, v121
	v_mov_b32_e32 v1, v3
	v_and_b32_e32 v120, 0x3ff, v103
	v_lshl_add_u64 v[4:5], v[0:1], 0, s[34:35]
	v_add_u32_e32 v2, s33, v120
	v_lshl_add_u64 v[6:7], v[4:5], 0, 15
	s_add_u32 s40, s0, 64
	v_cmp_gt_i64_e64 s[6:7], s[26:27], v[2:3]
	v_lshlrev_b64 v[50:51], 1, v[2:3]
	v_mul_lo_u32 v2, s27, v6
	v_mul_lo_u32 v8, s26, v7
	v_mad_u64_u32 v[6:7], s[10:11], s26, v6, 0
	s_addc_u32 s41, s1, 0
	s_waitcnt lgkmcnt(0)
	s_lshl_b32 s3, s3, 8
	v_add3_u32 v7, v7, v8, v2
	v_lshlrev_b64 v[6:7], 1, v[6:7]
	s_mul_i32 s9, s27, s3
	s_mul_hi_u32 s10, s26, s3
	v_lshl_add_u64 v[52:53], s[28:29], 0, v[6:7]
	s_add_i32 s11, s10, s9
	s_mul_i32 s10, s26, s3
	v_lshl_add_u64 v[54:55], s[30:31], 0, v[6:7]
	v_lshl_add_u64 v[6:7], v[4:5], 0, 14
	s_lshl_b64 s[42:43], s[10:11], 1
	v_mul_lo_u32 v2, s27, v6
	v_mul_lo_u32 v8, s26, v7
	v_mad_u64_u32 v[6:7], s[10:11], s26, v6, 0
	v_add3_u32 v7, v7, v8, v2
	v_lshlrev_b64 v[6:7], 1, v[6:7]
	v_lshl_add_u64 v[56:57], s[28:29], 0, v[6:7]
	v_lshl_add_u64 v[58:59], s[30:31], 0, v[6:7]
	v_lshl_add_u64 v[6:7], v[4:5], 0, 13
	v_mul_lo_u32 v2, s27, v6
	v_mul_lo_u32 v8, s26, v7
	v_mad_u64_u32 v[6:7], s[10:11], s26, v6, 0
	v_add3_u32 v7, v7, v8, v2
	v_lshlrev_b64 v[6:7], 1, v[6:7]
	v_lshl_add_u64 v[60:61], s[28:29], 0, v[6:7]
	v_lshl_add_u64 v[62:63], s[30:31], 0, v[6:7]
	v_lshl_add_u64 v[6:7], v[4:5], 0, 12
	v_mul_lo_u32 v2, s27, v6
	v_mul_lo_u32 v8, s26, v7
	v_mad_u64_u32 v[6:7], s[10:11], s26, v6, 0
	v_add3_u32 v7, v7, v8, v2
	v_lshlrev_b64 v[6:7], 1, v[6:7]
	v_lshl_add_u64 v[64:65], s[28:29], 0, v[6:7]
	v_lshl_add_u64 v[66:67], s[30:31], 0, v[6:7]
	v_lshl_add_u64 v[6:7], v[4:5], 0, 11
	v_mul_lo_u32 v2, s27, v6
	v_mul_lo_u32 v8, s26, v7
	v_mad_u64_u32 v[6:7], s[10:11], s26, v6, 0
	v_add3_u32 v7, v7, v8, v2
	v_lshlrev_b64 v[6:7], 1, v[6:7]
	v_lshl_add_u64 v[68:69], s[28:29], 0, v[6:7]
	v_lshl_add_u64 v[70:71], s[30:31], 0, v[6:7]
	v_lshl_add_u64 v[6:7], v[4:5], 0, 10
	v_mul_lo_u32 v2, s27, v6
	v_mul_lo_u32 v8, s26, v7
	v_mad_u64_u32 v[6:7], s[10:11], s26, v6, 0
	v_add3_u32 v7, v7, v8, v2
	v_lshlrev_b64 v[6:7], 1, v[6:7]
	v_lshl_add_u64 v[72:73], s[28:29], 0, v[6:7]
	v_lshl_add_u64 v[74:75], s[30:31], 0, v[6:7]
	v_lshl_add_u64 v[6:7], v[4:5], 0, 9
	v_mul_lo_u32 v2, s27, v6
	v_mul_lo_u32 v8, s26, v7
	v_mad_u64_u32 v[6:7], s[10:11], s26, v6, 0
	v_add3_u32 v7, v7, v8, v2
	v_lshlrev_b64 v[6:7], 1, v[6:7]
	v_lshl_add_u64 v[76:77], s[28:29], 0, v[6:7]
	v_lshl_add_u64 v[78:79], s[30:31], 0, v[6:7]
	v_lshl_add_u64 v[6:7], v[4:5], 0, 8
	v_mul_lo_u32 v2, s27, v6
	v_mul_lo_u32 v8, s26, v7
	v_mad_u64_u32 v[6:7], s[10:11], s26, v6, 0
	v_add3_u32 v7, v7, v8, v2
	v_lshlrev_b64 v[6:7], 1, v[6:7]
	v_lshl_add_u64 v[80:81], s[28:29], 0, v[6:7]
	v_lshl_add_u64 v[82:83], s[30:31], 0, v[6:7]
	v_lshl_add_u64 v[6:7], v[4:5], 0, 7
	v_mul_lo_u32 v2, s27, v6
	v_mul_lo_u32 v8, s26, v7
	v_mad_u64_u32 v[6:7], s[10:11], s26, v6, 0
	v_add3_u32 v7, v7, v8, v2
	v_lshlrev_b64 v[6:7], 1, v[6:7]
	v_lshl_add_u64 v[84:85], s[28:29], 0, v[6:7]
	v_lshl_add_u64 v[86:87], s[30:31], 0, v[6:7]
	v_lshl_add_u64 v[6:7], v[4:5], 0, 6
	v_mul_lo_u32 v2, s27, v6
	v_mul_lo_u32 v8, s26, v7
	v_mad_u64_u32 v[6:7], s[10:11], s26, v6, 0
	v_add3_u32 v7, v7, v8, v2
	v_lshlrev_b64 v[6:7], 1, v[6:7]
	v_lshl_add_u64 v[88:89], s[28:29], 0, v[6:7]
	v_lshl_add_u64 v[90:91], s[30:31], 0, v[6:7]
	v_lshl_add_u64 v[6:7], v[4:5], 0, 5
	v_mul_lo_u32 v2, s27, v6
	v_mul_lo_u32 v8, s26, v7
	v_mad_u64_u32 v[6:7], s[10:11], s26, v6, 0
	v_add3_u32 v7, v7, v8, v2
	v_lshlrev_b64 v[6:7], 1, v[6:7]
	v_lshl_add_u64 v[92:93], s[28:29], 0, v[6:7]
	v_lshl_add_u64 v[94:95], s[30:31], 0, v[6:7]
	v_lshl_add_u64 v[6:7], v[4:5], 0, 4
	v_mul_lo_u32 v2, s27, v6
	v_mul_lo_u32 v8, s26, v7
	v_mad_u64_u32 v[6:7], s[10:11], s26, v6, 0
	v_add3_u32 v7, v7, v8, v2
	v_lshlrev_b64 v[6:7], 1, v[6:7]
	v_lshl_add_u64 v[96:97], s[28:29], 0, v[6:7]
	v_lshl_add_u64 v[100:101], s[30:31], 0, v[6:7]
	v_lshl_add_u64 v[6:7], v[4:5], 0, 3
	v_mul_lo_u32 v2, s27, v6
	v_mul_lo_u32 v8, s26, v7
	v_mad_u64_u32 v[6:7], s[10:11], s26, v6, 0
	v_add3_u32 v7, v7, v8, v2
	v_lshlrev_b64 v[6:7], 1, v[6:7]
	v_mov_b32_e32 v125, v103
	v_lshl_add_u64 v[102:103], s[28:29], 0, v[6:7]
	v_lshl_add_u64 v[104:105], s[30:31], 0, v[6:7]
	;; [unrolled: 1-line block ×3, first 2 shown]
	v_mul_lo_u32 v2, s27, v6
	v_mul_lo_u32 v8, s26, v7
	v_mad_u64_u32 v[6:7], s[10:11], s26, v6, 0
	v_add3_u32 v7, v7, v8, v2
	v_lshlrev_b64 v[6:7], 1, v[6:7]
	v_lshl_add_u64 v[106:107], s[28:29], 0, v[6:7]
	v_lshl_add_u64 v[108:109], s[30:31], 0, v[6:7]
	v_mov_b64_e32 v[6:7], s[26:27]
	v_mad_u64_u32 v[6:7], s[10:11], s26, v4, v[6:7]
	v_mul_lo_u32 v2, s26, v5
	v_mul_lo_u32 v8, s27, v4
	v_mad_u64_u32 v[4:5], s[10:11], s26, v4, 0
	v_add3_u32 v7, v8, v7, v2
	v_add3_u32 v5, v5, v2, v8
	v_mbcnt_lo_u32_b32 v2, -1, 0
	v_mbcnt_hi_u32_b32 v2, -1, v2
	v_lshlrev_b64 v[6:7], 1, v[6:7]
	s_add_u32 s44, s34, 0xff
	v_lshlrev_b64 v[4:5], 1, v[4:5]
	s_movk_i32 s46, 0xff01
	s_movk_i32 s48, 0xff02
	;; [unrolled: 1-line block ×16, first 2 shown]
	v_lshlrev_b32_e32 v2, 2, v2
	v_lshl_add_u64 v[110:111], s[28:29], 0, v[6:7]
	v_lshl_add_u64 v[112:113], s[30:31], 0, v[6:7]
	s_addc_u32 s45, 0, 0
	v_lshl_add_u64 v[114:115], s[28:29], 0, v[4:5]
	v_lshl_add_u64 v[116:117], s[30:31], 0, v[4:5]
	s_mov_b32 s47, -1
	s_mov_b32 s49, -1
	s_mov_b32 s51, -1
	s_mov_b32 s53, -1
	s_mov_b32 s55, -1
	s_mov_b32 s57, -1
	s_mov_b32 s59, -1
	s_mov_b32 s61, -1
	s_mov_b32 s63, -1
	s_mov_b32 s65, -1
	s_mov_b32 s67, -1
	s_mov_b32 s69, -1
	s_mov_b32 s71, -1
	s_mov_b32 s73, -1
	s_mov_b32 s75, -1
	s_mov_b32 s77, -1
	v_and_b32_e32 v122, 0x100, v2
	s_mov_b64 s[78:79], s[34:35]
	v_mov_b32_e32 v98, v3
	v_mov_b32_e32 v99, v3
	s_branch .LBB105_5
.LBB105_3:                              ;   in Loop: Header=BB105_5 Depth=1
	s_or_b64 exec, exec, s[10:11]
	s_waitcnt vmcnt(1)
	ds_bpermute_b32 v2, v122, v124
	ds_bpermute_b32 v4, v122, v124 offset:4
	s_waitcnt vmcnt(0)
	ds_bpermute_b32 v5, v122, v123
	ds_bpermute_b32 v6, v122, v123 offset:4
	ds_bpermute_b32 v8, v122, v123 offset:12
	s_waitcnt lgkmcnt(4)
	v_sub_f32_e32 v2, v18, v2
	v_mul_f32_e32 v2, v34, v2
	s_waitcnt lgkmcnt(3)
	v_sub_f32_e32 v4, v19, v4
	s_waitcnt lgkmcnt(2)
	v_mul_f32_e32 v5, v2, v5
	ds_bpermute_b32 v2, v122, v124 offset:8
	v_mul_f32_e32 v4, v35, v4
	s_waitcnt lgkmcnt(2)
	v_mul_f32_e32 v7, v4, v6
	ds_bpermute_b32 v4, v122, v123 offset:8
	ds_bpermute_b32 v6, v122, v124 offset:12
	s_waitcnt lgkmcnt(2)
	v_sub_f32_e32 v2, v20, v2
	v_mul_f32_e32 v2, v36, v2
	v_mov_b32_e32 v10, v37
	s_waitcnt lgkmcnt(1)
	v_mul_f32_e32 v9, v2, v4
	s_waitcnt lgkmcnt(0)
	v_sub_f32_e32 v2, v21, v6
	ds_bpermute_b32 v4, v122, v124 offset:16
	v_mul_f32_e32 v2, v37, v2
	v_mul_f32_e32 v11, v2, v8
	ds_bpermute_b32 v2, v122, v123 offset:16
	ds_bpermute_b32 v6, v122, v124 offset:20
	;; [unrolled: 1-line block ×3, first 2 shown]
	s_waitcnt lgkmcnt(3)
	v_sub_f32_e32 v4, v22, v4
	v_mul_f32_e32 v4, v38, v4
	s_waitcnt lgkmcnt(2)
	v_mul_f32_e32 v13, v4, v2
	s_waitcnt lgkmcnt(1)
	v_sub_f32_e32 v2, v23, v6
	v_mul_f32_e32 v2, v39, v2
	v_mov_b32_e32 v4, v34
	s_waitcnt lgkmcnt(0)
	v_mul_f32_e32 v15, v2, v8
	v_pk_add_f32 v[4:5], v[98:99], v[4:5]
	v_mov_b32_e32 v6, v35
	ds_bpermute_b32 v2, v122, v124 offset:24
	v_pk_add_f32 v[4:5], v[6:7], v[4:5]
	v_mov_b32_e32 v8, v36
	v_pk_add_f32 v[4:5], v[8:9], v[4:5]
	ds_bpermute_b32 v6, v122, v123 offset:24
	ds_bpermute_b32 v8, v122, v124 offset:28
	;; [unrolled: 1-line block ×3, first 2 shown]
	s_waitcnt lgkmcnt(3)
	v_sub_f32_e32 v2, v24, v2
	v_mul_f32_e32 v2, v40, v2
	s_waitcnt lgkmcnt(2)
	v_mul_f32_e32 v7, v2, v6
	s_waitcnt lgkmcnt(1)
	v_sub_f32_e32 v2, v25, v8
	ds_bpermute_b32 v6, v122, v124 offset:32
	v_mul_f32_e32 v2, v41, v2
	s_waitcnt lgkmcnt(1)
	v_mul_f32_e32 v9, v2, v9
	ds_bpermute_b32 v2, v122, v123 offset:32
	ds_bpermute_b32 v8, v122, v124 offset:36
	v_pk_add_f32 v[4:5], v[10:11], v[4:5]
	ds_bpermute_b32 v10, v122, v123 offset:36
	s_waitcnt lgkmcnt(3)
	v_sub_f32_e32 v6, v26, v6
	v_mul_f32_e32 v6, v42, v6
	s_waitcnt lgkmcnt(2)
	v_mul_f32_e32 v11, v6, v2
	s_waitcnt lgkmcnt(1)
	v_sub_f32_e32 v2, v27, v8
	ds_bpermute_b32 v6, v122, v124 offset:40
	v_mov_b32_e32 v12, v38
	v_mul_f32_e32 v2, v43, v2
	v_pk_add_f32 v[4:5], v[12:13], v[4:5]
	s_waitcnt lgkmcnt(1)
	v_mul_f32_e32 v13, v2, v10
	ds_bpermute_b32 v2, v122, v123 offset:40
	ds_bpermute_b32 v8, v122, v124 offset:44
	;; [unrolled: 1-line block ×3, first 2 shown]
	s_waitcnt lgkmcnt(3)
	v_sub_f32_e32 v6, v28, v6
	v_mov_b32_e32 v14, v39
	v_mul_f32_e32 v6, v44, v6
	v_pk_add_f32 v[4:5], v[14:15], v[4:5]
	s_waitcnt lgkmcnt(2)
	v_mul_f32_e32 v15, v6, v2
	s_waitcnt lgkmcnt(1)
	v_sub_f32_e32 v2, v29, v8
	ds_bpermute_b32 v6, v122, v124 offset:48
	v_mul_f32_e32 v2, v45, v2
	s_waitcnt lgkmcnt(1)
	v_mul_f32_e32 v17, v2, v10
	ds_bpermute_b32 v2, v122, v123 offset:48
	ds_bpermute_b32 v8, v122, v124 offset:52
	;; [unrolled: 1-line block ×3, first 2 shown]
	s_waitcnt lgkmcnt(3)
	v_sub_f32_e32 v6, v30, v6
	v_mul_f32_e32 v6, v46, v6
	s_waitcnt lgkmcnt(2)
	v_mul_f32_e32 v19, v6, v2
	s_waitcnt lgkmcnt(1)
	v_sub_f32_e32 v2, v31, v8
	v_mul_f32_e32 v2, v47, v2
	v_mov_b32_e32 v6, v40
	s_waitcnt lgkmcnt(0)
	v_mul_f32_e32 v21, v2, v10
	v_pk_add_f32 v[4:5], v[6:7], v[4:5]
	v_mov_b32_e32 v8, v41
	ds_bpermute_b32 v2, v122, v124 offset:56
	v_pk_add_f32 v[4:5], v[8:9], v[4:5]
	v_mov_b32_e32 v10, v42
	v_pk_add_f32 v[4:5], v[10:11], v[4:5]
	v_mov_b32_e32 v12, v43
	ds_bpermute_b32 v7, v122, v123 offset:56
	v_pk_add_f32 v[4:5], v[12:13], v[4:5]
	v_mov_b32_e32 v14, v44
	v_pk_add_f32 v[4:5], v[14:15], v[4:5]
	v_mov_b32_e32 v16, v45
	;; [unrolled: 2-line block ×3, first 2 shown]
	s_waitcnt lgkmcnt(1)
	v_sub_f32_e32 v8, v32, v2
	v_pk_add_f32 v[4:5], v[18:19], v[4:5]
	v_mov_b32_e32 v20, v47
	v_mul_f32_e32 v8, v48, v8
	v_pk_add_f32 v[4:5], v[20:21], v[4:5]
	s_waitcnt lgkmcnt(0)
	v_mul_f32_e32 v9, v8, v7
	v_mov_b32_e32 v8, v48
	ds_bpermute_b32 v2, v122, v123 offset:60
	ds_bpermute_b32 v6, v122, v124 offset:60
	v_pk_add_f32 v[4:5], v[8:9], v[4:5]
.LBB105_4:                              ;   in Loop: Header=BB105_5 Depth=1
	s_waitcnt lgkmcnt(0)
	v_sub_f32_e32 v6, v33, v6
	v_mul_f32_e32 v6, v49, v6
	v_mul_f32_e32 v7, v6, v2
	v_mov_b32_e32 v6, v49
	s_add_u32 s78, s78, s3
	v_pk_add_f32 v[98:99], v[4:5], v[6:7]
	s_addc_u32 s79, s79, 0
	v_mov_b64_e32 v[4:5], s[24:25]
	s_add_u32 s44, s44, s3
	v_cmp_lt_i64_e32 vcc, s[78:79], v[4:5]
	v_lshl_add_u64 v[52:53], v[52:53], 0, s[42:43]
	v_lshl_add_u64 v[54:55], v[54:55], 0, s[42:43]
	v_lshl_add_u64 v[56:57], v[56:57], 0, s[42:43]
	v_lshl_add_u64 v[58:59], v[58:59], 0, s[42:43]
	v_lshl_add_u64 v[60:61], v[60:61], 0, s[42:43]
	v_lshl_add_u64 v[62:63], v[62:63], 0, s[42:43]
	v_lshl_add_u64 v[64:65], v[64:65], 0, s[42:43]
	v_lshl_add_u64 v[66:67], v[66:67], 0, s[42:43]
	v_lshl_add_u64 v[68:69], v[68:69], 0, s[42:43]
	v_lshl_add_u64 v[70:71], v[70:71], 0, s[42:43]
	v_lshl_add_u64 v[72:73], v[72:73], 0, s[42:43]
	v_lshl_add_u64 v[74:75], v[74:75], 0, s[42:43]
	v_lshl_add_u64 v[76:77], v[76:77], 0, s[42:43]
	v_lshl_add_u64 v[78:79], v[78:79], 0, s[42:43]
	v_lshl_add_u64 v[80:81], v[80:81], 0, s[42:43]
	v_lshl_add_u64 v[82:83], v[82:83], 0, s[42:43]
	v_lshl_add_u64 v[84:85], v[84:85], 0, s[42:43]
	v_lshl_add_u64 v[86:87], v[86:87], 0, s[42:43]
	v_lshl_add_u64 v[88:89], v[88:89], 0, s[42:43]
	v_lshl_add_u64 v[90:91], v[90:91], 0, s[42:43]
	v_lshl_add_u64 v[92:93], v[92:93], 0, s[42:43]
	v_lshl_add_u64 v[94:95], v[94:95], 0, s[42:43]
	v_lshl_add_u64 v[96:97], v[96:97], 0, s[42:43]
	v_lshl_add_u64 v[100:101], v[100:101], 0, s[42:43]
	v_lshl_add_u64 v[102:103], v[102:103], 0, s[42:43]
	v_lshl_add_u64 v[104:105], v[104:105], 0, s[42:43]
	v_lshl_add_u64 v[106:107], v[106:107], 0, s[42:43]
	v_lshl_add_u64 v[108:109], v[108:109], 0, s[42:43]
	v_lshl_add_u64 v[110:111], v[110:111], 0, s[42:43]
	v_lshl_add_u64 v[112:113], v[112:113], 0, s[42:43]
	s_addc_u32 s45, s45, 0
	v_lshl_add_u64 v[114:115], v[114:115], 0, s[42:43]
	v_lshl_add_u64 v[116:117], v[116:117], 0, s[42:43]
	s_cbranch_vccz .LBB105_81
.LBB105_5:                              ; =>This Inner Loop Header: Depth=1
	v_mov_b64_e32 v[4:5], s[24:25]
	v_cmp_ge_i64_e32 vcc, s[44:45], v[4:5]
	v_lshl_add_u64 v[118:119], v[0:1], 0, s[44:45]
	s_cbranch_vccz .LBB105_43
; %bb.6:                                ;   in Loop: Header=BB105_5 Depth=1
	s_load_dword s9, s[40:41], 0xc
	v_mov_b32_e32 v123, 0
	v_mov_b32_e32 v124, 0
	s_waitcnt lgkmcnt(0)
	s_and_b32 s9, s9, 0xffff
	v_mad_u32_u24 v2, v121, s9, v120
	v_and_b32_e32 v2, 63, v2
	v_cmp_gt_u32_e32 vcc, 16, v2
	s_and_saveexec_b64 s[10:11], vcc
	s_cbranch_execz .LBB105_10
; %bb.7:                                ;   in Loop: Header=BB105_5 Depth=1
	v_lshl_add_u64 v[4:5], v[118:119], 0, v[2:3]
	v_lshl_add_u64 v[4:5], v[4:5], 0, s[46:47]
	v_cmp_gt_i64_e32 vcc, s[24:25], v[4:5]
	v_mov_b32_e32 v124, 0
	v_mov_b32_e32 v123, 0
	s_and_saveexec_b64 s[12:13], vcc
	s_cbranch_execz .LBB105_9
; %bb.8:                                ;   in Loop: Header=BB105_5 Depth=1
	v_lshlrev_b64 v[4:5], 2, v[4:5]
	v_lshl_add_u64 v[6:7], s[38:39], 0, v[4:5]
	v_lshl_add_u64 v[4:5], s[36:37], 0, v[4:5]
	global_load_dword v124, v[4:5], off
	global_load_dword v123, v[6:7], off
.LBB105_9:                              ;   in Loop: Header=BB105_5 Depth=1
	s_or_b64 exec, exec, s[12:13]
.LBB105_10:                             ;   in Loop: Header=BB105_5 Depth=1
	s_or_b64 exec, exec, s[10:11]
	s_mov_b32 s22, s8
	s_mov_b32 s23, s8
	v_lshl_add_u64 v[4:5], v[118:119], 0, s[46:47]
	s_mov_b32 s9, s8
	s_mov_b32 s10, s8
	;; [unrolled: 1-line block ×13, first 2 shown]
	v_mov_b64_e32 v[32:33], s[22:23]
	v_cmp_gt_i64_e32 vcc, s[24:25], v[4:5]
	v_mov_b64_e32 v[30:31], s[20:21]
	v_mov_b64_e32 v[28:29], s[18:19]
	;; [unrolled: 1-line block ×8, first 2 shown]
	s_and_b64 s[80:81], s[6:7], vcc
	v_mov_b64_e32 v[46:47], v[30:31]
	v_mov_b64_e32 v[44:45], v[28:29]
	;; [unrolled: 1-line block ×7, first 2 shown]
	s_and_saveexec_b64 s[10:11], s[80:81]
	s_cbranch_execz .LBB105_12
; %bb.11:                               ;   in Loop: Header=BB105_5 Depth=1
	v_lshl_add_u64 v[4:5], v[114:115], 0, v[50:51]
	global_load_ushort v2, v[4:5], off
	v_lshl_add_u64 v[4:5], v[116:117], 0, v[50:51]
	global_load_ushort v18, v[4:5], off
	v_mov_b32_e32 v16, v3
	v_mov_b32_e32 v17, v3
	;; [unrolled: 1-line block ×29, first 2 shown]
	s_waitcnt vmcnt(1)
	v_lshlrev_b32_e32 v2, 16, v2
	v_mov_b64_e32 v[48:49], v[16:17]
	s_waitcnt vmcnt(0)
	v_lshlrev_b32_e32 v18, 16, v18
	v_mov_b64_e32 v[46:47], v[14:15]
	v_mov_b64_e32 v[44:45], v[12:13]
	;; [unrolled: 1-line block ×7, first 2 shown]
.LBB105_12:                             ;   in Loop: Header=BB105_5 Depth=1
	s_or_b64 exec, exec, s[10:11]
	v_lshl_add_u64 v[4:5], v[118:119], 0, s[48:49]
	v_cmp_gt_i64_e32 vcc, s[24:25], v[4:5]
	s_and_b64 s[12:13], s[6:7], vcc
	s_and_saveexec_b64 s[10:11], s[12:13]
	s_cbranch_execz .LBB105_14
; %bb.13:                               ;   in Loop: Header=BB105_5 Depth=1
	v_lshl_add_u64 v[4:5], v[110:111], 0, v[50:51]
	global_load_ushort v2, v[4:5], off
	v_lshl_add_u64 v[4:5], v[112:113], 0, v[50:51]
	global_load_ushort v4, v[4:5], off
	s_waitcnt vmcnt(1)
	v_lshlrev_b32_e32 v35, 16, v2
	s_waitcnt vmcnt(0)
	v_lshlrev_b32_e32 v19, 16, v4
.LBB105_14:                             ;   in Loop: Header=BB105_5 Depth=1
	s_or_b64 exec, exec, s[10:11]
	v_lshl_add_u64 v[4:5], v[118:119], 0, s[50:51]
	v_cmp_gt_i64_e32 vcc, s[24:25], v[4:5]
	s_and_b64 s[12:13], s[6:7], vcc
	s_and_saveexec_b64 s[10:11], s[12:13]
	s_cbranch_execz .LBB105_16
; %bb.15:                               ;   in Loop: Header=BB105_5 Depth=1
	v_lshl_add_u64 v[4:5], v[106:107], 0, v[50:51]
	global_load_ushort v2, v[4:5], off
	v_lshl_add_u64 v[4:5], v[108:109], 0, v[50:51]
	global_load_ushort v4, v[4:5], off
	s_waitcnt vmcnt(1)
	v_lshlrev_b32_e32 v36, 16, v2
	s_waitcnt vmcnt(0)
	v_lshlrev_b32_e32 v20, 16, v4
.LBB105_16:                             ;   in Loop: Header=BB105_5 Depth=1
	s_or_b64 exec, exec, s[10:11]
	v_lshl_add_u64 v[4:5], v[118:119], 0, s[52:53]
	v_cmp_gt_i64_e32 vcc, s[24:25], v[4:5]
	s_and_b64 s[12:13], s[6:7], vcc
	s_and_saveexec_b64 s[10:11], s[12:13]
	s_cbranch_execz .LBB105_18
; %bb.17:                               ;   in Loop: Header=BB105_5 Depth=1
	v_lshl_add_u64 v[4:5], v[102:103], 0, v[50:51]
	global_load_ushort v2, v[4:5], off
	v_lshl_add_u64 v[4:5], v[104:105], 0, v[50:51]
	global_load_ushort v4, v[4:5], off
	s_waitcnt vmcnt(1)
	v_lshlrev_b32_e32 v37, 16, v2
	s_waitcnt vmcnt(0)
	v_lshlrev_b32_e32 v21, 16, v4
.LBB105_18:                             ;   in Loop: Header=BB105_5 Depth=1
	s_or_b64 exec, exec, s[10:11]
	v_lshl_add_u64 v[4:5], v[118:119], 0, s[54:55]
	v_cmp_gt_i64_e32 vcc, s[24:25], v[4:5]
	s_and_b64 s[12:13], s[6:7], vcc
	s_and_saveexec_b64 s[10:11], s[12:13]
	s_cbranch_execz .LBB105_20
; %bb.19:                               ;   in Loop: Header=BB105_5 Depth=1
	v_lshl_add_u64 v[4:5], v[96:97], 0, v[50:51]
	global_load_ushort v2, v[4:5], off
	v_lshl_add_u64 v[4:5], v[100:101], 0, v[50:51]
	global_load_ushort v4, v[4:5], off
	s_waitcnt vmcnt(1)
	v_lshlrev_b32_e32 v38, 16, v2
	s_waitcnt vmcnt(0)
	v_lshlrev_b32_e32 v22, 16, v4
.LBB105_20:                             ;   in Loop: Header=BB105_5 Depth=1
	s_or_b64 exec, exec, s[10:11]
	v_lshl_add_u64 v[4:5], v[118:119], 0, s[56:57]
	v_cmp_gt_i64_e32 vcc, s[24:25], v[4:5]
	s_and_b64 s[12:13], s[6:7], vcc
	s_and_saveexec_b64 s[10:11], s[12:13]
	s_cbranch_execz .LBB105_22
; %bb.21:                               ;   in Loop: Header=BB105_5 Depth=1
	v_lshl_add_u64 v[4:5], v[92:93], 0, v[50:51]
	global_load_ushort v2, v[4:5], off
	v_lshl_add_u64 v[4:5], v[94:95], 0, v[50:51]
	global_load_ushort v4, v[4:5], off
	s_waitcnt vmcnt(1)
	v_lshlrev_b32_e32 v39, 16, v2
	s_waitcnt vmcnt(0)
	v_lshlrev_b32_e32 v23, 16, v4
.LBB105_22:                             ;   in Loop: Header=BB105_5 Depth=1
	s_or_b64 exec, exec, s[10:11]
	v_lshl_add_u64 v[4:5], v[118:119], 0, s[58:59]
	v_cmp_gt_i64_e32 vcc, s[24:25], v[4:5]
	s_and_b64 s[12:13], s[6:7], vcc
	s_and_saveexec_b64 s[10:11], s[12:13]
	s_cbranch_execz .LBB105_24
; %bb.23:                               ;   in Loop: Header=BB105_5 Depth=1
	v_lshl_add_u64 v[4:5], v[88:89], 0, v[50:51]
	global_load_ushort v2, v[4:5], off
	v_lshl_add_u64 v[4:5], v[90:91], 0, v[50:51]
	global_load_ushort v4, v[4:5], off
	s_waitcnt vmcnt(1)
	v_lshlrev_b32_e32 v40, 16, v2
	s_waitcnt vmcnt(0)
	v_lshlrev_b32_e32 v24, 16, v4
.LBB105_24:                             ;   in Loop: Header=BB105_5 Depth=1
	s_or_b64 exec, exec, s[10:11]
	v_lshl_add_u64 v[4:5], v[118:119], 0, s[60:61]
	v_cmp_gt_i64_e32 vcc, s[24:25], v[4:5]
	s_and_b64 s[12:13], s[6:7], vcc
	s_and_saveexec_b64 s[10:11], s[12:13]
	s_cbranch_execz .LBB105_26
; %bb.25:                               ;   in Loop: Header=BB105_5 Depth=1
	v_lshl_add_u64 v[4:5], v[84:85], 0, v[50:51]
	global_load_ushort v2, v[4:5], off
	v_lshl_add_u64 v[4:5], v[86:87], 0, v[50:51]
	global_load_ushort v4, v[4:5], off
	s_waitcnt vmcnt(1)
	v_lshlrev_b32_e32 v41, 16, v2
	s_waitcnt vmcnt(0)
	v_lshlrev_b32_e32 v25, 16, v4
.LBB105_26:                             ;   in Loop: Header=BB105_5 Depth=1
	s_or_b64 exec, exec, s[10:11]
	v_lshl_add_u64 v[4:5], v[118:119], 0, s[62:63]
	v_cmp_gt_i64_e32 vcc, s[24:25], v[4:5]
	s_and_b64 s[12:13], s[6:7], vcc
	s_and_saveexec_b64 s[10:11], s[12:13]
	s_cbranch_execz .LBB105_28
; %bb.27:                               ;   in Loop: Header=BB105_5 Depth=1
	v_lshl_add_u64 v[4:5], v[80:81], 0, v[50:51]
	global_load_ushort v2, v[4:5], off
	v_lshl_add_u64 v[4:5], v[82:83], 0, v[50:51]
	global_load_ushort v4, v[4:5], off
	s_waitcnt vmcnt(1)
	v_lshlrev_b32_e32 v42, 16, v2
	s_waitcnt vmcnt(0)
	v_lshlrev_b32_e32 v26, 16, v4
.LBB105_28:                             ;   in Loop: Header=BB105_5 Depth=1
	s_or_b64 exec, exec, s[10:11]
	v_lshl_add_u64 v[4:5], v[118:119], 0, s[64:65]
	v_cmp_gt_i64_e32 vcc, s[24:25], v[4:5]
	s_and_b64 s[12:13], s[6:7], vcc
	s_and_saveexec_b64 s[10:11], s[12:13]
	s_cbranch_execz .LBB105_30
; %bb.29:                               ;   in Loop: Header=BB105_5 Depth=1
	v_lshl_add_u64 v[4:5], v[76:77], 0, v[50:51]
	global_load_ushort v2, v[4:5], off
	v_lshl_add_u64 v[4:5], v[78:79], 0, v[50:51]
	global_load_ushort v4, v[4:5], off
	s_waitcnt vmcnt(1)
	v_lshlrev_b32_e32 v43, 16, v2
	s_waitcnt vmcnt(0)
	v_lshlrev_b32_e32 v27, 16, v4
.LBB105_30:                             ;   in Loop: Header=BB105_5 Depth=1
	s_or_b64 exec, exec, s[10:11]
	v_lshl_add_u64 v[4:5], v[118:119], 0, s[66:67]
	v_cmp_gt_i64_e32 vcc, s[24:25], v[4:5]
	s_and_b64 s[12:13], s[6:7], vcc
	s_and_saveexec_b64 s[10:11], s[12:13]
	s_cbranch_execz .LBB105_32
; %bb.31:                               ;   in Loop: Header=BB105_5 Depth=1
	v_lshl_add_u64 v[4:5], v[72:73], 0, v[50:51]
	global_load_ushort v2, v[4:5], off
	v_lshl_add_u64 v[4:5], v[74:75], 0, v[50:51]
	global_load_ushort v4, v[4:5], off
	s_waitcnt vmcnt(1)
	v_lshlrev_b32_e32 v44, 16, v2
	s_waitcnt vmcnt(0)
	v_lshlrev_b32_e32 v28, 16, v4
.LBB105_32:                             ;   in Loop: Header=BB105_5 Depth=1
	s_or_b64 exec, exec, s[10:11]
	v_lshl_add_u64 v[4:5], v[118:119], 0, s[68:69]
	v_cmp_gt_i64_e32 vcc, s[24:25], v[4:5]
	s_and_b64 s[12:13], s[6:7], vcc
	s_and_saveexec_b64 s[10:11], s[12:13]
	s_cbranch_execz .LBB105_34
; %bb.33:                               ;   in Loop: Header=BB105_5 Depth=1
	v_lshl_add_u64 v[4:5], v[68:69], 0, v[50:51]
	global_load_ushort v2, v[4:5], off
	v_lshl_add_u64 v[4:5], v[70:71], 0, v[50:51]
	global_load_ushort v4, v[4:5], off
	s_waitcnt vmcnt(1)
	v_lshlrev_b32_e32 v45, 16, v2
	s_waitcnt vmcnt(0)
	v_lshlrev_b32_e32 v29, 16, v4
.LBB105_34:                             ;   in Loop: Header=BB105_5 Depth=1
	s_or_b64 exec, exec, s[10:11]
	v_lshl_add_u64 v[4:5], v[118:119], 0, s[70:71]
	v_cmp_gt_i64_e32 vcc, s[24:25], v[4:5]
	s_and_b64 s[12:13], s[6:7], vcc
	s_and_saveexec_b64 s[10:11], s[12:13]
	s_cbranch_execz .LBB105_36
; %bb.35:                               ;   in Loop: Header=BB105_5 Depth=1
	v_lshl_add_u64 v[4:5], v[64:65], 0, v[50:51]
	global_load_ushort v2, v[4:5], off
	v_lshl_add_u64 v[4:5], v[66:67], 0, v[50:51]
	global_load_ushort v4, v[4:5], off
	s_waitcnt vmcnt(1)
	v_lshlrev_b32_e32 v46, 16, v2
	s_waitcnt vmcnt(0)
	v_lshlrev_b32_e32 v30, 16, v4
.LBB105_36:                             ;   in Loop: Header=BB105_5 Depth=1
	s_or_b64 exec, exec, s[10:11]
	v_lshl_add_u64 v[4:5], v[118:119], 0, s[72:73]
	v_cmp_gt_i64_e32 vcc, s[24:25], v[4:5]
	s_and_b64 s[12:13], s[6:7], vcc
	s_and_saveexec_b64 s[10:11], s[12:13]
	s_cbranch_execz .LBB105_38
; %bb.37:                               ;   in Loop: Header=BB105_5 Depth=1
	v_lshl_add_u64 v[4:5], v[60:61], 0, v[50:51]
	global_load_ushort v2, v[4:5], off
	v_lshl_add_u64 v[4:5], v[62:63], 0, v[50:51]
	global_load_ushort v4, v[4:5], off
	s_waitcnt vmcnt(1)
	v_lshlrev_b32_e32 v47, 16, v2
	s_waitcnt vmcnt(0)
	v_lshlrev_b32_e32 v31, 16, v4
.LBB105_38:                             ;   in Loop: Header=BB105_5 Depth=1
	s_or_b64 exec, exec, s[10:11]
	v_lshl_add_u64 v[4:5], v[118:119], 0, s[74:75]
	v_cmp_gt_i64_e32 vcc, s[24:25], v[4:5]
	s_and_b64 s[12:13], s[6:7], vcc
	s_and_saveexec_b64 s[10:11], s[12:13]
	s_cbranch_execz .LBB105_40
; %bb.39:                               ;   in Loop: Header=BB105_5 Depth=1
	v_lshl_add_u64 v[4:5], v[56:57], 0, v[50:51]
	global_load_ushort v2, v[4:5], off
	v_lshl_add_u64 v[4:5], v[58:59], 0, v[50:51]
	global_load_ushort v4, v[4:5], off
	s_waitcnt vmcnt(1)
	v_lshlrev_b32_e32 v48, 16, v2
	s_waitcnt vmcnt(0)
	v_lshlrev_b32_e32 v32, 16, v4
.LBB105_40:                             ;   in Loop: Header=BB105_5 Depth=1
	s_or_b64 exec, exec, s[10:11]
	v_lshl_add_u64 v[4:5], v[118:119], 0, s[76:77]
	v_cmp_gt_i64_e32 vcc, s[24:25], v[4:5]
	s_and_b64 s[12:13], s[6:7], vcc
	s_and_saveexec_b64 s[10:11], s[12:13]
	s_cbranch_execz .LBB105_42
; %bb.41:                               ;   in Loop: Header=BB105_5 Depth=1
	v_lshl_add_u64 v[4:5], v[52:53], 0, v[50:51]
	global_load_ushort v2, v[4:5], off
	v_lshl_add_u64 v[4:5], v[54:55], 0, v[50:51]
	global_load_ushort v4, v[4:5], off
	s_waitcnt vmcnt(1)
	v_lshlrev_b32_e32 v49, 16, v2
	s_waitcnt vmcnt(0)
	v_lshlrev_b32_e32 v33, 16, v4
.LBB105_42:                             ;   in Loop: Header=BB105_5 Depth=1
	s_or_b64 exec, exec, s[10:11]
	s_waitcnt vmcnt(1)
	ds_bpermute_b32 v2, v122, v124
	ds_bpermute_b32 v4, v122, v124 offset:4
	s_waitcnt vmcnt(0)
	ds_bpermute_b32 v5, v122, v123
	ds_bpermute_b32 v6, v122, v123 offset:4
	ds_bpermute_b32 v8, v122, v123 offset:12
	s_waitcnt lgkmcnt(4)
	v_sub_f32_e32 v2, v18, v2
	v_mul_f32_e32 v2, v34, v2
	s_waitcnt lgkmcnt(3)
	v_sub_f32_e32 v4, v19, v4
	s_waitcnt lgkmcnt(2)
	v_mul_f32_e32 v5, v2, v5
	ds_bpermute_b32 v2, v122, v124 offset:8
	v_mul_f32_e32 v4, v35, v4
	s_waitcnt lgkmcnt(2)
	v_mul_f32_e32 v7, v4, v6
	ds_bpermute_b32 v4, v122, v123 offset:8
	ds_bpermute_b32 v6, v122, v124 offset:12
	s_waitcnt lgkmcnt(2)
	v_sub_f32_e32 v2, v20, v2
	v_mul_f32_e32 v2, v36, v2
	v_mov_b32_e32 v10, v37
	s_waitcnt lgkmcnt(1)
	v_mul_f32_e32 v9, v2, v4
	s_waitcnt lgkmcnt(0)
	v_sub_f32_e32 v2, v21, v6
	ds_bpermute_b32 v4, v122, v124 offset:16
	v_mul_f32_e32 v2, v37, v2
	v_mul_f32_e32 v11, v2, v8
	ds_bpermute_b32 v2, v122, v123 offset:16
	ds_bpermute_b32 v6, v122, v124 offset:20
	;; [unrolled: 1-line block ×3, first 2 shown]
	s_waitcnt lgkmcnt(3)
	v_sub_f32_e32 v4, v22, v4
	v_mul_f32_e32 v4, v38, v4
	s_waitcnt lgkmcnt(2)
	v_mul_f32_e32 v13, v4, v2
	s_waitcnt lgkmcnt(1)
	v_sub_f32_e32 v2, v23, v6
	v_mul_f32_e32 v2, v39, v2
	v_mov_b32_e32 v4, v34
	s_waitcnt lgkmcnt(0)
	v_mul_f32_e32 v15, v2, v8
	v_pk_add_f32 v[4:5], v[98:99], v[4:5]
	v_mov_b32_e32 v6, v35
	ds_bpermute_b32 v2, v122, v124 offset:24
	v_pk_add_f32 v[4:5], v[6:7], v[4:5]
	v_mov_b32_e32 v8, v36
	v_pk_add_f32 v[4:5], v[8:9], v[4:5]
	ds_bpermute_b32 v6, v122, v123 offset:24
	ds_bpermute_b32 v8, v122, v124 offset:28
	;; [unrolled: 1-line block ×3, first 2 shown]
	s_waitcnt lgkmcnt(3)
	v_sub_f32_e32 v2, v24, v2
	v_mul_f32_e32 v2, v40, v2
	s_waitcnt lgkmcnt(2)
	v_mul_f32_e32 v7, v2, v6
	s_waitcnt lgkmcnt(1)
	v_sub_f32_e32 v2, v25, v8
	ds_bpermute_b32 v6, v122, v124 offset:32
	v_mul_f32_e32 v2, v41, v2
	s_waitcnt lgkmcnt(1)
	v_mul_f32_e32 v9, v2, v9
	ds_bpermute_b32 v2, v122, v123 offset:32
	ds_bpermute_b32 v8, v122, v124 offset:36
	v_pk_add_f32 v[4:5], v[10:11], v[4:5]
	ds_bpermute_b32 v10, v122, v123 offset:36
	s_waitcnt lgkmcnt(3)
	v_sub_f32_e32 v6, v26, v6
	v_mul_f32_e32 v6, v42, v6
	s_waitcnt lgkmcnt(2)
	v_mul_f32_e32 v11, v6, v2
	s_waitcnt lgkmcnt(1)
	v_sub_f32_e32 v2, v27, v8
	ds_bpermute_b32 v6, v122, v124 offset:40
	v_mov_b32_e32 v12, v38
	v_mul_f32_e32 v2, v43, v2
	v_pk_add_f32 v[4:5], v[12:13], v[4:5]
	s_waitcnt lgkmcnt(1)
	v_mul_f32_e32 v13, v2, v10
	ds_bpermute_b32 v2, v122, v123 offset:40
	ds_bpermute_b32 v8, v122, v124 offset:44
	;; [unrolled: 1-line block ×3, first 2 shown]
	s_waitcnt lgkmcnt(3)
	v_sub_f32_e32 v6, v28, v6
	v_mov_b32_e32 v14, v39
	v_mul_f32_e32 v6, v44, v6
	v_pk_add_f32 v[4:5], v[14:15], v[4:5]
	s_waitcnt lgkmcnt(2)
	v_mul_f32_e32 v15, v6, v2
	s_waitcnt lgkmcnt(1)
	v_sub_f32_e32 v2, v29, v8
	ds_bpermute_b32 v6, v122, v124 offset:48
	v_mul_f32_e32 v2, v45, v2
	s_waitcnt lgkmcnt(1)
	v_mul_f32_e32 v17, v2, v10
	ds_bpermute_b32 v2, v122, v123 offset:48
	ds_bpermute_b32 v8, v122, v124 offset:52
	;; [unrolled: 1-line block ×3, first 2 shown]
	s_waitcnt lgkmcnt(3)
	v_sub_f32_e32 v6, v30, v6
	v_mul_f32_e32 v6, v46, v6
	s_waitcnt lgkmcnt(2)
	v_mul_f32_e32 v19, v6, v2
	s_waitcnt lgkmcnt(1)
	v_sub_f32_e32 v2, v31, v8
	v_mul_f32_e32 v2, v47, v2
	s_waitcnt lgkmcnt(0)
	v_mul_f32_e32 v21, v2, v10
	ds_bpermute_b32 v2, v122, v124 offset:56
	v_mov_b32_e32 v6, v40
	v_pk_add_f32 v[4:5], v[6:7], v[4:5]
	v_mov_b32_e32 v8, v41
	v_pk_add_f32 v[4:5], v[8:9], v[4:5]
	;; [unrolled: 2-line block ×3, first 2 shown]
	v_mov_b32_e32 v12, v43
	ds_bpermute_b32 v7, v122, v123 offset:56
	v_pk_add_f32 v[4:5], v[12:13], v[4:5]
	v_mov_b32_e32 v14, v44
	s_waitcnt lgkmcnt(1)
	v_sub_f32_e32 v2, v32, v2
	v_pk_add_f32 v[4:5], v[14:15], v[4:5]
	v_mov_b32_e32 v16, v45
	v_mul_f32_e32 v8, v48, v2
	ds_bpermute_b32 v2, v122, v123 offset:60
	ds_bpermute_b32 v6, v122, v124 offset:60
	v_pk_add_f32 v[4:5], v[16:17], v[4:5]
	v_mov_b32_e32 v18, v46
	v_pk_add_f32 v[4:5], v[18:19], v[4:5]
	v_mov_b32_e32 v20, v47
	v_pk_add_f32 v[4:5], v[20:21], v[4:5]
	s_waitcnt lgkmcnt(2)
	v_mul_f32_e32 v9, v8, v7
	v_mov_b32_e32 v8, v48
	v_pk_add_f32 v[4:5], v[8:9], v[4:5]
	s_branch .LBB105_4
.LBB105_43:                             ;   in Loop: Header=BB105_5 Depth=1
                                        ; implicit-def: $vgpr4_vgpr5
                                        ; implicit-def: $vgpr2
                                        ; implicit-def: $vgpr18_vgpr19_vgpr20_vgpr21_vgpr22_vgpr23_vgpr24_vgpr25_vgpr26_vgpr27_vgpr28_vgpr29_vgpr30_vgpr31_vgpr32_vgpr33
                                        ; implicit-def: $vgpr34_vgpr35_vgpr36_vgpr37_vgpr38_vgpr39_vgpr40_vgpr41_vgpr42_vgpr43_vgpr44_vgpr45_vgpr46_vgpr47_vgpr48_vgpr49
                                        ; implicit-def: $vgpr6
	s_cbranch_execz .LBB105_4
; %bb.44:                               ;   in Loop: Header=BB105_5 Depth=1
	s_load_dword s9, s[40:41], 0x0
	v_mov_b32_e32 v123, 0
	v_mov_b32_e32 v124, 0
	s_waitcnt lgkmcnt(0)
	s_cmp_lt_u32 s2, s9
	s_cselect_b32 s9, 12, 18
	s_add_u32 s10, s40, s9
	s_addc_u32 s11, s41, 0
	global_load_ushort v2, v3, s[10:11]
	s_waitcnt vmcnt(0)
	v_mad_u32_u24 v2, v121, v2, v120
	v_and_b32_e32 v2, 63, v2
	v_cmp_gt_u32_e32 vcc, 16, v2
	s_and_saveexec_b64 s[10:11], vcc
	s_cbranch_execz .LBB105_48
; %bb.45:                               ;   in Loop: Header=BB105_5 Depth=1
	v_lshl_add_u64 v[4:5], v[118:119], 0, v[2:3]
	v_lshl_add_u64 v[4:5], v[4:5], 0, s[46:47]
	v_cmp_gt_i64_e32 vcc, s[24:25], v[4:5]
	v_mov_b32_e32 v124, 0
	v_mov_b32_e32 v123, 0
	s_and_saveexec_b64 s[12:13], vcc
	s_cbranch_execz .LBB105_47
; %bb.46:                               ;   in Loop: Header=BB105_5 Depth=1
	v_lshlrev_b64 v[4:5], 2, v[4:5]
	v_lshl_add_u64 v[6:7], s[38:39], 0, v[4:5]
	v_lshl_add_u64 v[4:5], s[36:37], 0, v[4:5]
	global_load_dword v124, v[4:5], off
	global_load_dword v123, v[6:7], off
.LBB105_47:                             ;   in Loop: Header=BB105_5 Depth=1
	s_or_b64 exec, exec, s[12:13]
.LBB105_48:                             ;   in Loop: Header=BB105_5 Depth=1
	s_or_b64 exec, exec, s[10:11]
	s_mov_b32 s22, s8
	s_mov_b32 s23, s8
	;; [unrolled: 1-line block ×15, first 2 shown]
	v_mov_b64_e32 v[32:33], s[22:23]
	v_mov_b64_e32 v[30:31], s[20:21]
	;; [unrolled: 1-line block ×16, first 2 shown]
	s_and_saveexec_b64 s[10:11], s[6:7]
	s_cbranch_execnz .LBB105_64
; %bb.49:                               ;   in Loop: Header=BB105_5 Depth=1
	s_or_b64 exec, exec, s[10:11]
	s_and_saveexec_b64 s[10:11], s[6:7]
	s_cbranch_execnz .LBB105_65
.LBB105_50:                             ;   in Loop: Header=BB105_5 Depth=1
	s_or_b64 exec, exec, s[10:11]
	s_and_saveexec_b64 s[10:11], s[6:7]
	s_cbranch_execnz .LBB105_66
.LBB105_51:                             ;   in Loop: Header=BB105_5 Depth=1
	s_or_b64 exec, exec, s[10:11]
	s_and_saveexec_b64 s[10:11], s[6:7]
	s_cbranch_execnz .LBB105_67
.LBB105_52:                             ;   in Loop: Header=BB105_5 Depth=1
	s_or_b64 exec, exec, s[10:11]
	s_and_saveexec_b64 s[10:11], s[6:7]
	s_cbranch_execnz .LBB105_68
.LBB105_53:                             ;   in Loop: Header=BB105_5 Depth=1
	s_or_b64 exec, exec, s[10:11]
	s_and_saveexec_b64 s[10:11], s[6:7]
	s_cbranch_execnz .LBB105_69
.LBB105_54:                             ;   in Loop: Header=BB105_5 Depth=1
	s_or_b64 exec, exec, s[10:11]
	s_and_saveexec_b64 s[10:11], s[6:7]
	s_cbranch_execnz .LBB105_70
.LBB105_55:                             ;   in Loop: Header=BB105_5 Depth=1
	s_or_b64 exec, exec, s[10:11]
	s_and_saveexec_b64 s[10:11], s[6:7]
	s_cbranch_execnz .LBB105_71
.LBB105_56:                             ;   in Loop: Header=BB105_5 Depth=1
	s_or_b64 exec, exec, s[10:11]
	s_and_saveexec_b64 s[10:11], s[6:7]
	s_cbranch_execnz .LBB105_72
.LBB105_57:                             ;   in Loop: Header=BB105_5 Depth=1
	s_or_b64 exec, exec, s[10:11]
	s_and_saveexec_b64 s[10:11], s[6:7]
	s_cbranch_execnz .LBB105_73
.LBB105_58:                             ;   in Loop: Header=BB105_5 Depth=1
	s_or_b64 exec, exec, s[10:11]
	s_and_saveexec_b64 s[10:11], s[6:7]
	s_cbranch_execnz .LBB105_74
.LBB105_59:                             ;   in Loop: Header=BB105_5 Depth=1
	s_or_b64 exec, exec, s[10:11]
	s_and_saveexec_b64 s[10:11], s[6:7]
	s_cbranch_execnz .LBB105_75
.LBB105_60:                             ;   in Loop: Header=BB105_5 Depth=1
	s_or_b64 exec, exec, s[10:11]
	s_and_saveexec_b64 s[10:11], s[6:7]
	s_cbranch_execnz .LBB105_76
.LBB105_61:                             ;   in Loop: Header=BB105_5 Depth=1
	s_or_b64 exec, exec, s[10:11]
	s_and_saveexec_b64 s[10:11], s[6:7]
	s_cbranch_execnz .LBB105_77
.LBB105_62:                             ;   in Loop: Header=BB105_5 Depth=1
	s_or_b64 exec, exec, s[10:11]
	s_and_saveexec_b64 s[10:11], s[6:7]
	s_cbranch_execnz .LBB105_78
.LBB105_63:                             ;   in Loop: Header=BB105_5 Depth=1
	s_or_b64 exec, exec, s[10:11]
	s_and_saveexec_b64 s[10:11], s[6:7]
	s_cbranch_execz .LBB105_3
	s_branch .LBB105_79
.LBB105_64:                             ;   in Loop: Header=BB105_5 Depth=1
	v_lshl_add_u64 v[4:5], v[114:115], 0, v[50:51]
	global_load_ushort v2, v[4:5], off
	v_lshl_add_u64 v[4:5], v[116:117], 0, v[50:51]
	global_load_ushort v18, v[4:5], off
	v_mov_b32_e32 v16, v3
	v_mov_b32_e32 v17, v3
	;; [unrolled: 1-line block ×29, first 2 shown]
	s_waitcnt vmcnt(1)
	v_lshlrev_b32_e32 v2, 16, v2
	v_mov_b64_e32 v[48:49], v[16:17]
	s_waitcnt vmcnt(0)
	v_lshlrev_b32_e32 v18, 16, v18
	v_mov_b64_e32 v[46:47], v[14:15]
	v_mov_b64_e32 v[44:45], v[12:13]
	;; [unrolled: 1-line block ×7, first 2 shown]
	s_or_b64 exec, exec, s[10:11]
	s_and_saveexec_b64 s[10:11], s[6:7]
	s_cbranch_execz .LBB105_50
.LBB105_65:                             ;   in Loop: Header=BB105_5 Depth=1
	v_lshl_add_u64 v[4:5], v[110:111], 0, v[50:51]
	global_load_ushort v2, v[4:5], off
	v_lshl_add_u64 v[4:5], v[112:113], 0, v[50:51]
	global_load_ushort v4, v[4:5], off
	s_waitcnt vmcnt(1)
	v_lshlrev_b32_e32 v35, 16, v2
	s_waitcnt vmcnt(0)
	v_lshlrev_b32_e32 v19, 16, v4
	s_or_b64 exec, exec, s[10:11]
	s_and_saveexec_b64 s[10:11], s[6:7]
	s_cbranch_execz .LBB105_51
.LBB105_66:                             ;   in Loop: Header=BB105_5 Depth=1
	v_lshl_add_u64 v[4:5], v[106:107], 0, v[50:51]
	global_load_ushort v2, v[4:5], off
	v_lshl_add_u64 v[4:5], v[108:109], 0, v[50:51]
	global_load_ushort v4, v[4:5], off
	s_waitcnt vmcnt(1)
	v_lshlrev_b32_e32 v36, 16, v2
	s_waitcnt vmcnt(0)
	v_lshlrev_b32_e32 v20, 16, v4
	s_or_b64 exec, exec, s[10:11]
	s_and_saveexec_b64 s[10:11], s[6:7]
	s_cbranch_execz .LBB105_52
.LBB105_67:                             ;   in Loop: Header=BB105_5 Depth=1
	v_lshl_add_u64 v[4:5], v[102:103], 0, v[50:51]
	global_load_ushort v2, v[4:5], off
	v_lshl_add_u64 v[4:5], v[104:105], 0, v[50:51]
	global_load_ushort v4, v[4:5], off
	s_waitcnt vmcnt(1)
	v_lshlrev_b32_e32 v37, 16, v2
	s_waitcnt vmcnt(0)
	v_lshlrev_b32_e32 v21, 16, v4
	s_or_b64 exec, exec, s[10:11]
	s_and_saveexec_b64 s[10:11], s[6:7]
	s_cbranch_execz .LBB105_53
.LBB105_68:                             ;   in Loop: Header=BB105_5 Depth=1
	v_lshl_add_u64 v[4:5], v[96:97], 0, v[50:51]
	global_load_ushort v2, v[4:5], off
	v_lshl_add_u64 v[4:5], v[100:101], 0, v[50:51]
	global_load_ushort v4, v[4:5], off
	s_waitcnt vmcnt(1)
	v_lshlrev_b32_e32 v38, 16, v2
	s_waitcnt vmcnt(0)
	v_lshlrev_b32_e32 v22, 16, v4
	s_or_b64 exec, exec, s[10:11]
	s_and_saveexec_b64 s[10:11], s[6:7]
	s_cbranch_execz .LBB105_54
.LBB105_69:                             ;   in Loop: Header=BB105_5 Depth=1
	v_lshl_add_u64 v[4:5], v[92:93], 0, v[50:51]
	global_load_ushort v2, v[4:5], off
	v_lshl_add_u64 v[4:5], v[94:95], 0, v[50:51]
	global_load_ushort v4, v[4:5], off
	s_waitcnt vmcnt(1)
	v_lshlrev_b32_e32 v39, 16, v2
	s_waitcnt vmcnt(0)
	v_lshlrev_b32_e32 v23, 16, v4
	s_or_b64 exec, exec, s[10:11]
	s_and_saveexec_b64 s[10:11], s[6:7]
	s_cbranch_execz .LBB105_55
.LBB105_70:                             ;   in Loop: Header=BB105_5 Depth=1
	v_lshl_add_u64 v[4:5], v[88:89], 0, v[50:51]
	global_load_ushort v2, v[4:5], off
	v_lshl_add_u64 v[4:5], v[90:91], 0, v[50:51]
	global_load_ushort v4, v[4:5], off
	s_waitcnt vmcnt(1)
	v_lshlrev_b32_e32 v40, 16, v2
	s_waitcnt vmcnt(0)
	v_lshlrev_b32_e32 v24, 16, v4
	s_or_b64 exec, exec, s[10:11]
	s_and_saveexec_b64 s[10:11], s[6:7]
	s_cbranch_execz .LBB105_56
.LBB105_71:                             ;   in Loop: Header=BB105_5 Depth=1
	v_lshl_add_u64 v[4:5], v[84:85], 0, v[50:51]
	global_load_ushort v2, v[4:5], off
	v_lshl_add_u64 v[4:5], v[86:87], 0, v[50:51]
	global_load_ushort v4, v[4:5], off
	s_waitcnt vmcnt(1)
	v_lshlrev_b32_e32 v41, 16, v2
	s_waitcnt vmcnt(0)
	v_lshlrev_b32_e32 v25, 16, v4
	s_or_b64 exec, exec, s[10:11]
	s_and_saveexec_b64 s[10:11], s[6:7]
	s_cbranch_execz .LBB105_57
.LBB105_72:                             ;   in Loop: Header=BB105_5 Depth=1
	v_lshl_add_u64 v[4:5], v[80:81], 0, v[50:51]
	global_load_ushort v2, v[4:5], off
	v_lshl_add_u64 v[4:5], v[82:83], 0, v[50:51]
	global_load_ushort v4, v[4:5], off
	s_waitcnt vmcnt(1)
	v_lshlrev_b32_e32 v42, 16, v2
	s_waitcnt vmcnt(0)
	v_lshlrev_b32_e32 v26, 16, v4
	s_or_b64 exec, exec, s[10:11]
	s_and_saveexec_b64 s[10:11], s[6:7]
	s_cbranch_execz .LBB105_58
.LBB105_73:                             ;   in Loop: Header=BB105_5 Depth=1
	v_lshl_add_u64 v[4:5], v[76:77], 0, v[50:51]
	global_load_ushort v2, v[4:5], off
	v_lshl_add_u64 v[4:5], v[78:79], 0, v[50:51]
	global_load_ushort v4, v[4:5], off
	s_waitcnt vmcnt(1)
	v_lshlrev_b32_e32 v43, 16, v2
	s_waitcnt vmcnt(0)
	v_lshlrev_b32_e32 v27, 16, v4
	s_or_b64 exec, exec, s[10:11]
	s_and_saveexec_b64 s[10:11], s[6:7]
	s_cbranch_execz .LBB105_59
.LBB105_74:                             ;   in Loop: Header=BB105_5 Depth=1
	v_lshl_add_u64 v[4:5], v[72:73], 0, v[50:51]
	global_load_ushort v2, v[4:5], off
	v_lshl_add_u64 v[4:5], v[74:75], 0, v[50:51]
	global_load_ushort v4, v[4:5], off
	s_waitcnt vmcnt(1)
	v_lshlrev_b32_e32 v44, 16, v2
	s_waitcnt vmcnt(0)
	v_lshlrev_b32_e32 v28, 16, v4
	s_or_b64 exec, exec, s[10:11]
	s_and_saveexec_b64 s[10:11], s[6:7]
	s_cbranch_execz .LBB105_60
.LBB105_75:                             ;   in Loop: Header=BB105_5 Depth=1
	v_lshl_add_u64 v[4:5], v[68:69], 0, v[50:51]
	global_load_ushort v2, v[4:5], off
	v_lshl_add_u64 v[4:5], v[70:71], 0, v[50:51]
	global_load_ushort v4, v[4:5], off
	s_waitcnt vmcnt(1)
	v_lshlrev_b32_e32 v45, 16, v2
	s_waitcnt vmcnt(0)
	v_lshlrev_b32_e32 v29, 16, v4
	s_or_b64 exec, exec, s[10:11]
	s_and_saveexec_b64 s[10:11], s[6:7]
	s_cbranch_execz .LBB105_61
.LBB105_76:                             ;   in Loop: Header=BB105_5 Depth=1
	v_lshl_add_u64 v[4:5], v[64:65], 0, v[50:51]
	global_load_ushort v2, v[4:5], off
	v_lshl_add_u64 v[4:5], v[66:67], 0, v[50:51]
	global_load_ushort v4, v[4:5], off
	s_waitcnt vmcnt(1)
	v_lshlrev_b32_e32 v46, 16, v2
	s_waitcnt vmcnt(0)
	v_lshlrev_b32_e32 v30, 16, v4
	s_or_b64 exec, exec, s[10:11]
	s_and_saveexec_b64 s[10:11], s[6:7]
	s_cbranch_execz .LBB105_62
.LBB105_77:                             ;   in Loop: Header=BB105_5 Depth=1
	v_lshl_add_u64 v[4:5], v[60:61], 0, v[50:51]
	global_load_ushort v2, v[4:5], off
	v_lshl_add_u64 v[4:5], v[62:63], 0, v[50:51]
	global_load_ushort v4, v[4:5], off
	s_waitcnt vmcnt(1)
	v_lshlrev_b32_e32 v47, 16, v2
	s_waitcnt vmcnt(0)
	v_lshlrev_b32_e32 v31, 16, v4
	s_or_b64 exec, exec, s[10:11]
	s_and_saveexec_b64 s[10:11], s[6:7]
	s_cbranch_execz .LBB105_63
.LBB105_78:                             ;   in Loop: Header=BB105_5 Depth=1
	v_lshl_add_u64 v[4:5], v[56:57], 0, v[50:51]
	global_load_ushort v2, v[4:5], off
	v_lshl_add_u64 v[4:5], v[58:59], 0, v[50:51]
	global_load_ushort v4, v[4:5], off
	s_waitcnt vmcnt(1)
	v_lshlrev_b32_e32 v48, 16, v2
	s_waitcnt vmcnt(0)
	v_lshlrev_b32_e32 v32, 16, v4
	s_or_b64 exec, exec, s[10:11]
	s_and_saveexec_b64 s[10:11], s[6:7]
	s_cbranch_execz .LBB105_3
.LBB105_79:                             ;   in Loop: Header=BB105_5 Depth=1
	v_lshl_add_u64 v[4:5], v[52:53], 0, v[50:51]
	global_load_ushort v2, v[4:5], off
	v_lshl_add_u64 v[4:5], v[54:55], 0, v[50:51]
	global_load_ushort v4, v[4:5], off
	s_waitcnt vmcnt(1)
	v_lshlrev_b32_e32 v49, 16, v2
	s_waitcnt vmcnt(0)
	v_lshlrev_b32_e32 v33, 16, v4
	s_branch .LBB105_3
.LBB105_80:
                                        ; implicit-def: $vgpr99
	s_branch .LBB105_83
.LBB105_81:
	v_mov_b32_e32 v103, v125
.LBB105_82:
	s_cbranch_execnz .LBB105_130
.LBB105_83:
	v_mov_b32_e32 v99, 0
	s_mov_b32 s8, 0
	s_and_b64 vcc, exec, s[4:5]
	v_mov_b32_e32 v98, v99
	s_cbranch_vccnz .LBB105_130
; %bb.84:
	v_mov_b32_e32 v1, v103
	v_and_b32_e32 v0, 0x3ff, v1
	v_add_u32_e32 v2, s33, v0
	v_mov_b32_e32 v3, 0
	v_bfe_u32 v24, v1, 10, 10
	v_lshlrev_b64 v[50:51], 1, v[2:3]
	v_lshlrev_b32_e32 v2, 5, v24
	v_lshl_add_u64 v[0:1], s[34:35], 1, v[2:3]
	v_lshl_add_u64 v[6:7], v[0:1], 0, 2
	v_mov_b64_e32 v[4:5], s[28:29]
	v_mad_u64_u32 v[8:9], s[4:5], s26, v6, v[4:5]
	v_mul_lo_u32 v2, s26, v7
	v_mul_lo_u32 v7, s27, v6
	v_add3_u32 v9, v7, v9, v2
	scratch_store_dwordx2 off, v[8:9], off  ; 8-byte Folded Spill
	v_lshl_add_u64 v[8:9], v[0:1], 0, 4
	v_mad_u64_u32 v[10:11], s[4:5], s26, v8, v[4:5]
	v_mul_lo_u32 v9, s26, v9
	v_mul_lo_u32 v20, s27, v8
	v_add3_u32 v11, v20, v11, v9
	scratch_store_dwordx2 off, v[10:11], off offset:8 ; 8-byte Folded Spill
	v_lshl_add_u64 v[10:11], v[0:1], 0, 6
	v_mad_u64_u32 v[12:13], s[4:5], s26, v10, v[4:5]
	v_mul_lo_u32 v11, s26, v11
	v_mul_lo_u32 v21, s27, v10
	v_add3_u32 v13, v21, v13, v11
	scratch_store_dwordx2 off, v[12:13], off offset:16 ; 8-byte Folded Spill
	;; [unrolled: 6-line block ×3, first 2 shown]
	v_lshl_add_u64 v[14:15], v[0:1], 0, 10
	v_mad_u64_u32 v[16:17], s[4:5], s26, v14, v[4:5]
	v_mul_lo_u32 v15, s26, v15
	v_mul_lo_u32 v23, s27, v14
	v_mov_b64_e32 v[18:19], s[30:31]
	v_add3_u32 v17, v23, v17, v15
	v_mad_u64_u32 v[26:27], s[4:5], s26, v6, v[18:19]
	scratch_store_dwordx2 off, v[16:17], off offset:32 ; 8-byte Folded Spill
	v_lshl_add_u64 v[16:17], v[0:1], 0, 12
	v_add3_u32 v27, v7, v27, v2
	scratch_store_dwordx2 off, v[26:27], off offset:40 ; 8-byte Folded Spill
	v_mad_u64_u32 v[6:7], s[4:5], s26, v16, v[4:5]
	v_mul_lo_u32 v2, s26, v17
	v_mad_u64_u32 v[26:27], s[4:5], s26, v8, v[18:19]
	v_mul_lo_u32 v8, s27, v16
	v_add3_u32 v7, v8, v7, v2
	scratch_store_dwordx2 off, v[6:7], off offset:48 ; 8-byte Folded Spill
	v_mad_u64_u32 v[6:7], s[4:5], s26, v10, v[18:19]
	v_add3_u32 v7, v21, v7, v11
	v_mad_u64_u32 v[10:11], s[4:5], s26, v12, v[18:19]
	v_add3_u32 v11, v22, v11, v13
	scratch_store_dwordx2 off, v[10:11], off offset:72 ; 8-byte Folded Spill
	v_mad_u64_u32 v[10:11], s[4:5], s26, v14, v[18:19]
	scratch_store_dwordx2 off, v[6:7], off offset:64 ; 8-byte Folded Spill
	v_lshl_add_u64 v[6:7], v[0:1], 0, 14
	v_add3_u32 v11, v23, v11, v15
	v_mad_u64_u32 v[12:13], s[4:5], s26, v6, v[4:5]
	v_mul_lo_u32 v7, s26, v7
	scratch_store_dwordx2 off, v[10:11], off offset:88 ; 8-byte Folded Spill
	v_mul_lo_u32 v10, s27, v6
	v_add3_u32 v13, v10, v13, v7
	scratch_store_dwordx2 off, v[12:13], off offset:80 ; 8-byte Folded Spill
	v_mad_u64_u32 v[12:13], s[4:5], s26, v16, v[18:19]
	v_add3_u32 v13, v8, v13, v2
	v_add3_u32 v27, v20, v27, v9
	scratch_store_dwordx2 off, v[12:13], off offset:96 ; 8-byte Folded Spill
	v_lshl_add_u64 v[8:9], v[0:1], 0, 16
	v_mad_u64_u32 v[12:13], s[4:5], s26, v6, v[18:19]
	v_add3_u32 v13, v10, v13, v7
	v_mad_u64_u32 v[10:11], s[4:5], s26, v8, v[4:5]
	v_mul_lo_u32 v2, s26, v9
	v_mul_lo_u32 v6, s27, v8
	v_mad_u64_u32 v[8:9], s[4:5], s26, v8, v[18:19]
	v_add3_u32 v11, v6, v11, v2
	v_add3_u32 v9, v6, v9, v2
	v_lshl_add_u64 v[6:7], v[0:1], 0, 18
	scratch_store_dwordx2 off, v[8:9], off offset:120 ; 8-byte Folded Spill
	v_mul_lo_u32 v2, s26, v7
	v_mul_lo_u32 v7, s27, v6
	v_mad_u64_u32 v[8:9], s[4:5], s26, v6, v[4:5]
	v_add3_u32 v9, v7, v9, v2
	scratch_store_dwordx2 off, v[8:9], off offset:128 ; 8-byte Folded Spill
	v_mad_u64_u32 v[8:9], s[4:5], s26, v6, v[18:19]
	v_add3_u32 v9, v7, v9, v2
	v_lshl_add_u64 v[6:7], v[0:1], 0, 20
	scratch_store_dwordx2 off, v[8:9], off offset:136 ; 8-byte Folded Spill
	v_mul_lo_u32 v2, s26, v7
	v_mul_lo_u32 v7, s27, v6
	v_mad_u64_u32 v[8:9], s[4:5], s26, v6, v[4:5]
	v_add3_u32 v9, v7, v9, v2
	scratch_store_dwordx2 off, v[8:9], off offset:144 ; 8-byte Folded Spill
	v_mad_u64_u32 v[8:9], s[4:5], s26, v6, v[18:19]
	;; [unrolled: 9-line block ×5, first 2 shown]
	v_add3_u32 v9, v7, v9, v2
	v_lshl_add_u64 v[6:7], v[0:1], 0, 28
	v_lshl_add_u64 v[0:1], v[0:1], 0, 30
	v_mad_u64_u32 v[108:109], s[4:5], s26, v0, v[4:5]
	v_mad_u64_u32 v[110:111], s[4:5], s26, v0, v[18:19]
	v_mul_lo_u32 v1, s26, v1
	v_mul_lo_u32 v0, s27, v0
	v_add3_u32 v109, v0, v109, v1
	v_add3_u32 v111, v0, v111, v1
	v_lshlrev_b32_e32 v0, 4, v24
	v_mov_b32_e32 v1, v3
	scratch_store_dwordx2 off, v[8:9], off offset:200 ; 8-byte Folded Spill
	v_lshl_add_u64 v[8:9], v[0:1], 0, s[34:35]
	v_mul_lo_u32 v2, s26, v7
	v_mul_lo_u32 v7, s27, v6
	v_mad_u64_u32 v[104:105], s[4:5], s26, v6, v[4:5]
	v_mad_u64_u32 v[106:107], s[4:5], s26, v6, v[18:19]
	scratch_store_dwordx2 off, v[0:1], off offset:220 ; 8-byte Folded Spill
	v_lshl_add_u64 v[0:1], v[8:9], 0, 15
	v_add3_u32 v105, v7, v105, v2
	v_add3_u32 v107, v7, v107, v2
	v_mul_lo_u32 v2, s27, v0
	v_mul_lo_u32 v4, s26, v1
	v_mad_u64_u32 v[0:1], s[4:5], s26, v0, 0
	v_add3_u32 v1, v1, v4, v2
	v_lshl_add_u64 v[4:5], v[8:9], 0, 14
	v_mul_lo_u32 v2, s27, v4
	v_mul_lo_u32 v6, s26, v5
	v_mad_u64_u32 v[4:5], s[4:5], s26, v4, 0
	v_add3_u32 v5, v5, v6, v2
	v_lshl_add_u64 v[6:7], v[8:9], 0, 13
	scratch_store_dwordx2 off, v[10:11], off offset:112 ; 8-byte Folded Spill
	v_mul_lo_u32 v2, s27, v6
	v_mul_lo_u32 v10, s26, v7
	v_mad_u64_u32 v[6:7], s[4:5], s26, v6, 0
	v_add3_u32 v7, v7, v10, v2
	v_lshl_add_u64 v[10:11], v[8:9], 0, 12
	scratch_store_dwordx2 off, v[12:13], off offset:104 ; 8-byte Folded Spill
	v_mul_lo_u32 v2, s27, v10
	v_mul_lo_u32 v12, s26, v11
	v_mad_u64_u32 v[10:11], s[4:5], s26, v10, 0
	v_add3_u32 v11, v11, v12, v2
	v_lshl_add_u64 v[12:13], v[8:9], 0, 11
	v_mul_lo_u32 v2, s27, v12
	v_mul_lo_u32 v14, s26, v13
	v_mad_u64_u32 v[12:13], s[4:5], s26, v12, 0
	v_add3_u32 v13, v13, v14, v2
	v_lshl_add_u64 v[14:15], v[8:9], 0, 10
	;; [unrolled: 5-line block ×6, first 2 shown]
	scratch_store_dword off, v24, off offset:216 ; 4-byte Folded Spill
	v_mul_lo_u32 v2, s27, v22
	v_mul_lo_u32 v24, s26, v23
	v_mad_u64_u32 v[22:23], s[4:5], s26, v22, 0
	v_lshlrev_b64 v[0:1], 1, v[0:1]
	v_add3_u32 v23, v23, v24, v2
	v_lshl_add_u64 v[24:25], v[8:9], 0, 5
	v_lshl_add_u64 v[118:119], s[28:29], 0, v[0:1]
	;; [unrolled: 1-line block ×3, first 2 shown]
	v_lshlrev_b64 v[0:1], 1, v[4:5]
	scratch_store_dwordx2 off, v[26:27], off offset:56 ; 8-byte Folded Spill
	v_mul_lo_u32 v2, s27, v24
	v_mul_lo_u32 v26, s26, v25
	v_mad_u64_u32 v[24:25], s[4:5], s26, v24, 0
	v_lshl_add_u64 v[122:123], s[28:29], 0, v[0:1]
	v_lshl_add_u64 v[124:125], s[30:31], 0, v[0:1]
	v_lshlrev_b64 v[0:1], 1, v[6:7]
	v_lshlrev_b64 v[4:5], 1, v[10:11]
	v_add3_u32 v25, v25, v26, v2
	v_lshl_add_u64 v[26:27], v[8:9], 0, 4
	v_lshl_add_u64 v[126:127], s[28:29], 0, v[0:1]
	;; [unrolled: 1-line block ×5, first 2 shown]
	v_lshlrev_b64 v[4:5], 1, v[12:13]
	v_mul_lo_u32 v2, s27, v26
	v_mul_lo_u32 v28, s26, v27
	v_mad_u64_u32 v[26:27], s[4:5], s26, v26, 0
	v_lshl_add_u64 v[54:55], s[28:29], 0, v[4:5]
	v_lshl_add_u64 v[56:57], s[30:31], 0, v[4:5]
	v_lshlrev_b64 v[4:5], 1, v[14:15]
	v_add3_u32 v27, v27, v28, v2
	v_lshl_add_u64 v[28:29], v[8:9], 0, 3
	v_lshl_add_u64 v[58:59], s[28:29], 0, v[4:5]
	;; [unrolled: 1-line block ×3, first 2 shown]
	v_lshlrev_b64 v[4:5], 1, v[16:17]
	v_mul_lo_u32 v2, s27, v28
	v_mul_lo_u32 v30, s26, v29
	v_mad_u64_u32 v[28:29], s[4:5], s26, v28, 0
	v_lshl_add_u64 v[62:63], s[28:29], 0, v[4:5]
	v_lshl_add_u64 v[64:65], s[30:31], 0, v[4:5]
	v_lshlrev_b64 v[4:5], 1, v[18:19]
	v_add3_u32 v29, v29, v30, v2
	v_lshl_add_u64 v[30:31], v[8:9], 0, 2
	s_load_dword s3, s[0:1], 0x44
	v_lshl_add_u64 v[66:67], s[28:29], 0, v[4:5]
	v_lshl_add_u64 v[68:69], s[30:31], 0, v[4:5]
	v_lshlrev_b64 v[4:5], 1, v[20:21]
	v_mul_lo_u32 v2, s27, v30
	v_mul_lo_u32 v32, s26, v31
	v_mad_u64_u32 v[30:31], s[4:5], s26, v30, 0
	v_lshl_add_u64 v[70:71], s[28:29], 0, v[4:5]
	v_lshl_add_u64 v[72:73], s[30:31], 0, v[4:5]
	v_lshlrev_b64 v[4:5], 1, v[22:23]
	v_add3_u32 v31, v31, v32, v2
	v_mov_b64_e32 v[32:33], s[26:27]
	v_lshl_add_u64 v[74:75], s[28:29], 0, v[4:5]
	v_lshl_add_u64 v[76:77], s[30:31], 0, v[4:5]
	v_lshlrev_b64 v[4:5], 1, v[24:25]
	v_mad_u64_u32 v[32:33], s[4:5], s26, v8, v[32:33]
	v_mul_lo_u32 v2, s27, v8
	v_mul_lo_u32 v34, s26, v9
	v_mad_u64_u32 v[8:9], s[4:5], s26, v8, 0
	v_lshl_add_u64 v[78:79], s[28:29], 0, v[4:5]
	v_lshl_add_u64 v[80:81], s[30:31], 0, v[4:5]
	v_lshlrev_b64 v[4:5], 1, v[26:27]
	s_add_u32 s4, s0, 64
	v_lshl_add_u64 v[82:83], s[28:29], 0, v[4:5]
	v_lshl_add_u64 v[84:85], s[30:31], 0, v[4:5]
	v_lshlrev_b64 v[4:5], 1, v[28:29]
	v_add3_u32 v9, v9, v34, v2
	v_add3_u32 v33, v2, v33, v34
	s_addc_u32 s5, s1, 0
	s_waitcnt lgkmcnt(0)
	s_lshl_b32 s3, s3, 8
	v_lshl_add_u64 v[86:87], s[28:29], 0, v[4:5]
	v_lshl_add_u64 v[88:89], s[30:31], 0, v[4:5]
	v_lshlrev_b64 v[4:5], 1, v[30:31]
	v_mbcnt_lo_u32_b32 v2, -1, 0
	s_add_u32 s6, s34, 0xff
	s_mul_i32 s9, s27, s3
	s_mul_hi_u32 s10, s26, s3
	v_lshlrev_b64 v[8:9], 1, v[8:9]
	v_lshl_add_u64 v[90:91], s[28:29], 0, v[4:5]
	v_lshl_add_u64 v[92:93], s[30:31], 0, v[4:5]
	v_lshlrev_b64 v[4:5], 1, v[32:33]
	v_mbcnt_hi_u32_b32 v2, -1, v2
	s_addc_u32 s7, 0, 0
	s_add_i32 s11, s10, s9
	s_mul_i32 s10, s26, s3
	v_lshl_add_u64 v[114:115], s[28:29], 0, v[8:9]
	v_lshl_add_u64 v[116:117], s[30:31], 0, v[8:9]
	;; [unrolled: 1-line block ×4, first 2 shown]
	s_movk_i32 s28, 0xff01
	s_movk_i32 s30, 0xff02
	s_movk_i32 s42, 0xff03
	s_movk_i32 s44, 0xff04
	s_movk_i32 s46, 0xff05
	s_movk_i32 s48, 0xff06
	s_movk_i32 s50, 0xff07
	s_movk_i32 s52, 0xff08
	s_movk_i32 s54, 0xff09
	s_movk_i32 s56, 0xff0a
	s_movk_i32 s58, 0xff0b
	s_movk_i32 s60, 0xff0c
	s_movk_i32 s62, 0xff0d
	s_movk_i32 s64, 0xff0e
	s_movk_i32 s66, 0xff0f
	s_movk_i32 s68, 0xff10
	v_lshlrev_b32_e32 v2, 2, v2
	s_lshl_b64 s[40:41], s[10:11], 1
	s_mov_b32 s29, -1
	s_mov_b32 s31, -1
	;; [unrolled: 1-line block ×16, first 2 shown]
	v_and_b32_e32 v102, 0x100, v2
	v_mov_b32_e32 v98, v3
	v_mov_b32_e32 v99, v3
	s_branch .LBB105_88
.LBB105_85:                             ;   in Loop: Header=BB105_88 Depth=1
	s_or_b64 exec, exec, s[12:13]
.LBB105_86:                             ;   in Loop: Header=BB105_88 Depth=1
	s_or_b64 exec, exec, s[10:11]
	v_lshl_add_u64 v[4:5], v[114:115], 0, v[50:51]
	global_load_ushort v2, v[4:5], off
	v_lshl_add_u64 v[4:5], v[116:117], 0, v[50:51]
	v_lshl_add_u64 v[38:39], v[106:107], 0, v[50:51]
	s_waitcnt vmcnt(1)
	ds_bpermute_b32 v37, v102, v36
	scratch_load_dwordx2 v[6:7], off, off offset:96 ; 8-byte Folded Reload
	scratch_load_dwordx2 v[18:19], off, off offset:168 ; 8-byte Folded Reload
	scratch_load_dwordx2 v[8:9], off, off offset:104 ; 8-byte Folded Reload
	scratch_load_dwordx2 v[22:23], off, off offset:200 ; 8-byte Folded Reload
	scratch_load_dwordx2 v[10:11], off, off offset:120 ; 8-byte Folded Reload
	scratch_load_dwordx2 v[12:13], off, off offset:136 ; 8-byte Folded Reload
	scratch_load_dwordx2 v[14:15], off, off offset:152 ; 8-byte Folded Reload
	scratch_load_dwordx2 v[20:21], off, off offset:184 ; 8-byte Folded Reload
	s_waitcnt vmcnt(8)
	v_lshlrev_b32_e32 v24, 16, v2
	global_load_ushort v2, v[4:5], off
	s_waitcnt vmcnt(8)
	v_lshl_add_u64 v[6:7], v[6:7], 0, v[50:51]
	scratch_load_dwordx2 v[4:5], off, off   ; 8-byte Folded Reload
	s_waitcnt vmcnt(7)
	v_lshl_add_u64 v[8:9], v[8:9], 0, v[50:51]
	v_lshl_add_u64 v[18:19], v[18:19], 0, v[50:51]
	s_waitcnt vmcnt(5)
	v_lshl_add_u64 v[10:11], v[10:11], 0, v[50:51]
	s_waitcnt vmcnt(4)
	;; [unrolled: 2-line block ×3, first 2 shown]
	v_lshl_add_u64 v[14:15], v[14:15], 0, v[50:51]
	v_lshl_add_u64 v[22:23], v[22:23], 0, v[50:51]
	s_waitcnt vmcnt(2)
	v_lshl_add_u64 v[20:21], v[20:21], 0, v[50:51]
	s_waitcnt vmcnt(1)
	v_lshlrev_b32_e32 v25, 16, v2
	s_waitcnt vmcnt(0)
	v_lshl_add_u64 v[4:5], v[4:5], 0, v[50:51]
	global_load_ushort v2, v[4:5], off
	s_waitcnt vmcnt(0)
	v_lshlrev_b32_e32 v26, 16, v2
	scratch_load_dwordx2 v[4:5], off, off offset:40 ; 8-byte Folded Reload
	s_waitcnt vmcnt(0)
	v_lshl_add_u64 v[4:5], v[4:5], 0, v[50:51]
	global_load_ushort v2, v[4:5], off
	s_waitcnt vmcnt(0)
	v_lshlrev_b32_e32 v27, 16, v2
	scratch_load_dwordx2 v[4:5], off, off offset:8 ; 8-byte Folded Reload
	;; [unrolled: 6-line block ×10, first 2 shown]
	s_waitcnt vmcnt(0)
	v_lshl_add_u64 v[4:5], v[4:5], 0, v[50:51]
	global_load_ushort v2, v[4:5], off
	s_waitcnt vmcnt(0)
	v_lshlrev_b32_e32 v4, 16, v2
	global_load_ushort v2, v[6:7], off
	s_waitcnt vmcnt(0)
	v_lshlrev_b32_e32 v5, 16, v2
	scratch_load_dwordx2 v[6:7], off, off offset:80 ; 8-byte Folded Reload
	s_waitcnt vmcnt(0)
	v_lshl_add_u64 v[6:7], v[6:7], 0, v[50:51]
	global_load_ushort v2, v[6:7], off
	s_waitcnt vmcnt(0)
	v_lshlrev_b32_e32 v6, 16, v2
	global_load_ushort v2, v[8:9], off
	s_waitcnt vmcnt(0)
	v_lshlrev_b32_e32 v7, 16, v2
	scratch_load_dwordx2 v[8:9], off, off offset:112 ; 8-byte Folded Reload
	;; [unrolled: 9-line block ×7, first 2 shown]
	s_waitcnt vmcnt(0)
	v_lshl_add_u64 v[20:21], v[20:21], 0, v[50:51]
	global_load_ushort v2, v[20:21], off
	s_waitcnt vmcnt(0)
	v_lshlrev_b32_e32 v20, 16, v2
	global_load_ushort v2, v[22:23], off
	v_lshl_add_u64 v[22:23], v[104:105], 0, v[50:51]
	s_waitcnt vmcnt(0)
	v_lshlrev_b32_e32 v21, 16, v2
	global_load_ushort v2, v[22:23], off
	s_waitcnt vmcnt(0)
	v_lshlrev_b32_e32 v22, 16, v2
	global_load_ushort v2, v[38:39], off
	v_lshl_add_u64 v[38:39], v[108:109], 0, v[50:51]
	s_waitcnt vmcnt(0)
	v_lshlrev_b32_e32 v23, 16, v2
	global_load_ushort v2, v[38:39], off
	v_lshl_add_u64 v[38:39], v[110:111], 0, v[50:51]
	s_waitcnt vmcnt(0)
	v_lshlrev_b32_e32 v16, 16, v2
	global_load_ushort v2, v[38:39], off
	ds_bpermute_b32 v38, v102, v17
	s_waitcnt lgkmcnt(0)
	v_sub_f32_e32 v25, v25, v38
	ds_bpermute_b32 v38, v102, v17 offset:4
	v_mul_f32_e32 v25, v25, v24
	v_mul_f32_e32 v25, v25, v37
	ds_bpermute_b32 v37, v102, v36 offset:4
	s_waitcnt lgkmcnt(1)
	v_sub_f32_e32 v27, v27, v38
	ds_bpermute_b32 v38, v102, v17 offset:8
	v_mul_f32_e32 v27, v27, v26
	s_waitcnt lgkmcnt(1)
	v_mul_f32_e32 v27, v27, v37
	ds_bpermute_b32 v37, v102, v36 offset:8
	s_waitcnt lgkmcnt(1)
	v_sub_f32_e32 v29, v29, v38
	ds_bpermute_b32 v38, v102, v17 offset:12
	v_mul_f32_e32 v29, v29, v28
	s_waitcnt lgkmcnt(1)
	;; [unrolled: 7-line block ×4, first 2 shown]
	v_mul_f32_e32 v33, v33, v37
	ds_bpermute_b32 v37, v102, v36 offset:20
	s_waitcnt lgkmcnt(1)
	v_sub_f32_e32 v35, v35, v38
	scratch_load_dwordx2 v[38:39], off, off offset:208 ; 8-byte Folded Reload
	v_mul_f32_e32 v35, v35, v34
	s_waitcnt lgkmcnt(0)
	v_mul_f32_e32 v35, v35, v37
	s_waitcnt vmcnt(1)
	v_lshlrev_b32_e32 v2, 16, v2
	s_waitcnt vmcnt(0)
	v_pk_add_f32 v[24:25], v[38:39], v[24:25]
	s_nop 0
	v_pk_add_f32 v[24:25], v[24:25], v[26:27]
	ds_bpermute_b32 v27, v102, v17 offset:24
	ds_bpermute_b32 v26, v102, v36 offset:24
	v_pk_add_f32 v[24:25], v[24:25], v[28:29]
	s_waitcnt lgkmcnt(1)
	v_sub_f32_e32 v5, v5, v27
	ds_bpermute_b32 v27, v102, v17 offset:28
	v_mul_f32_e32 v5, v5, v4
	s_waitcnt lgkmcnt(1)
	v_mul_f32_e32 v5, v5, v26
	ds_bpermute_b32 v26, v102, v36 offset:28
	v_pk_add_f32 v[24:25], v[24:25], v[30:31]
	s_waitcnt lgkmcnt(1)
	v_sub_f32_e32 v7, v7, v27
	ds_bpermute_b32 v27, v102, v17 offset:32
	v_mul_f32_e32 v7, v7, v6
	s_waitcnt lgkmcnt(1)
	v_mul_f32_e32 v7, v7, v26
	;; [unrolled: 8-line block ×6, first 2 shown]
	ds_bpermute_b32 v26, v102, v36 offset:48
	ds_bpermute_b32 v7, v102, v17 offset:60
	s_waitcnt lgkmcnt(2)
	v_sub_f32_e32 v19, v19, v27
	ds_bpermute_b32 v27, v102, v17 offset:52
	v_mul_f32_e32 v19, v19, v18
	s_waitcnt lgkmcnt(2)
	v_mul_f32_e32 v19, v19, v26
	ds_bpermute_b32 v26, v102, v36 offset:52
	v_pk_add_f32 v[4:5], v[4:5], v[8:9]
	s_waitcnt lgkmcnt(1)
	v_sub_f32_e32 v21, v21, v27
	ds_bpermute_b32 v27, v102, v17 offset:56
	v_mul_f32_e32 v21, v21, v20
	s_waitcnt lgkmcnt(1)
	v_mul_f32_e32 v21, v21, v26
	ds_bpermute_b32 v26, v102, v36 offset:56
	v_pk_add_f32 v[4:5], v[4:5], v[10:11]
	ds_bpermute_b32 v6, v102, v36 offset:60
	v_pk_add_f32 v[4:5], v[4:5], v[12:13]
	s_waitcnt lgkmcnt(2)
	v_sub_f32_e32 v23, v23, v27
	v_pk_add_f32 v[4:5], v[4:5], v[14:15]
	v_mul_f32_e32 v23, v23, v22
	v_pk_add_f32 v[4:5], v[4:5], v[18:19]
	v_sub_f32_e32 v2, v2, v7
	s_waitcnt lgkmcnt(1)
	v_mul_f32_e32 v23, v23, v26
	v_pk_add_f32 v[4:5], v[4:5], v[20:21]
	v_mul_f32_e32 v2, v2, v16
	v_pk_add_f32 v[4:5], v[4:5], v[22:23]
	s_waitcnt lgkmcnt(0)
	v_mul_f32_e32 v17, v2, v6
	v_pk_add_f32 v[98:99], v[4:5], v[16:17]
.LBB105_87:                             ;   in Loop: Header=BB105_88 Depth=1
	s_add_u32 s34, s34, s3
	s_addc_u32 s35, s35, 0
	v_mov_b64_e32 v[4:5], s[24:25]
	v_cmp_ge_i64_e32 vcc, s[34:35], v[4:5]
	scratch_load_dwordx2 v[4:5], off, off   ; 8-byte Folded Reload
	s_add_u32 s6, s6, s3
	s_addc_u32 s7, s7, 0
	v_lshl_add_u64 v[104:105], v[104:105], 0, s[40:41]
	v_lshl_add_u64 v[108:109], v[108:109], 0, s[40:41]
	;; [unrolled: 1-line block ×36, first 2 shown]
	s_and_b64 vcc, exec, vcc
	s_waitcnt vmcnt(0)
	v_lshl_add_u64 v[4:5], v[4:5], 0, s[40:41]
	scratch_store_dwordx2 off, v[4:5], off  ; 8-byte Folded Spill
	scratch_load_dwordx2 v[4:5], off, off offset:8 ; 8-byte Folded Reload
	s_waitcnt vmcnt(0)
	v_lshl_add_u64 v[4:5], v[4:5], 0, s[40:41]
	scratch_store_dwordx2 off, v[4:5], off offset:8 ; 8-byte Folded Spill
	scratch_load_dwordx2 v[4:5], off, off offset:16 ; 8-byte Folded Reload
	s_waitcnt vmcnt(0)
	v_lshl_add_u64 v[4:5], v[4:5], 0, s[40:41]
	scratch_store_dwordx2 off, v[4:5], off offset:16 ; 8-byte Folded Spill
	;; [unrolled: 4-line block ×25, first 2 shown]
	s_cbranch_vccnz .LBB105_130
.LBB105_88:                             ; =>This Inner Loop Header: Depth=1
	v_mov_b64_e32 v[4:5], s[24:25]
	v_cmp_ge_i64_e32 vcc, s[6:7], v[4:5]
	scratch_load_dwordx2 v[4:5], off, off offset:220 ; 8-byte Folded Reload
	s_nop 0
	scratch_store_dwordx2 off, v[98:99], off offset:208 ; 8-byte Folded Spill
	s_waitcnt vmcnt(1)
	v_lshl_add_u64 v[100:101], v[4:5], 0, s[6:7]
	s_cbranch_vccz .LBB105_126
; %bb.89:                               ;   in Loop: Header=BB105_88 Depth=1
	scratch_load_dword v4, off, off offset:216 ; 4-byte Folded Reload
	s_load_dword s9, s[4:5], 0xc
	v_mov_b32_e32 v2, v103
	v_and_b32_e32 v2, 0x3ff, v2
	v_mov_b32_e32 v99, 0
	v_mov_b32_e32 v98, 0
	s_waitcnt lgkmcnt(0)
	s_and_b32 s9, s9, 0xffff
	s_waitcnt vmcnt(0)
	v_mad_u32_u24 v2, v4, s9, v2
	v_and_b32_e32 v2, 63, v2
	v_cmp_gt_u32_e32 vcc, 16, v2
	s_and_saveexec_b64 s[10:11], vcc
	s_cbranch_execz .LBB105_93
; %bb.90:                               ;   in Loop: Header=BB105_88 Depth=1
	v_lshl_add_u64 v[4:5], v[100:101], 0, v[2:3]
	v_lshl_add_u64 v[4:5], v[4:5], 0, s[28:29]
	v_cmp_gt_i64_e32 vcc, s[24:25], v[4:5]
	v_mov_b32_e32 v98, 0
	v_mov_b32_e32 v99, 0
	s_and_saveexec_b64 s[12:13], vcc
	s_cbranch_execz .LBB105_92
; %bb.91:                               ;   in Loop: Header=BB105_88 Depth=1
	v_lshlrev_b64 v[4:5], 2, v[4:5]
	v_lshl_add_u64 v[6:7], s[38:39], 0, v[4:5]
	v_lshl_add_u64 v[4:5], s[36:37], 0, v[4:5]
	global_load_dword v98, v[4:5], off
	global_load_dword v99, v[6:7], off
.LBB105_92:                             ;   in Loop: Header=BB105_88 Depth=1
	s_or_b64 exec, exec, s[12:13]
.LBB105_93:                             ;   in Loop: Header=BB105_88 Depth=1
	s_or_b64 exec, exec, s[10:11]
	s_mov_b32 s22, s8
	s_mov_b32 s23, s8
	;; [unrolled: 1-line block ×15, first 2 shown]
	v_mov_b64_e32 v[32:33], s[22:23]
	v_lshl_add_u64 v[4:5], v[100:101], 0, s[28:29]
	v_mov_b64_e32 v[30:31], s[20:21]
	v_mov_b64_e32 v[28:29], s[18:19]
	;; [unrolled: 1-line block ×8, first 2 shown]
	v_cmp_gt_i64_e32 vcc, s[24:25], v[4:5]
	v_mov_b64_e32 v[46:47], v[30:31]
	v_mov_b64_e32 v[44:45], v[28:29]
	v_mov_b64_e32 v[42:43], v[26:27]
	v_mov_b64_e32 v[40:41], v[24:25]
	v_mov_b64_e32 v[38:39], v[22:23]
	v_mov_b64_e32 v[36:37], v[20:21]
	v_mov_b64_e32 v[34:35], v[18:19]
	s_and_saveexec_b64 s[10:11], vcc
	s_cbranch_execz .LBB105_95
; %bb.94:                               ;   in Loop: Header=BB105_88 Depth=1
	v_lshl_add_u64 v[4:5], v[114:115], 0, v[50:51]
	global_load_ushort v2, v[4:5], off
	v_lshl_add_u64 v[4:5], v[116:117], 0, v[50:51]
	global_load_ushort v18, v[4:5], off
	v_mov_b32_e32 v16, v3
	v_mov_b32_e32 v17, v3
	;; [unrolled: 1-line block ×29, first 2 shown]
	s_waitcnt vmcnt(1)
	v_lshlrev_b32_e32 v2, 16, v2
	v_mov_b64_e32 v[48:49], v[16:17]
	s_waitcnt vmcnt(0)
	v_lshlrev_b32_e32 v18, 16, v18
	v_mov_b64_e32 v[46:47], v[14:15]
	v_mov_b64_e32 v[44:45], v[12:13]
	v_mov_b64_e32 v[42:43], v[10:11]
	v_mov_b64_e32 v[40:41], v[8:9]
	v_mov_b64_e32 v[38:39], v[6:7]
	v_mov_b64_e32 v[36:37], v[4:5]
	v_mov_b64_e32 v[34:35], v[2:3]
.LBB105_95:                             ;   in Loop: Header=BB105_88 Depth=1
	s_or_b64 exec, exec, s[10:11]
	v_lshl_add_u64 v[4:5], v[100:101], 0, s[30:31]
	v_cmp_gt_i64_e32 vcc, s[24:25], v[4:5]
	s_and_saveexec_b64 s[10:11], vcc
	s_cbranch_execz .LBB105_97
; %bb.96:                               ;   in Loop: Header=BB105_88 Depth=1
	v_lshl_add_u64 v[4:5], v[94:95], 0, v[50:51]
	global_load_ushort v2, v[4:5], off
	v_lshl_add_u64 v[4:5], v[96:97], 0, v[50:51]
	global_load_ushort v4, v[4:5], off
	s_waitcnt vmcnt(1)
	v_lshlrev_b32_e32 v35, 16, v2
	s_waitcnt vmcnt(0)
	v_lshlrev_b32_e32 v19, 16, v4
.LBB105_97:                             ;   in Loop: Header=BB105_88 Depth=1
	s_or_b64 exec, exec, s[10:11]
	v_lshl_add_u64 v[4:5], v[100:101], 0, s[42:43]
	v_cmp_gt_i64_e32 vcc, s[24:25], v[4:5]
	s_and_saveexec_b64 s[10:11], vcc
	s_cbranch_execz .LBB105_99
; %bb.98:                               ;   in Loop: Header=BB105_88 Depth=1
	v_lshl_add_u64 v[4:5], v[90:91], 0, v[50:51]
	global_load_ushort v2, v[4:5], off
	v_lshl_add_u64 v[4:5], v[92:93], 0, v[50:51]
	global_load_ushort v4, v[4:5], off
	s_waitcnt vmcnt(1)
	v_lshlrev_b32_e32 v36, 16, v2
	s_waitcnt vmcnt(0)
	v_lshlrev_b32_e32 v20, 16, v4
.LBB105_99:                             ;   in Loop: Header=BB105_88 Depth=1
	s_or_b64 exec, exec, s[10:11]
	v_lshl_add_u64 v[4:5], v[100:101], 0, s[44:45]
	v_cmp_gt_i64_e32 vcc, s[24:25], v[4:5]
	s_and_saveexec_b64 s[10:11], vcc
	s_cbranch_execz .LBB105_101
; %bb.100:                              ;   in Loop: Header=BB105_88 Depth=1
	v_lshl_add_u64 v[4:5], v[86:87], 0, v[50:51]
	global_load_ushort v2, v[4:5], off
	v_lshl_add_u64 v[4:5], v[88:89], 0, v[50:51]
	global_load_ushort v4, v[4:5], off
	s_waitcnt vmcnt(1)
	v_lshlrev_b32_e32 v37, 16, v2
	s_waitcnt vmcnt(0)
	v_lshlrev_b32_e32 v21, 16, v4
.LBB105_101:                            ;   in Loop: Header=BB105_88 Depth=1
	s_or_b64 exec, exec, s[10:11]
	v_lshl_add_u64 v[4:5], v[100:101], 0, s[46:47]
	v_cmp_gt_i64_e32 vcc, s[24:25], v[4:5]
	s_and_saveexec_b64 s[10:11], vcc
	s_cbranch_execz .LBB105_103
; %bb.102:                              ;   in Loop: Header=BB105_88 Depth=1
	v_lshl_add_u64 v[4:5], v[82:83], 0, v[50:51]
	global_load_ushort v2, v[4:5], off
	v_lshl_add_u64 v[4:5], v[84:85], 0, v[50:51]
	global_load_ushort v4, v[4:5], off
	s_waitcnt vmcnt(1)
	v_lshlrev_b32_e32 v38, 16, v2
	s_waitcnt vmcnt(0)
	v_lshlrev_b32_e32 v22, 16, v4
.LBB105_103:                            ;   in Loop: Header=BB105_88 Depth=1
	;; [unrolled: 15-line block ×13, first 2 shown]
	s_or_b64 exec, exec, s[10:11]
	scratch_load_dwordx2 v[16:17], off, off offset:208 ; 8-byte Folded Reload
	s_waitcnt vmcnt(2)
	ds_bpermute_b32 v4, v102, v98
	s_waitcnt vmcnt(1)
	ds_bpermute_b32 v2, v102, v99
	v_mov_b32_e32 v6, v35
	v_mov_b32_e32 v8, v36
	;; [unrolled: 1-line block ×3, first 2 shown]
	s_waitcnt lgkmcnt(1)
	v_sub_f32_e32 v4, v18, v4
	v_mul_f32_e32 v4, v34, v4
	s_waitcnt lgkmcnt(0)
	v_mul_f32_e32 v5, v4, v2
	ds_bpermute_b32 v4, v102, v98 offset:4
	ds_bpermute_b32 v2, v102, v99 offset:4
	v_mov_b32_e32 v12, v38
	v_mov_b32_e32 v14, v39
	;; [unrolled: 1-line block ×3, first 2 shown]
	s_waitcnt lgkmcnt(1)
	v_sub_f32_e32 v4, v19, v4
	v_mul_f32_e32 v4, v35, v4
	s_waitcnt lgkmcnt(0)
	v_mul_f32_e32 v7, v4, v2
	ds_bpermute_b32 v4, v102, v98 offset:8
	ds_bpermute_b32 v2, v102, v99 offset:8
	s_waitcnt lgkmcnt(1)
	v_sub_f32_e32 v4, v20, v4
	v_mul_f32_e32 v4, v36, v4
	s_waitcnt lgkmcnt(0)
	v_mul_f32_e32 v9, v4, v2
	ds_bpermute_b32 v4, v102, v98 offset:12
	ds_bpermute_b32 v2, v102, v99 offset:12
	v_mov_b32_e32 v20, v47
	s_waitcnt lgkmcnt(1)
	v_sub_f32_e32 v4, v21, v4
	v_mul_f32_e32 v4, v37, v4
	s_waitcnt lgkmcnt(0)
	v_mul_f32_e32 v11, v4, v2
	ds_bpermute_b32 v4, v102, v98 offset:16
	ds_bpermute_b32 v2, v102, v99 offset:16
	s_waitcnt lgkmcnt(1)
	v_sub_f32_e32 v4, v22, v4
	v_mul_f32_e32 v4, v38, v4
	s_waitcnt lgkmcnt(0)
	v_mul_f32_e32 v13, v4, v2
	ds_bpermute_b32 v4, v102, v98 offset:20
	ds_bpermute_b32 v2, v102, v99 offset:20
	v_mov_b32_e32 v22, v48
	s_waitcnt lgkmcnt(1)
	v_sub_f32_e32 v4, v23, v4
	v_mul_f32_e32 v4, v39, v4
	s_waitcnt lgkmcnt(0)
	v_mul_f32_e32 v15, v4, v2
	v_mov_b32_e32 v4, v34
	ds_bpermute_b32 v2, v102, v99 offset:24
	s_waitcnt vmcnt(0)
	v_pk_add_f32 v[4:5], v[16:17], v[4:5]
	s_nop 0
	v_pk_add_f32 v[4:5], v[6:7], v[4:5]
	ds_bpermute_b32 v6, v102, v98 offset:24
	v_pk_add_f32 v[4:5], v[8:9], v[4:5]
	v_mov_b32_e32 v8, v41
	v_pk_add_f32 v[4:5], v[10:11], v[4:5]
	v_mov_b32_e32 v10, v42
	s_waitcnt lgkmcnt(0)
	v_sub_f32_e32 v6, v24, v6
	v_mul_f32_e32 v6, v40, v6
	v_mul_f32_e32 v7, v6, v2
	ds_bpermute_b32 v6, v102, v98 offset:28
	ds_bpermute_b32 v2, v102, v99 offset:28
	v_pk_add_f32 v[4:5], v[12:13], v[4:5]
	v_mov_b32_e32 v12, v43
	v_pk_add_f32 v[4:5], v[14:15], v[4:5]
	s_waitcnt lgkmcnt(1)
	v_sub_f32_e32 v6, v25, v6
	v_mul_f32_e32 v6, v41, v6
	s_waitcnt lgkmcnt(0)
	v_mul_f32_e32 v9, v6, v2
	ds_bpermute_b32 v6, v102, v98 offset:32
	ds_bpermute_b32 v2, v102, v99 offset:32
	v_mov_b32_e32 v14, v44
	v_mov_b32_e32 v16, v45
	s_waitcnt lgkmcnt(1)
	v_sub_f32_e32 v6, v26, v6
	v_mul_f32_e32 v6, v42, v6
	s_waitcnt lgkmcnt(0)
	v_mul_f32_e32 v11, v6, v2
	ds_bpermute_b32 v6, v102, v98 offset:36
	ds_bpermute_b32 v2, v102, v99 offset:36
	s_waitcnt lgkmcnt(1)
	v_sub_f32_e32 v6, v27, v6
	v_mul_f32_e32 v6, v43, v6
	s_waitcnt lgkmcnt(0)
	v_mul_f32_e32 v13, v6, v2
	ds_bpermute_b32 v6, v102, v98 offset:40
	ds_bpermute_b32 v2, v102, v99 offset:40
	;; [unrolled: 7-line block ×6, first 2 shown]
	s_waitcnt lgkmcnt(1)
	v_sub_f32_e32 v6, v32, v6
	v_mul_f32_e32 v6, v48, v6
	s_waitcnt lgkmcnt(0)
	v_mul_f32_e32 v23, v6, v2
	v_mov_b32_e32 v6, v40
	v_pk_add_f32 v[4:5], v[6:7], v[4:5]
	ds_bpermute_b32 v6, v102, v98 offset:60
	v_pk_add_f32 v[4:5], v[8:9], v[4:5]
	ds_bpermute_b32 v2, v102, v99 offset:60
	v_pk_add_f32 v[4:5], v[10:11], v[4:5]
	s_waitcnt lgkmcnt(1)
	v_sub_f32_e32 v6, v33, v6
	v_pk_add_f32 v[4:5], v[12:13], v[4:5]
	v_mul_f32_e32 v6, v49, v6
	v_pk_add_f32 v[4:5], v[14:15], v[4:5]
	s_waitcnt lgkmcnt(0)
	v_mul_f32_e32 v7, v6, v2
	v_pk_add_f32 v[4:5], v[16:17], v[4:5]
	v_mov_b32_e32 v6, v49
	v_pk_add_f32 v[4:5], v[18:19], v[4:5]
	s_nop 0
	v_pk_add_f32 v[4:5], v[20:21], v[4:5]
	s_nop 0
	v_pk_add_f32 v[4:5], v[22:23], v[4:5]
	s_nop 0
	v_pk_add_f32 v[98:99], v[6:7], v[4:5]
	s_branch .LBB105_87
.LBB105_126:                            ;   in Loop: Header=BB105_88 Depth=1
                                        ; implicit-def: $vgpr99
	s_cbranch_execz .LBB105_87
; %bb.127:                              ;   in Loop: Header=BB105_88 Depth=1
	s_load_dword s9, s[4:5], 0x0
	scratch_load_dword v5, off, off offset:216 ; 4-byte Folded Reload
	v_mov_b32_e32 v4, v103
	v_and_b32_e32 v4, 0x3ff, v4
	v_mov_b32_e32 v36, 0
	s_waitcnt lgkmcnt(0)
	s_cmp_lt_u32 s2, s9
	s_cselect_b32 s9, 12, 18
	s_add_u32 s10, s4, s9
	s_addc_u32 s11, s5, 0
	global_load_ushort v2, v3, s[10:11]
	v_mov_b32_e32 v17, 0
	s_waitcnt vmcnt(0)
	v_mad_u32_u24 v2, v5, v2, v4
	v_and_b32_e32 v2, 63, v2
	v_cmp_gt_u32_e32 vcc, 16, v2
	s_and_saveexec_b64 s[10:11], vcc
	s_cbranch_execz .LBB105_86
; %bb.128:                              ;   in Loop: Header=BB105_88 Depth=1
	v_lshl_add_u64 v[4:5], v[100:101], 0, v[2:3]
	v_lshl_add_u64 v[4:5], v[4:5], 0, s[28:29]
	v_cmp_gt_i64_e32 vcc, s[24:25], v[4:5]
	v_mov_b32_e32 v17, 0
	v_mov_b32_e32 v36, 0
	s_and_saveexec_b64 s[12:13], vcc
	s_cbranch_execz .LBB105_85
; %bb.129:                              ;   in Loop: Header=BB105_88 Depth=1
	v_lshlrev_b64 v[4:5], 2, v[4:5]
	v_lshl_add_u64 v[6:7], s[38:39], 0, v[4:5]
	v_lshl_add_u64 v[4:5], s[36:37], 0, v[4:5]
	global_load_dword v17, v[4:5], off
	global_load_dword v36, v[6:7], off
	s_branch .LBB105_85
.LBB105_130:
	v_bfe_u32 v6, v103, 10, 10
	v_and_b32_e32 v0, 0x3ff, v103
	s_movk_i32 s3, 0x41
	v_mad_u32_u24 v1, v6, s3, v0
	v_lshl_add_u32 v1, v1, 2, 0
	v_lshrrev_b32_e32 v8, 6, v0
	ds_write_b32 v1, v99
	ds_write_b32 v1, v98 offset:4160
	v_add_u32_e32 v1, v8, v6
	s_mov_b32 s3, 0
	v_cmp_gt_u32_e32 vcc, 64, v1
	s_waitcnt lgkmcnt(0)
	s_barrier
	s_and_saveexec_b64 s[4:5], vcc
	s_cbranch_execz .LBB105_140
; %bb.131:
	v_and_b32_e32 v1, 63, v0
	s_load_dwordx4 s[4:7], s[0:1], 0x30
	v_cmp_gt_u32_e64 s[0:1], 16, v1
	v_mul_u32_u24_e32 v14, 0x41, v1
	v_mbcnt_lo_u32_b32 v1, -1, 0
	v_mbcnt_hi_u32_b32 v1, -1, v1
	v_and_b32_e32 v2, 64, v1
	v_add_u32_e32 v2, 64, v2
	s_lshl_b64 s[8:9], s[2:3], 6
	v_cmp_eq_u32_e64 s[2:3], 0, v0
	v_xor_b32_e32 v0, 8, v1
	v_cmp_lt_i32_e32 vcc, v0, v2
	v_mov_b32_e32 v9, 0
	v_mov_b32_e32 v7, v9
	v_cndmask_b32_e32 v0, v1, v0, vcc
	v_lshlrev_b32_e32 v10, 2, v0
	v_xor_b32_e32 v0, 4, v1
	v_cmp_lt_i32_e32 vcc, v0, v2
	s_waitcnt lgkmcnt(0)
	s_cmp_lg_u64 s[4:5], 0
	s_cselect_b64 s[12:13], -1, 0
	v_cndmask_b32_e32 v0, v1, v0, vcc
	v_lshlrev_b32_e32 v11, 2, v0
	v_xor_b32_e32 v0, 2, v1
	v_cmp_lt_i32_e32 vcc, v0, v2
	s_cmp_lg_u64 s[6:7], 0
	s_mov_b64 s[10:11], 0
	v_cndmask_b32_e32 v0, v1, v0, vcc
	v_lshlrev_b32_e32 v12, 2, v0
	v_xor_b32_e32 v0, 1, v1
	v_cmp_lt_i32_e32 vcc, v0, v2
	s_movk_i32 s14, 0x7fff
	s_nop 0
	v_cndmask_b32_e32 v0, v1, v0, vcc
	v_lshlrev_b32_e32 v13, 2, v0
	v_lshl_add_u64 v[0:1], v[8:9], 0, v[6:7]
	v_lshl_add_u64 v[2:3], v[0:1], 0, s[8:9]
	v_lshlrev_b64 v[4:5], 1, v[2:3]
	v_add3_u32 v6, v14, v6, v8
	v_lshl_add_u64 v[2:3], s[6:7], 0, v[4:5]
	v_lshl_add_u32 v8, v6, 2, 0
	v_cndmask_b32_e64 v6, 0, 1, s[12:13]
	s_cselect_b64 s[6:7], -1, 0
	v_lshl_add_u64 v[4:5], s[4:5], 0, v[4:5]
	v_cmp_ne_u32_e64 s[4:5], 1, v6
	v_cndmask_b32_e64 v6, 0, 1, s[6:7]
	v_cmp_ne_u32_e64 s[6:7], 1, v6
	v_mov_b32_e32 v9, 0x7fc0
                                        ; implicit-def: $vgpr6
	s_branch .LBB105_133
.LBB105_132:                            ;   in Loop: Header=BB105_133 Depth=1
	s_or_b64 exec, exec, s[12:13]
	v_lshl_add_u64 v[0:1], v[0:1], 0, 16
	v_add_u32_e32 v14, -16, v0
	v_cmp_lt_u32_e32 vcc, 47, v14
	v_lshl_add_u64 v[2:3], v[2:3], 0, 32
	v_lshl_add_u64 v[4:5], v[4:5], 0, 32
	s_or_b64 s[10:11], vcc, s[10:11]
	v_add_u32_e32 v8, 64, v8
	s_andn2_b64 exec, exec, s[10:11]
	s_cbranch_execz .LBB105_140
.LBB105_133:                            ; =>This Inner Loop Header: Depth=1
	s_and_saveexec_b64 s[12:13], s[0:1]
	s_cbranch_execz .LBB105_135
; %bb.134:                              ;   in Loop: Header=BB105_133 Depth=1
	ds_read_b32 v7, v8
	ds_read_b32 v6, v8 offset:4160
.LBB105_135:                            ;   in Loop: Header=BB105_133 Depth=1
	s_or_b64 exec, exec, s[12:13]
	s_waitcnt lgkmcnt(1)
	ds_bpermute_b32 v15, v10, v7
	s_waitcnt lgkmcnt(1)
	ds_bpermute_b32 v14, v10, v6
	v_lshl_add_u64 v[16:17], s[8:9], 0, v[0:1]
	v_cmp_gt_i64_e32 vcc, s[26:27], v[16:17]
	s_and_b64 s[16:17], s[2:3], vcc
	s_waitcnt lgkmcnt(0)
	v_pk_add_f32 v[6:7], v[6:7], v[14:15]
	ds_bpermute_b32 v15, v11, v7
	ds_bpermute_b32 v14, v11, v6
	s_waitcnt lgkmcnt(0)
	v_pk_add_f32 v[6:7], v[6:7], v[14:15]
	ds_bpermute_b32 v15, v12, v7
	ds_bpermute_b32 v14, v12, v6
	;; [unrolled: 4-line block ×3, first 2 shown]
	s_waitcnt lgkmcnt(0)
	v_pk_add_f32 v[6:7], v[6:7], v[14:15]
	s_and_saveexec_b64 s[12:13], s[16:17]
	s_cbranch_execz .LBB105_132
; %bb.136:                              ;   in Loop: Header=BB105_133 Depth=1
	s_and_b64 vcc, exec, s[4:5]
	s_cbranch_vccnz .LBB105_138
; %bb.137:                              ;   in Loop: Header=BB105_133 Depth=1
	v_bfe_u32 v14, v7, 16, 1
	v_add3_u32 v14, v7, v14, s14
	v_lshrrev_b32_e32 v14, 16, v14
	v_cmp_o_f32_e32 vcc, v7, v7
	s_nop 1
	v_cndmask_b32_e32 v14, v9, v14, vcc
	global_store_short v[4:5], v14, off
.LBB105_138:                            ;   in Loop: Header=BB105_133 Depth=1
	s_and_b64 vcc, exec, s[6:7]
	s_cbranch_vccnz .LBB105_132
; %bb.139:                              ;   in Loop: Header=BB105_133 Depth=1
	v_bfe_u32 v14, v6, 16, 1
	v_add3_u32 v14, v6, v14, s14
	v_lshrrev_b32_e32 v14, 16, v14
	v_cmp_o_f32_e32 vcc, v6, v6
	s_nop 1
	v_cndmask_b32_e32 v14, v9, v14, vcc
	global_store_short v[2:3], v14, off
	s_branch .LBB105_132
.LBB105_140:
	s_endpgm
	.section	.rodata,"a",@progbits
	.p2align	6, 0x0
	.amdhsa_kernel _ZN2at6native12_GLOBAL__N_135GammaBetaBackwardCUDAKernelTemplateIN3c108BFloat16EfLj64ELj16ELj256ELb0ELb0ELb0EEEvllPKT_S7_PKT0_SA_PS5_SB_
		.amdhsa_group_segment_fixed_size 0
		.amdhsa_private_segment_fixed_size 232
		.amdhsa_kernarg_size 320
		.amdhsa_user_sgpr_count 2
		.amdhsa_user_sgpr_dispatch_ptr 0
		.amdhsa_user_sgpr_queue_ptr 0
		.amdhsa_user_sgpr_kernarg_segment_ptr 1
		.amdhsa_user_sgpr_dispatch_id 0
		.amdhsa_user_sgpr_kernarg_preload_length 0
		.amdhsa_user_sgpr_kernarg_preload_offset 0
		.amdhsa_user_sgpr_private_segment_size 0
		.amdhsa_uses_dynamic_stack 0
		.amdhsa_enable_private_segment 1
		.amdhsa_system_sgpr_workgroup_id_x 1
		.amdhsa_system_sgpr_workgroup_id_y 1
		.amdhsa_system_sgpr_workgroup_id_z 0
		.amdhsa_system_sgpr_workgroup_info 0
		.amdhsa_system_vgpr_workitem_id 1
		.amdhsa_next_free_vgpr 128
		.amdhsa_next_free_sgpr 82
		.amdhsa_accum_offset 128
		.amdhsa_reserve_vcc 1
		.amdhsa_float_round_mode_32 0
		.amdhsa_float_round_mode_16_64 0
		.amdhsa_float_denorm_mode_32 3
		.amdhsa_float_denorm_mode_16_64 3
		.amdhsa_dx10_clamp 1
		.amdhsa_ieee_mode 1
		.amdhsa_fp16_overflow 0
		.amdhsa_tg_split 0
		.amdhsa_exception_fp_ieee_invalid_op 0
		.amdhsa_exception_fp_denorm_src 0
		.amdhsa_exception_fp_ieee_div_zero 0
		.amdhsa_exception_fp_ieee_overflow 0
		.amdhsa_exception_fp_ieee_underflow 0
		.amdhsa_exception_fp_ieee_inexact 0
		.amdhsa_exception_int_div_zero 0
	.end_amdhsa_kernel
	.section	.text._ZN2at6native12_GLOBAL__N_135GammaBetaBackwardCUDAKernelTemplateIN3c108BFloat16EfLj64ELj16ELj256ELb0ELb0ELb0EEEvllPKT_S7_PKT0_SA_PS5_SB_,"axG",@progbits,_ZN2at6native12_GLOBAL__N_135GammaBetaBackwardCUDAKernelTemplateIN3c108BFloat16EfLj64ELj16ELj256ELb0ELb0ELb0EEEvllPKT_S7_PKT0_SA_PS5_SB_,comdat
.Lfunc_end105:
	.size	_ZN2at6native12_GLOBAL__N_135GammaBetaBackwardCUDAKernelTemplateIN3c108BFloat16EfLj64ELj16ELj256ELb0ELb0ELb0EEEvllPKT_S7_PKT0_SA_PS5_SB_, .Lfunc_end105-_ZN2at6native12_GLOBAL__N_135GammaBetaBackwardCUDAKernelTemplateIN3c108BFloat16EfLj64ELj16ELj256ELb0ELb0ELb0EEEvllPKT_S7_PKT0_SA_PS5_SB_
                                        ; -- End function
	.section	.AMDGPU.csdata,"",@progbits
; Kernel info:
; codeLenInByte = 14932
; NumSgprs: 88
; NumVgprs: 128
; NumAgprs: 0
; TotalNumVgprs: 128
; ScratchSize: 232
; MemoryBound: 0
; FloatMode: 240
; IeeeMode: 1
; LDSByteSize: 0 bytes/workgroup (compile time only)
; SGPRBlocks: 10
; VGPRBlocks: 15
; NumSGPRsForWavesPerEU: 88
; NumVGPRsForWavesPerEU: 128
; AccumOffset: 128
; Occupancy: 4
; WaveLimiterHint : 0
; COMPUTE_PGM_RSRC2:SCRATCH_EN: 1
; COMPUTE_PGM_RSRC2:USER_SGPR: 2
; COMPUTE_PGM_RSRC2:TRAP_HANDLER: 0
; COMPUTE_PGM_RSRC2:TGID_X_EN: 1
; COMPUTE_PGM_RSRC2:TGID_Y_EN: 1
; COMPUTE_PGM_RSRC2:TGID_Z_EN: 0
; COMPUTE_PGM_RSRC2:TIDIG_COMP_CNT: 1
; COMPUTE_PGM_RSRC3_GFX90A:ACCUM_OFFSET: 31
; COMPUTE_PGM_RSRC3_GFX90A:TG_SPLIT: 0
	.section	.text._ZN2at6native12_GLOBAL__N_135GammaBetaBackwardCUDAKernelTemplateIN3c108BFloat16EfLj32ELj1ELj32ELb1ELb1ELb0EEEvllPKT_S7_PKT0_SA_PS5_SB_,"axG",@progbits,_ZN2at6native12_GLOBAL__N_135GammaBetaBackwardCUDAKernelTemplateIN3c108BFloat16EfLj32ELj1ELj32ELb1ELb1ELb0EEEvllPKT_S7_PKT0_SA_PS5_SB_,comdat
	.globl	_ZN2at6native12_GLOBAL__N_135GammaBetaBackwardCUDAKernelTemplateIN3c108BFloat16EfLj32ELj1ELj32ELb1ELb1ELb0EEEvllPKT_S7_PKT0_SA_PS5_SB_ ; -- Begin function _ZN2at6native12_GLOBAL__N_135GammaBetaBackwardCUDAKernelTemplateIN3c108BFloat16EfLj32ELj1ELj32ELb1ELb1ELb0EEEvllPKT_S7_PKT0_SA_PS5_SB_
	.p2align	8
	.type	_ZN2at6native12_GLOBAL__N_135GammaBetaBackwardCUDAKernelTemplateIN3c108BFloat16EfLj32ELj1ELj32ELb1ELb1ELb0EEEvllPKT_S7_PKT0_SA_PS5_SB_,@function
_ZN2at6native12_GLOBAL__N_135GammaBetaBackwardCUDAKernelTemplateIN3c108BFloat16EfLj32ELj1ELj32ELb1ELb1ELb0EEEvllPKT_S7_PKT0_SA_PS5_SB_: ; @_ZN2at6native12_GLOBAL__N_135GammaBetaBackwardCUDAKernelTemplateIN3c108BFloat16EfLj32ELj1ELj32ELb1ELb1ELb0EEEvllPKT_S7_PKT0_SA_PS5_SB_
; %bb.0:
	s_load_dwordx4 s[16:19], s[0:1], 0x0
	s_lshl_b32 s6, s3, 5
	s_mov_b32 s7, 0
	s_mov_b32 s4, s3
	v_bfe_u32 v1, v0, 10, 10
	s_waitcnt lgkmcnt(0)
	v_mov_b64_e32 v[2:3], s[16:17]
	v_cmp_lt_i64_e32 vcc, s[6:7], v[2:3]
	s_cbranch_vccnz .LBB106_2
; %bb.1:
	s_add_u32 s24, s0, 64
	s_addc_u32 s25, s1, 0
	s_mov_b64 s[8:9], 0
	v_bfe_u32 v2, v0, 10, 10
	s_branch .LBB106_3
.LBB106_2:
	s_mov_b64 s[8:9], -1
                                        ; implicit-def: $sgpr24_sgpr25
                                        ; implicit-def: $vgpr2
.LBB106_3:
	s_load_dwordx4 s[20:23], s[0:1], 0x30
	v_and_b32_e32 v0, 0x3ff, v0
	s_andn2_b64 vcc, exec, s[8:9]
	v_mov_b32_e32 v9, s7
	v_mov_b32_e32 v8, s7
	s_cbranch_vccnz .LBB106_11
; %bb.4:
	s_load_dword s3, s[0:1], 0x4c
	s_load_dword s5, s[0:1], 0x44
	s_load_dwordx8 s[8:15], s[0:1], 0x10
	s_add_u32 s24, s0, 64
	s_addc_u32 s25, s1, 0
	s_waitcnt lgkmcnt(0)
	s_and_b32 s0, s3, 0xffff
	v_mad_u32_u24 v2, v1, s0, v0
	v_lshlrev_b32_e32 v8, 5, v1
	v_mov_b32_e32 v9, 0
	v_mbcnt_lo_u32_b32 v4, -1, 0
	v_and_b32_e32 v2, 63, v2
	v_mov_b32_e32 v3, v9
	v_mbcnt_hi_u32_b32 v4, -1, v4
	s_lshl_b32 s26, s5, 5
	v_lshl_add_u64 v[42:43], v[8:9], 0, s[6:7]
	v_cmp_gt_u32_e64 s[0:1], 32, v2
	v_lshl_add_u32 v6, s2, 5, v0
	v_mov_b32_e32 v7, v9
	v_lshlrev_b32_e32 v4, 2, v4
	v_lshl_add_u64 v[2:3], v[42:43], 0, v[2:3]
	v_mul_lo_u32 v8, s19, v42
	v_mul_lo_u32 v44, s18, v43
	v_mad_u64_u32 v[42:43], s[30:31], s18, v42, 0
	s_mul_i32 s3, s19, s26
	s_mul_hi_u32 s5, s18, s26
	s_mov_b32 s27, 0
	v_and_b32_e32 v10, 0x100, v4
	v_add3_u32 v43, v43, v44, v8
	v_lshlrev_b64 v[6:7], 1, v[6:7]
	s_add_i32 s31, s5, s3
	s_mul_i32 s30, s18, s26
	v_or_b32_e32 v11, 4, v10
	v_or_b32_e32 v12, 8, v10
	;; [unrolled: 1-line block ×31, first 2 shown]
	v_lshlrev_b64 v[4:5], 2, v[2:3]
	s_lshl_b64 s[28:29], s[26:27], 2
	v_lshl_add_u64 v[6:7], v[42:43], 1, v[6:7]
	s_lshl_b64 s[30:31], s[30:31], 1
	s_lshl_b64 s[34:35], s[18:19], 1
	v_mov_b32_e32 v8, v9
	s_branch .LBB106_7
.LBB106_5:                              ;   in Loop: Header=BB106_7 Depth=1
	s_or_b64 exec, exec, s[38:39]
.LBB106_6:                              ;   in Loop: Header=BB106_7 Depth=1
	s_or_b64 exec, exec, s[36:37]
	v_lshl_add_u64 v[44:45], s[10:11], 0, v[6:7]
	global_load_ushort v48, v[44:45], off
	v_lshl_add_u64 v[46:47], s[8:9], 0, v[6:7]
	global_load_ushort v49, v[46:47], off
	;; [unrolled: 2-line block ×18, first 2 shown]
	v_lshl_add_u64 v[44:45], v[44:45], 0, s[34:35]
	v_lshl_add_u64 v[46:47], v[46:47], 0, s[34:35]
	global_load_ushort v68, v[44:45], off
	global_load_ushort v69, v[46:47], off
	s_waitcnt vmcnt(21)
	ds_bpermute_b32 v64, v10, v43
	s_waitcnt vmcnt(20)
	ds_bpermute_b32 v67, v10, v42
	v_lshl_add_u64 v[44:45], v[44:45], 0, s[34:35]
	v_lshl_add_u64 v[46:47], v[46:47], 0, s[34:35]
	s_add_u32 s6, s6, s26
	s_addc_u32 s7, s7, 0
	v_lshl_add_u64 v[4:5], v[4:5], 0, s[28:29]
	v_lshl_add_u64 v[2:3], v[2:3], 0, s[26:27]
	;; [unrolled: 1-line block ×3, first 2 shown]
	s_waitcnt vmcnt(19)
	v_lshlrev_b32_e32 v48, 16, v48
	s_waitcnt lgkmcnt(1)
	v_sub_f32_e32 v64, v48, v64
	s_waitcnt vmcnt(18)
	v_lshlrev_b32_e32 v48, 16, v49
	v_mul_f32_e32 v49, v64, v48
	ds_bpermute_b32 v64, v11, v43
	s_waitcnt vmcnt(17)
	v_lshlrev_b32_e32 v50, 16, v50
	s_waitcnt lgkmcnt(1)
	v_mul_f32_e32 v49, v49, v67
	ds_bpermute_b32 v67, v11, v42
	s_waitcnt vmcnt(15)
	v_lshlrev_b32_e32 v52, 16, v52
	s_waitcnt lgkmcnt(1)
	v_sub_f32_e32 v64, v50, v64
	v_lshlrev_b32_e32 v50, 16, v51
	v_mul_f32_e32 v51, v64, v50
	ds_bpermute_b32 v64, v12, v43
	s_waitcnt lgkmcnt(1)
	v_mul_f32_e32 v51, v51, v67
	ds_bpermute_b32 v67, v12, v42
	s_waitcnt vmcnt(13)
	v_lshlrev_b32_e32 v54, 16, v54
	s_waitcnt vmcnt(11)
	v_lshlrev_b32_e32 v56, 16, v56
	s_waitcnt lgkmcnt(1)
	v_sub_f32_e32 v64, v52, v64
	v_lshlrev_b32_e32 v52, 16, v53
	v_mul_f32_e32 v53, v64, v52
	ds_bpermute_b32 v64, v13, v43
	s_waitcnt lgkmcnt(1)
	v_mul_f32_e32 v53, v53, v67
	ds_bpermute_b32 v67, v13, v42
	s_waitcnt vmcnt(9)
	v_lshlrev_b32_e32 v58, 16, v58
	;; [unrolled: 12-line block ×4, first 2 shown]
	v_pk_add_f32 v[8:9], v[8:9], v[48:49]
	s_waitcnt lgkmcnt(1)
	v_sub_f32_e32 v64, v58, v64
	v_lshlrev_b32_e32 v58, 16, v59
	v_mul_f32_e32 v59, v64, v58
	ds_bpermute_b32 v64, v16, v43
	s_waitcnt lgkmcnt(1)
	v_mul_f32_e32 v59, v59, v67
	ds_bpermute_b32 v67, v16, v42
	v_pk_add_f32 v[8:9], v[8:9], v[50:51]
	ds_bpermute_b32 v48, v20, v43
	s_waitcnt lgkmcnt(2)
	v_sub_f32_e32 v64, v60, v64
	v_lshlrev_b32_e32 v60, 16, v61
	v_mul_f32_e32 v61, v64, v60
	ds_bpermute_b32 v64, v17, v43
	s_waitcnt lgkmcnt(2)
	v_mul_f32_e32 v61, v61, v67
	ds_bpermute_b32 v67, v17, v42
	v_pk_add_f32 v[8:9], v[8:9], v[52:53]
	ds_bpermute_b32 v49, v20, v42
	;; [unrolled: 10-line block ×3, first 2 shown]
	s_waitcnt lgkmcnt(2)
	v_sub_f32_e32 v65, v65, v64
	v_lshlrev_b32_e32 v64, 16, v66
	ds_bpermute_b32 v66, v19, v43
	v_mul_f32_e32 v65, v65, v64
	s_waitcnt lgkmcnt(2)
	v_mul_f32_e32 v65, v65, v67
	ds_bpermute_b32 v67, v19, v42
	v_pk_add_f32 v[8:9], v[8:9], v[56:57]
	s_waitcnt lgkmcnt(1)
	v_sub_f32_e32 v68, v68, v66
	s_waitcnt vmcnt(0)
	v_lshlrev_b32_e32 v66, 16, v69
	v_mul_f32_e32 v68, v68, v66
	s_waitcnt lgkmcnt(0)
	v_mul_f32_e32 v67, v68, v67
	global_load_ushort v68, v[44:45], off
	global_load_ushort v69, v[46:47], off
	v_lshl_add_u64 v[44:45], v[44:45], 0, s[34:35]
	global_load_ushort v70, v[44:45], off
	v_lshl_add_u64 v[46:47], v[46:47], 0, s[34:35]
	;; [unrolled: 2-line block ×14, first 2 shown]
	global_load_ushort v83, v[46:47], off
	v_pk_add_f32 v[8:9], v[8:9], v[58:59]
	v_lshl_add_u64 v[44:45], v[44:45], 0, s[34:35]
	v_pk_add_f32 v[8:9], v[8:9], v[60:61]
	v_lshl_add_u64 v[46:47], v[46:47], 0, s[34:35]
	v_pk_add_f32 v[8:9], v[8:9], v[62:63]
	ds_bpermute_b32 v53, v22, v42
	v_pk_add_f32 v[8:9], v[8:9], v[64:65]
	global_load_ushort v64, v[44:45], off
	global_load_ushort v65, v[46:47], off
	v_lshl_add_u64 v[44:45], v[44:45], 0, s[34:35]
	v_pk_add_f32 v[8:9], v[8:9], v[66:67]
	global_load_ushort v66, v[44:45], off
	v_lshl_add_u64 v[46:47], v[46:47], 0, s[34:35]
	global_load_ushort v67, v[46:47], off
	ds_bpermute_b32 v55, v23, v42
	ds_bpermute_b32 v57, v24, v42
	;; [unrolled: 1-line block ×5, first 2 shown]
	v_lshl_add_u64 v[44:45], v[44:45], 0, s[34:35]
	v_lshl_add_u64 v[46:47], v[46:47], 0, s[34:35]
	s_waitcnt vmcnt(19)
	v_lshlrev_b32_e32 v50, 16, v68
	v_sub_f32_e32 v50, v50, v48
	s_waitcnt vmcnt(18)
	v_lshlrev_b32_e32 v48, 16, v69
	v_mul_f32_e32 v50, v50, v48
	v_mul_f32_e32 v49, v50, v49
	ds_bpermute_b32 v50, v21, v43
	s_waitcnt vmcnt(17)
	v_lshlrev_b32_e32 v52, 16, v70
	s_waitcnt vmcnt(15)
	v_lshlrev_b32_e32 v54, 16, v72
	ds_bpermute_b32 v69, v28, v42
	v_pk_add_f32 v[8:9], v[8:9], v[48:49]
	s_waitcnt lgkmcnt(1)
	v_sub_f32_e32 v52, v52, v50
	v_lshlrev_b32_e32 v50, 16, v71
	v_mul_f32_e32 v52, v52, v50
	v_mul_f32_e32 v51, v52, v51
	ds_bpermute_b32 v52, v22, v43
	s_waitcnt vmcnt(13)
	v_lshlrev_b32_e32 v56, 16, v74
	s_waitcnt vmcnt(11)
	v_lshlrev_b32_e32 v58, 16, v76
	v_pk_add_f32 v[8:9], v[8:9], v[50:51]
	ds_bpermute_b32 v70, v30, v42
	s_waitcnt lgkmcnt(1)
	v_sub_f32_e32 v54, v54, v52
	v_lshlrev_b32_e32 v52, 16, v73
	v_mul_f32_e32 v54, v54, v52
	v_mul_f32_e32 v53, v54, v53
	ds_bpermute_b32 v54, v23, v43
	s_waitcnt vmcnt(9)
	v_lshlrev_b32_e32 v60, 16, v78
	s_waitcnt vmcnt(7)
	v_lshlrev_b32_e32 v62, 16, v80
	v_pk_add_f32 v[8:9], v[8:9], v[52:53]
	s_waitcnt vmcnt(5)
	v_lshlrev_b32_e32 v68, 16, v82
	s_waitcnt lgkmcnt(0)
	v_sub_f32_e32 v56, v56, v54
	v_lshlrev_b32_e32 v54, 16, v75
	v_mul_f32_e32 v56, v56, v54
	v_mul_f32_e32 v55, v56, v55
	ds_bpermute_b32 v56, v24, v43
	v_pk_add_f32 v[8:9], v[8:9], v[54:55]
	s_waitcnt lgkmcnt(0)
	v_sub_f32_e32 v58, v58, v56
	v_lshlrev_b32_e32 v56, 16, v77
	v_mul_f32_e32 v58, v58, v56
	v_mul_f32_e32 v57, v58, v57
	ds_bpermute_b32 v58, v25, v43
	s_waitcnt vmcnt(3)
	v_lshlrev_b32_e32 v64, 16, v64
	s_waitcnt vmcnt(1)
	v_lshlrev_b32_e32 v66, 16, v66
	v_pk_add_f32 v[8:9], v[8:9], v[56:57]
	s_waitcnt lgkmcnt(0)
	v_sub_f32_e32 v60, v60, v58
	v_lshlrev_b32_e32 v58, 16, v79
	v_mul_f32_e32 v60, v60, v58
	v_mul_f32_e32 v59, v60, v59
	ds_bpermute_b32 v60, v26, v43
	v_pk_add_f32 v[8:9], v[8:9], v[58:59]
	s_waitcnt lgkmcnt(0)
	v_sub_f32_e32 v62, v62, v60
	v_lshlrev_b32_e32 v60, 16, v81
	v_mul_f32_e32 v62, v62, v60
	v_mul_f32_e32 v61, v62, v61
	ds_bpermute_b32 v62, v27, v43
	v_pk_add_f32 v[8:9], v[8:9], v[60:61]
	s_waitcnt lgkmcnt(0)
	v_sub_f32_e32 v68, v68, v62
	v_lshlrev_b32_e32 v62, 16, v83
	v_mul_f32_e32 v68, v68, v62
	v_mul_f32_e32 v63, v68, v63
	ds_bpermute_b32 v68, v28, v43
	v_pk_add_f32 v[8:9], v[8:9], v[62:63]
	s_waitcnt lgkmcnt(0)
	v_sub_f32_e32 v68, v64, v68
	v_lshlrev_b32_e32 v64, 16, v65
	v_mul_f32_e32 v65, v68, v64
	ds_bpermute_b32 v68, v29, v43
	v_mul_f32_e32 v65, v65, v69
	ds_bpermute_b32 v69, v29, v42
	v_pk_add_f32 v[8:9], v[8:9], v[64:65]
	s_waitcnt lgkmcnt(1)
	v_sub_f32_e32 v68, v66, v68
	s_waitcnt vmcnt(0)
	v_lshlrev_b32_e32 v66, 16, v67
	v_mul_f32_e32 v67, v68, v66
	global_load_ushort v68, v[44:45], off
	s_waitcnt lgkmcnt(0)
	v_mul_f32_e32 v67, v67, v69
	ds_bpermute_b32 v69, v30, v43
	v_lshl_add_u64 v[44:45], v[44:45], 0, s[34:35]
	global_load_ushort v48, v[44:45], off
	v_lshl_add_u64 v[44:45], v[44:45], 0, s[34:35]
	global_load_ushort v50, v[44:45], off
	;; [unrolled: 2-line block ×9, first 2 shown]
	v_lshl_add_u64 v[44:45], v[44:45], 0, s[34:35]
	v_pk_add_f32 v[8:9], v[8:9], v[66:67]
	global_load_ushort v66, v[44:45], off
	v_lshl_add_u64 v[44:45], v[44:45], 0, s[34:35]
	global_load_ushort v71, v[44:45], off
	ds_bpermute_b32 v44, v31, v43
	ds_bpermute_b32 v45, v31, v42
	s_waitcnt vmcnt(11)
	v_lshlrev_b32_e32 v68, 16, v68
	s_waitcnt lgkmcnt(2)
	v_sub_f32_e32 v69, v68, v69
	global_load_ushort v68, v[46:47], off
	v_lshl_add_u64 v[46:47], v[46:47], 0, s[34:35]
	global_load_ushort v49, v[46:47], off
	v_lshl_add_u64 v[46:47], v[46:47], 0, s[34:35]
	;; [unrolled: 2-line block ×11, first 2 shown]
	s_waitcnt vmcnt(10)
	v_lshlrev_b32_e32 v68, 16, v68
	v_mul_f32_e32 v69, v69, v68
	v_mul_f32_e32 v69, v69, v70
	global_load_ushort v70, v[46:47], off
	ds_bpermute_b32 v47, v32, v43
	v_lshlrev_b32_e32 v46, 16, v48
	s_waitcnt lgkmcnt(2)
	v_sub_f32_e32 v46, v46, v44
	s_waitcnt vmcnt(10)
	v_lshlrev_b32_e32 v44, 16, v49
	ds_bpermute_b32 v48, v32, v42
	v_mul_f32_e32 v46, v46, v44
	ds_bpermute_b32 v49, v33, v43
	s_waitcnt lgkmcnt(3)
	v_mul_f32_e32 v45, v46, v45
	v_lshlrev_b32_e32 v46, 16, v50
	s_waitcnt lgkmcnt(2)
	v_sub_f32_e32 v47, v46, v47
	s_waitcnt vmcnt(9)
	v_lshlrev_b32_e32 v46, 16, v51
	ds_bpermute_b32 v50, v33, v42
	v_mul_f32_e32 v47, v47, v46
	ds_bpermute_b32 v51, v34, v43
	s_waitcnt lgkmcnt(3)
	v_mul_f32_e32 v47, v47, v48
	;; [unrolled: 10-line block ×6, first 2 shown]
	v_lshlrev_b32_e32 v56, 16, v60
	s_waitcnt lgkmcnt(2)
	v_sub_f32_e32 v57, v56, v57
	s_waitcnt vmcnt(4)
	v_lshlrev_b32_e32 v56, 16, v61
	ds_bpermute_b32 v60, v38, v42
	v_mul_f32_e32 v57, v57, v56
	ds_bpermute_b32 v61, v39, v43
	v_pk_add_f32 v[8:9], v[8:9], v[68:69]
	s_waitcnt lgkmcnt(3)
	v_mul_f32_e32 v57, v57, v58
	v_lshlrev_b32_e32 v58, 16, v62
	s_waitcnt lgkmcnt(2)
	v_sub_f32_e32 v59, v58, v59
	s_waitcnt vmcnt(3)
	v_lshlrev_b32_e32 v58, 16, v63
	ds_bpermute_b32 v62, v39, v42
	v_pk_add_f32 v[8:9], v[8:9], v[44:45]
	v_mul_f32_e32 v59, v59, v58
	ds_bpermute_b32 v63, v40, v43
	v_pk_add_f32 v[8:9], v[8:9], v[46:47]
	ds_bpermute_b32 v43, v41, v43
	s_waitcnt lgkmcnt(4)
	v_mul_f32_e32 v59, v59, v60
	v_lshlrev_b32_e32 v60, 16, v64
	v_pk_add_f32 v[8:9], v[8:9], v[48:49]
	s_waitcnt lgkmcnt(3)
	v_sub_f32_e32 v61, v60, v61
	s_waitcnt vmcnt(2)
	v_lshlrev_b32_e32 v60, 16, v65
	ds_bpermute_b32 v64, v40, v42
	v_pk_add_f32 v[8:9], v[8:9], v[50:51]
	ds_bpermute_b32 v42, v41, v42
	v_mul_f32_e32 v61, v61, v60
	v_pk_add_f32 v[8:9], v[8:9], v[52:53]
	s_waitcnt lgkmcnt(4)
	v_mul_f32_e32 v61, v61, v62
	v_lshlrev_b32_e32 v62, 16, v66
	v_pk_add_f32 v[8:9], v[8:9], v[54:55]
	v_lshlrev_b32_e32 v45, 16, v71
	s_waitcnt lgkmcnt(3)
	v_sub_f32_e32 v63, v62, v63
	s_waitcnt vmcnt(1)
	v_lshlrev_b32_e32 v62, 16, v67
	v_pk_add_f32 v[8:9], v[8:9], v[56:57]
	s_waitcnt lgkmcnt(2)
	v_sub_f32_e32 v43, v45, v43
	v_mul_f32_e32 v63, v63, v62
	s_waitcnt vmcnt(0)
	v_lshlrev_b32_e32 v44, 16, v70
	v_pk_add_f32 v[8:9], v[8:9], v[58:59]
	v_mul_f32_e32 v43, v43, v44
	s_waitcnt lgkmcnt(1)
	v_mul_f32_e32 v63, v63, v64
	v_pk_add_f32 v[8:9], v[8:9], v[60:61]
	s_waitcnt lgkmcnt(0)
	v_mul_f32_e32 v45, v43, v42
	v_mov_b64_e32 v[42:43], s[16:17]
	v_pk_add_f32 v[8:9], v[8:9], v[62:63]
	v_cmp_lt_i64_e32 vcc, s[6:7], v[42:43]
	v_pk_add_f32 v[8:9], v[8:9], v[44:45]
	s_cbranch_vccz .LBB106_10
.LBB106_7:                              ; =>This Inner Loop Header: Depth=1
	v_mov_b32_e32 v42, 0
	v_mov_b32_e32 v43, 0
	s_and_saveexec_b64 s[36:37], s[0:1]
	s_cbranch_execz .LBB106_6
; %bb.8:                                ;   in Loop: Header=BB106_7 Depth=1
	v_cmp_gt_i64_e32 vcc, s[16:17], v[2:3]
	v_mov_b32_e32 v43, 0
	v_mov_b32_e32 v42, 0
	s_and_saveexec_b64 s[38:39], vcc
	s_cbranch_execz .LBB106_5
; %bb.9:                                ;   in Loop: Header=BB106_7 Depth=1
	v_lshl_add_u64 v[46:47], s[12:13], 0, v[4:5]
	v_lshl_add_u64 v[44:45], s[14:15], 0, v[4:5]
	global_load_dword v43, v[46:47], off
	global_load_dword v42, v[44:45], off
	s_branch .LBB106_5
.LBB106_10:
	v_mov_b32_e32 v2, v1
.LBB106_11:
	s_load_dword s5, s[24:25], 0xc
	s_mov_b32 s3, 0
	v_mov_b32_e32 v1, 0
	s_lshl_b64 s[0:1], s[2:3], 5
	v_lshl_add_u64 v[4:5], s[0:1], 0, v[0:1]
	s_waitcnt lgkmcnt(0)
	s_lshr_b32 s0, s5, 16
	v_mov_b32_e32 v3, v1
	v_mov_b32_e32 v0, s4
	v_mad_u64_u32 v[0:1], s[0:1], s0, v0, v[2:3]
	s_cmp_eq_u64 s[20:21], 0
	v_mul_lo_u32 v1, v1, s18
	v_mul_lo_u32 v2, v0, s19
	s_cbranch_scc1 .LBB106_13
; %bb.12:
	v_bfe_u32 v3, v9, 16, 1
	s_movk_i32 s0, 0x7fff
	v_add3_u32 v3, v9, v3, s0
	v_lshrrev_b32_e32 v3, 16, v3
	v_mov_b32_e32 v6, 0x7fc0
	v_cmp_o_f32_e32 vcc, v9, v9
	s_nop 1
	v_cndmask_b32_e32 v3, v6, v3, vcc
	v_mad_u64_u32 v[6:7], s[0:1], v0, s18, 0
	v_add3_u32 v7, v7, v2, v1
	v_lshl_add_u64 v[6:7], v[6:7], 1, s[20:21]
	v_lshl_add_u64 v[6:7], v[4:5], 1, v[6:7]
	global_store_short v[6:7], v3, off
.LBB106_13:
	s_cmp_eq_u64 s[22:23], 0
	s_cbranch_scc1 .LBB106_15
; %bb.14:
	v_bfe_u32 v3, v8, 16, 1
	s_movk_i32 s0, 0x7fff
	v_add3_u32 v3, v8, v3, s0
	v_lshrrev_b32_e32 v3, 16, v3
	v_mov_b32_e32 v6, 0x7fc0
	v_cmp_o_f32_e32 vcc, v8, v8
	s_nop 1
	v_cndmask_b32_e32 v3, v6, v3, vcc
	v_mad_u64_u32 v[6:7], s[0:1], v0, s18, 0
	v_add3_u32 v7, v7, v2, v1
	v_lshl_add_u64 v[0:1], v[6:7], 1, s[22:23]
	v_lshl_add_u64 v[0:1], v[4:5], 1, v[0:1]
	global_store_short v[0:1], v3, off
.LBB106_15:
	s_endpgm
	.section	.rodata,"a",@progbits
	.p2align	6, 0x0
	.amdhsa_kernel _ZN2at6native12_GLOBAL__N_135GammaBetaBackwardCUDAKernelTemplateIN3c108BFloat16EfLj32ELj1ELj32ELb1ELb1ELb0EEEvllPKT_S7_PKT0_SA_PS5_SB_
		.amdhsa_group_segment_fixed_size 0
		.amdhsa_private_segment_fixed_size 0
		.amdhsa_kernarg_size 320
		.amdhsa_user_sgpr_count 2
		.amdhsa_user_sgpr_dispatch_ptr 0
		.amdhsa_user_sgpr_queue_ptr 0
		.amdhsa_user_sgpr_kernarg_segment_ptr 1
		.amdhsa_user_sgpr_dispatch_id 0
		.amdhsa_user_sgpr_kernarg_preload_length 0
		.amdhsa_user_sgpr_kernarg_preload_offset 0
		.amdhsa_user_sgpr_private_segment_size 0
		.amdhsa_uses_dynamic_stack 0
		.amdhsa_enable_private_segment 0
		.amdhsa_system_sgpr_workgroup_id_x 1
		.amdhsa_system_sgpr_workgroup_id_y 1
		.amdhsa_system_sgpr_workgroup_id_z 0
		.amdhsa_system_sgpr_workgroup_info 0
		.amdhsa_system_vgpr_workitem_id 1
		.amdhsa_next_free_vgpr 84
		.amdhsa_next_free_sgpr 40
		.amdhsa_accum_offset 84
		.amdhsa_reserve_vcc 1
		.amdhsa_float_round_mode_32 0
		.amdhsa_float_round_mode_16_64 0
		.amdhsa_float_denorm_mode_32 3
		.amdhsa_float_denorm_mode_16_64 3
		.amdhsa_dx10_clamp 1
		.amdhsa_ieee_mode 1
		.amdhsa_fp16_overflow 0
		.amdhsa_tg_split 0
		.amdhsa_exception_fp_ieee_invalid_op 0
		.amdhsa_exception_fp_denorm_src 0
		.amdhsa_exception_fp_ieee_div_zero 0
		.amdhsa_exception_fp_ieee_overflow 0
		.amdhsa_exception_fp_ieee_underflow 0
		.amdhsa_exception_fp_ieee_inexact 0
		.amdhsa_exception_int_div_zero 0
	.end_amdhsa_kernel
	.section	.text._ZN2at6native12_GLOBAL__N_135GammaBetaBackwardCUDAKernelTemplateIN3c108BFloat16EfLj32ELj1ELj32ELb1ELb1ELb0EEEvllPKT_S7_PKT0_SA_PS5_SB_,"axG",@progbits,_ZN2at6native12_GLOBAL__N_135GammaBetaBackwardCUDAKernelTemplateIN3c108BFloat16EfLj32ELj1ELj32ELb1ELb1ELb0EEEvllPKT_S7_PKT0_SA_PS5_SB_,comdat
.Lfunc_end106:
	.size	_ZN2at6native12_GLOBAL__N_135GammaBetaBackwardCUDAKernelTemplateIN3c108BFloat16EfLj32ELj1ELj32ELb1ELb1ELb0EEEvllPKT_S7_PKT0_SA_PS5_SB_, .Lfunc_end106-_ZN2at6native12_GLOBAL__N_135GammaBetaBackwardCUDAKernelTemplateIN3c108BFloat16EfLj32ELj1ELj32ELb1ELb1ELb0EEEvllPKT_S7_PKT0_SA_PS5_SB_
                                        ; -- End function
	.section	.AMDGPU.csdata,"",@progbits
; Kernel info:
; codeLenInByte = 3704
; NumSgprs: 46
; NumVgprs: 84
; NumAgprs: 0
; TotalNumVgprs: 84
; ScratchSize: 0
; MemoryBound: 0
; FloatMode: 240
; IeeeMode: 1
; LDSByteSize: 0 bytes/workgroup (compile time only)
; SGPRBlocks: 5
; VGPRBlocks: 10
; NumSGPRsForWavesPerEU: 46
; NumVGPRsForWavesPerEU: 84
; AccumOffset: 84
; Occupancy: 5
; WaveLimiterHint : 0
; COMPUTE_PGM_RSRC2:SCRATCH_EN: 0
; COMPUTE_PGM_RSRC2:USER_SGPR: 2
; COMPUTE_PGM_RSRC2:TRAP_HANDLER: 0
; COMPUTE_PGM_RSRC2:TGID_X_EN: 1
; COMPUTE_PGM_RSRC2:TGID_Y_EN: 1
; COMPUTE_PGM_RSRC2:TGID_Z_EN: 0
; COMPUTE_PGM_RSRC2:TIDIG_COMP_CNT: 1
; COMPUTE_PGM_RSRC3_GFX90A:ACCUM_OFFSET: 20
; COMPUTE_PGM_RSRC3_GFX90A:TG_SPLIT: 0
	.section	.text._ZN2at6native12_GLOBAL__N_135GammaBetaBackwardCUDAKernelTemplateIN3c108BFloat16EfLj32ELj1ELj32ELb1ELb0ELb0EEEvllPKT_S7_PKT0_SA_PS5_SB_,"axG",@progbits,_ZN2at6native12_GLOBAL__N_135GammaBetaBackwardCUDAKernelTemplateIN3c108BFloat16EfLj32ELj1ELj32ELb1ELb0ELb0EEEvllPKT_S7_PKT0_SA_PS5_SB_,comdat
	.globl	_ZN2at6native12_GLOBAL__N_135GammaBetaBackwardCUDAKernelTemplateIN3c108BFloat16EfLj32ELj1ELj32ELb1ELb0ELb0EEEvllPKT_S7_PKT0_SA_PS5_SB_ ; -- Begin function _ZN2at6native12_GLOBAL__N_135GammaBetaBackwardCUDAKernelTemplateIN3c108BFloat16EfLj32ELj1ELj32ELb1ELb0ELb0EEEvllPKT_S7_PKT0_SA_PS5_SB_
	.p2align	8
	.type	_ZN2at6native12_GLOBAL__N_135GammaBetaBackwardCUDAKernelTemplateIN3c108BFloat16EfLj32ELj1ELj32ELb1ELb0ELb0EEEvllPKT_S7_PKT0_SA_PS5_SB_,@function
_ZN2at6native12_GLOBAL__N_135GammaBetaBackwardCUDAKernelTemplateIN3c108BFloat16EfLj32ELj1ELj32ELb1ELb0ELb0EEEvllPKT_S7_PKT0_SA_PS5_SB_: ; @_ZN2at6native12_GLOBAL__N_135GammaBetaBackwardCUDAKernelTemplateIN3c108BFloat16EfLj32ELj1ELj32ELb1ELb0ELb0EEEvllPKT_S7_PKT0_SA_PS5_SB_
; %bb.0:
	s_load_dwordx8 s[12:19], s[0:1], 0x0
	s_load_dwordx4 s[20:23], s[0:1], 0x20
	s_mov_b32 s8, s3
	s_lshl_b32 s3, s2, 5
	v_mov_b32_e32 v212, v0
	s_or_b32 s10, s3, 31
	s_mov_b32 s11, 0
	s_waitcnt lgkmcnt(0)
	v_mov_b64_e32 v[0:1], s[14:15]
	v_cmp_ge_i64_e32 vcc, s[10:11], v[0:1]
	s_lshl_b32 s10, s8, 5
	v_mov_b64_e32 v[0:1], s[12:13]
	v_cmp_lt_i64_e64 s[4:5], s[10:11], v[0:1]
	s_nop 1
	v_cndmask_b32_e64 v0, 0, 1, s[4:5]
	v_cmp_ne_u32_e64 s[4:5], 1, v0
	s_cbranch_vccz .LBB107_144
; %bb.1:
	s_mov_b32 s6, s11
	s_mov_b32 s7, s11
	s_and_b64 vcc, exec, s[4:5]
	v_mov_b64_e32 v[66:67], s[6:7]
	s_cbranch_vccnz .LBB107_145
; %bb.2:
	v_mov_b32_e32 v1, 0
	v_bfe_u32 v202, v212, 10, 10
	v_lshlrev_b32_e32 v2, 5, v202
	v_mov_b32_e32 v3, v1
	v_and_b32_e32 v144, 0x3ff, v212
	v_lshl_add_u64 v[66:67], v[2:3], 0, s[10:11]
	v_add_u32_e32 v0, s3, v144
	v_lshl_add_u64 v[6:7], v[66:67], 0, 31
	v_cmp_gt_i64_e64 s[6:7], s[14:15], v[0:1]
	v_lshlrev_b64 v[4:5], 1, v[0:1]
	v_mul_lo_u32 v0, s15, v6
	v_mul_lo_u32 v8, s14, v7
	v_mad_u64_u32 v[6:7], s[30:31], s14, v6, 0
	v_lshl_add_u64 v[10:11], v[66:67], 0, 30
	v_add3_u32 v7, v7, v8, v0
	v_mul_lo_u32 v0, s15, v10
	v_mul_lo_u32 v12, s14, v11
	v_mad_u64_u32 v[10:11], s[34:35], s14, v10, 0
	v_lshl_add_u64 v[14:15], v[66:67], 0, 29
	v_add3_u32 v11, v11, v12, v0
	;; [unrolled: 5-line block ×25, first 2 shown]
	v_mul_lo_u32 v0, s15, v108
	v_mul_lo_u32 v110, s14, v109
	v_mad_u64_u32 v[108:109], s[34:35], s14, v108, 0
	v_lshl_add_u64 v[112:113], v[66:67], 0, 5
	s_load_dword s9, s[0:1], 0x44
	v_add3_u32 v109, v109, v110, v0
	v_mul_lo_u32 v0, s15, v112
	v_mul_lo_u32 v114, s14, v113
	v_mad_u64_u32 v[112:113], s[34:35], s14, v112, 0
	v_lshl_add_u64 v[116:117], v[66:67], 0, 4
	v_add3_u32 v113, v113, v114, v0
	v_mul_lo_u32 v0, s15, v116
	v_mul_lo_u32 v118, s14, v117
	v_mad_u64_u32 v[116:117], s[34:35], s14, v116, 0
	v_lshl_add_u64 v[120:121], v[66:67], 0, 3
	;; [unrolled: 5-line block ×3, first 2 shown]
	v_add3_u32 v121, v121, v122, v0
	v_mul_lo_u32 v0, s15, v124
	v_mul_lo_u32 v126, s14, v125
	v_mad_u64_u32 v[124:125], s[34:35], s14, v124, 0
	v_mov_b64_e32 v[128:129], s[14:15]
	s_add_u32 s26, s0, 64
	v_add3_u32 v125, v125, v126, v0
	v_mad_u64_u32 v[128:129], s[34:35], s14, v66, v[128:129]
	v_mul_lo_u32 v0, s14, v67
	v_mul_lo_u32 v132, s15, v66
	v_mad_u64_u32 v[66:67], s[34:35], s14, v66, 0
	s_addc_u32 s27, s1, 0
	s_waitcnt lgkmcnt(0)
	s_lshl_b32 s24, s9, 5
	v_add3_u32 v129, v132, v129, v0
	v_add3_u32 v67, v67, v0, v132
	v_mbcnt_lo_u32_b32 v0, -1, 0
	s_mul_i32 s9, s15, s24
	s_mul_hi_u32 s30, s14, s24
	v_mbcnt_hi_u32_b32 v0, -1, v0
	v_lshlrev_b64 v[8:9], 1, v[6:7]
	s_add_i32 s31, s30, s9
	s_mul_i32 s30, s14, s24
	v_lshlrev_b64 v[12:13], 1, v[10:11]
	v_lshlrev_b64 v[16:17], 1, v[14:15]
	;; [unrolled: 1-line block ×31, first 2 shown]
	v_lshlrev_b32_e32 v0, 2, v0
	s_mov_b32 s25, 0
	s_mov_b64 s[28:29], 31
	v_lshl_add_u64 v[6:7], s[16:17], 0, v[8:9]
	s_lshl_b64 s[30:31], s[30:31], 1
	v_lshl_add_u64 v[8:9], s[18:19], 0, v[8:9]
	v_lshl_add_u64 v[10:11], s[16:17], 0, v[12:13]
	;; [unrolled: 1-line block ×63, first 2 shown]
	v_and_b32_e32 v203, 0x100, v0
	v_mov_b32_e32 v66, v1
	v_mov_b32_e32 v67, v1
	s_mov_b64 s[34:35], s[10:11]
	s_branch .LBB107_5
.LBB107_3:                              ;   in Loop: Header=BB107_5 Depth=1
	s_or_b64 exec, exec, s[36:37]
	s_waitcnt vmcnt(1)
	ds_bpermute_b32 v137, v203, v200
	ds_bpermute_b32 v207, v203, v200 offset:4
	s_waitcnt vmcnt(0)
	ds_bpermute_b32 v159, v203, v199
	ds_bpermute_b32 v208, v203, v200 offset:8
	ds_bpermute_b32 v167, v203, v199 offset:4
	s_waitcnt lgkmcnt(4)
	v_sub_f32_e32 v137, v139, v137
	s_waitcnt lgkmcnt(3)
	v_sub_f32_e32 v139, v143, v207
	ds_bpermute_b32 v143, v203, v199 offset:8
	v_mul_f32_e32 v137, v136, v137
	s_waitcnt lgkmcnt(3)
	v_mul_f32_e32 v137, v137, v159
	ds_bpermute_b32 v159, v203, v200 offset:12
	s_waitcnt lgkmcnt(3)
	v_sub_f32_e32 v141, v141, v208
	v_mul_f32_e32 v139, v138, v139
	v_mul_f32_e32 v141, v140, v141
	s_waitcnt lgkmcnt(2)
	v_mul_f32_e32 v139, v139, v167
	s_waitcnt lgkmcnt(1)
	v_mul_f32_e32 v141, v141, v143
	ds_bpermute_b32 v143, v203, v199 offset:12
	ds_bpermute_b32 v167, v203, v200 offset:16
	s_waitcnt lgkmcnt(2)
	v_sub_f32_e32 v149, v149, v159
	ds_bpermute_b32 v159, v203, v199 offset:16
	v_mul_f32_e32 v149, v142, v149
	s_waitcnt lgkmcnt(2)
	v_mul_f32_e32 v143, v149, v143
	s_waitcnt lgkmcnt(1)
	v_sub_f32_e32 v147, v147, v167
	ds_bpermute_b32 v149, v203, v200 offset:20
	v_mul_f32_e32 v147, v146, v147
	s_waitcnt lgkmcnt(1)
	v_mul_f32_e32 v147, v147, v159
	ds_bpermute_b32 v159, v203, v199 offset:20
	ds_bpermute_b32 v167, v203, v200 offset:24
	s_waitcnt lgkmcnt(2)
	v_sub_f32_e32 v149, v153, v149
	ds_bpermute_b32 v153, v203, v199 offset:24
	v_mul_f32_e32 v149, v148, v149
	s_waitcnt lgkmcnt(2)
	v_mul_f32_e32 v149, v149, v159
	ds_bpermute_b32 v159, v203, v200 offset:28
	s_waitcnt lgkmcnt(2)
	v_sub_f32_e32 v151, v151, v167
	v_mul_f32_e32 v151, v152, v151
	s_waitcnt lgkmcnt(1)
	v_mul_f32_e32 v153, v151, v153
	ds_bpermute_b32 v151, v203, v199 offset:28
	ds_bpermute_b32 v167, v203, v200 offset:32
	s_waitcnt lgkmcnt(2)
	v_sub_f32_e32 v157, v157, v159
	ds_bpermute_b32 v159, v203, v199 offset:32
	v_mul_f32_e32 v157, v156, v157
	s_waitcnt lgkmcnt(2)
	v_mul_f32_e32 v157, v157, v151
	s_waitcnt lgkmcnt(1)
	v_sub_f32_e32 v151, v155, v167
	ds_bpermute_b32 v155, v203, v200 offset:36
	v_mul_f32_e32 v151, v158, v151
	s_waitcnt lgkmcnt(1)
	v_mul_f32_e32 v159, v151, v159
	ds_bpermute_b32 v151, v203, v199 offset:36
	ds_bpermute_b32 v167, v203, v200 offset:40
	v_pk_add_f32 v[66:67], v[66:67], v[136:137]
	ds_bpermute_b32 v136, v203, v200 offset:44
	ds_bpermute_b32 v207, v203, v199 offset:40
	;; [unrolled: 1-line block ×3, first 2 shown]
	s_waitcnt lgkmcnt(5)
	v_sub_f32_e32 v155, v163, v155
	v_mul_f32_e32 v155, v162, v155
	s_waitcnt lgkmcnt(4)
	v_mul_f32_e32 v163, v155, v151
	s_waitcnt lgkmcnt(3)
	v_sub_f32_e32 v151, v165, v167
	v_pk_add_f32 v[66:67], v[66:67], v[138:139]
	s_waitcnt lgkmcnt(2)
	v_sub_f32_e32 v136, v169, v136
	ds_bpermute_b32 v138, v203, v200 offset:48
	v_mul_f32_e32 v151, v166, v151
	v_mul_f32_e32 v136, v150, v136
	s_waitcnt lgkmcnt(2)
	v_mul_f32_e32 v167, v151, v207
	s_waitcnt lgkmcnt(1)
	v_mul_f32_e32 v151, v136, v137
	ds_bpermute_b32 v136, v203, v199 offset:48
	ds_bpermute_b32 v137, v203, v200 offset:52
	ds_bpermute_b32 v139, v203, v199 offset:52
	s_waitcnt lgkmcnt(3)
	v_sub_f32_e32 v138, v161, v138
	v_mul_f32_e32 v138, v154, v138
	s_waitcnt lgkmcnt(2)
	v_mul_f32_e32 v155, v138, v136
	s_waitcnt lgkmcnt(1)
	v_sub_f32_e32 v136, v173, v137
	ds_bpermute_b32 v137, v203, v200 offset:56
	v_mul_f32_e32 v136, v160, v136
	s_waitcnt lgkmcnt(1)
	v_mul_f32_e32 v161, v136, v139
	ds_bpermute_b32 v136, v203, v199 offset:56
	ds_bpermute_b32 v138, v203, v200 offset:60
	ds_bpermute_b32 v139, v203, v199 offset:60
	s_waitcnt lgkmcnt(3)
	v_sub_f32_e32 v137, v171, v137
	v_mul_f32_e32 v137, v164, v137
	s_waitcnt lgkmcnt(2)
	v_mul_f32_e32 v165, v137, v136
	s_waitcnt lgkmcnt(1)
	v_sub_f32_e32 v136, v177, v138
	ds_bpermute_b32 v137, v203, v200 offset:64
	;; [unrolled: 14-line block ×4, first 2 shown]
	v_mul_f32_e32 v136, v178, v136
	s_waitcnt lgkmcnt(1)
	v_mul_f32_e32 v179, v136, v139
	ds_bpermute_b32 v136, v203, v199 offset:80
	ds_bpermute_b32 v138, v203, v200 offset:84
	;; [unrolled: 1-line block ×3, first 2 shown]
	s_waitcnt lgkmcnt(3)
	v_sub_f32_e32 v137, v183, v137
	v_mul_f32_e32 v137, v182, v137
	s_waitcnt lgkmcnt(2)
	v_mul_f32_e32 v183, v137, v136
	s_waitcnt lgkmcnt(1)
	v_sub_f32_e32 v136, v193, v138
	v_mul_f32_e32 v136, v186, v136
	s_waitcnt lgkmcnt(0)
	v_mul_f32_e32 v187, v136, v139
	ds_bpermute_b32 v136, v203, v200 offset:88
	ds_bpermute_b32 v137, v203, v199 offset:88
	ds_bpermute_b32 v138, v203, v200 offset:92
	ds_bpermute_b32 v139, v203, v199 offset:92
	v_pk_add_f32 v[66:67], v[66:67], v[140:141]
	s_waitcnt lgkmcnt(3)
	v_sub_f32_e32 v136, v185, v136
	v_mul_f32_e32 v136, v176, v136
	s_waitcnt lgkmcnt(2)
	v_mul_f32_e32 v177, v136, v137
	s_waitcnt lgkmcnt(1)
	v_sub_f32_e32 v136, v191, v138
	ds_bpermute_b32 v137, v203, v200 offset:96
	v_mul_f32_e32 v136, v180, v136
	s_waitcnt lgkmcnt(1)
	v_mul_f32_e32 v181, v136, v139
	ds_bpermute_b32 v136, v203, v199 offset:96
	ds_bpermute_b32 v138, v203, v200 offset:100
	v_pk_add_f32 v[66:67], v[66:67], v[142:143]
	ds_bpermute_b32 v139, v203, v199 offset:100
	v_pk_add_f32 v[66:67], v[66:67], v[146:147]
	s_waitcnt lgkmcnt(3)
	v_sub_f32_e32 v137, v189, v137
	v_pk_add_f32 v[66:67], v[66:67], v[148:149]
	v_mul_f32_e32 v137, v184, v137
	v_pk_add_f32 v[66:67], v[66:67], v[152:153]
	s_waitcnt lgkmcnt(2)
	v_mul_f32_e32 v185, v137, v136
	s_waitcnt lgkmcnt(1)
	v_sub_f32_e32 v136, v197, v138
	ds_bpermute_b32 v137, v203, v200 offset:104
	v_pk_add_f32 v[66:67], v[66:67], v[156:157]
	v_mul_f32_e32 v136, v188, v136
	v_pk_add_f32 v[66:67], v[66:67], v[158:159]
	s_waitcnt lgkmcnt(1)
	v_mul_f32_e32 v189, v136, v139
	ds_bpermute_b32 v136, v203, v199 offset:104
	ds_bpermute_b32 v138, v203, v200 offset:108
	v_pk_add_f32 v[66:67], v[66:67], v[162:163]
	ds_bpermute_b32 v139, v203, v199 offset:108
	v_pk_add_f32 v[66:67], v[66:67], v[166:167]
	s_waitcnt lgkmcnt(3)
	v_sub_f32_e32 v137, v195, v137
	v_pk_add_f32 v[66:67], v[66:67], v[150:151]
	v_mul_f32_e32 v137, v190, v137
	v_pk_add_f32 v[66:67], v[66:67], v[154:155]
	s_waitcnt lgkmcnt(2)
	v_mul_f32_e32 v191, v137, v136
	v_pk_add_f32 v[66:67], v[66:67], v[160:161]
	s_waitcnt lgkmcnt(1)
	v_sub_f32_e32 v136, v205, v138
	ds_bpermute_b32 v137, v203, v200 offset:112
	v_pk_add_f32 v[66:67], v[66:67], v[164:165]
	v_mul_f32_e32 v136, v192, v136
	v_pk_add_f32 v[66:67], v[66:67], v[168:169]
	s_waitcnt lgkmcnt(1)
	v_mul_f32_e32 v193, v136, v139
	ds_bpermute_b32 v136, v203, v199 offset:112
	ds_bpermute_b32 v138, v203, v200 offset:116
	v_pk_add_f32 v[66:67], v[66:67], v[170:171]
	ds_bpermute_b32 v139, v203, v199 offset:116
	v_pk_add_f32 v[66:67], v[66:67], v[172:173]
	s_waitcnt lgkmcnt(3)
	v_sub_f32_e32 v137, v201, v137
	v_pk_add_f32 v[66:67], v[66:67], v[174:175]
	v_mul_f32_e32 v137, v194, v137
	v_pk_add_f32 v[66:67], v[66:67], v[178:179]
	s_waitcnt lgkmcnt(2)
	v_mul_f32_e32 v195, v137, v136
	v_pk_add_f32 v[66:67], v[66:67], v[182:183]
	s_waitcnt lgkmcnt(1)
	v_sub_f32_e32 v136, v206, v138
	v_pk_add_f32 v[66:67], v[66:67], v[186:187]
	v_mul_f32_e32 v136, v196, v136
	s_waitcnt lgkmcnt(0)
	v_mul_f32_e32 v197, v136, v139
	v_pk_add_f32 v[66:67], v[66:67], v[176:177]
	ds_bpermute_b32 v136, v203, v200 offset:120
	v_pk_add_f32 v[66:67], v[66:67], v[180:181]
	ds_bpermute_b32 v137, v203, v199 offset:120
	;; [unrolled: 2-line block ×3, first 2 shown]
	v_pk_add_f32 v[66:67], v[66:67], v[188:189]
	s_waitcnt lgkmcnt(2)
	v_sub_f32_e32 v136, v204, v136
	v_pk_add_f32 v[66:67], v[66:67], v[190:191]
	v_mul_f32_e32 v136, v198, v136
	v_pk_add_f32 v[66:67], v[66:67], v[192:193]
	s_waitcnt lgkmcnt(1)
	v_mul_f32_e32 v199, v136, v137
	v_pk_add_f32 v[66:67], v[66:67], v[194:195]
	ds_bpermute_b32 v141, v203, v200 offset:124
	v_pk_add_f32 v[66:67], v[66:67], v[196:197]
	s_nop 0
	v_pk_add_f32 v[138:139], v[66:67], v[198:199]
.LBB107_4:                              ;   in Loop: Header=BB107_5 Depth=1
	s_waitcnt lgkmcnt(0)
	v_sub_f32_e32 v0, v0, v141
	s_add_u32 s34, s34, s24
	v_mul_f32_e32 v0, v145, v0
	s_addc_u32 s35, s35, 0
	v_mov_b64_e32 v[136:137], s[12:13]
	v_mul_f32_e32 v67, v0, v140
	v_mov_b32_e32 v66, v145
	s_add_u32 s28, s28, s24
	v_cmp_lt_i64_e32 vcc, s[34:35], v[136:137]
	v_pk_add_f32 v[66:67], v[138:139], v[66:67]
	v_lshl_add_u64 v[6:7], v[6:7], 0, s[30:31]
	v_lshl_add_u64 v[8:9], v[8:9], 0, s[30:31]
	;; [unrolled: 1-line block ×65, first 2 shown]
	s_addc_u32 s29, s29, 0
	s_cbranch_vccz .LBB107_145
.LBB107_5:                              ; =>This Inner Loop Header: Depth=1
	s_add_u32 s36, s10, s28
	s_addc_u32 s37, 0, s29
	v_mov_b64_e32 v[136:137], s[12:13]
	v_cmp_ge_i64_e32 vcc, s[36:37], v[136:137]
	v_lshl_add_u64 v[136:137], s[10:11], 0, v[2:3]
	s_cbranch_vccz .LBB107_75
; %bb.6:                                ;   in Loop: Header=BB107_5 Depth=1
	s_load_dword s9, s[26:27], 0xc
	v_mov_b32_e32 v141, 0
	v_mov_b32_e32 v201, 0
	;; [unrolled: 1-line block ×3, first 2 shown]
	s_waitcnt lgkmcnt(0)
	s_and_b32 s9, s9, 0xffff
	v_mad_u32_u24 v0, v202, s9, v144
	v_and_b32_e32 v0, 63, v0
	v_cmp_gt_u32_e32 vcc, 32, v0
	s_and_saveexec_b64 s[36:37], vcc
	s_cbranch_execz .LBB107_10
; %bb.7:                                ;   in Loop: Header=BB107_5 Depth=1
	v_lshl_add_u64 v[138:139], v[136:137], 0, v[0:1]
	v_cmp_gt_i64_e32 vcc, s[12:13], v[138:139]
	v_mov_b32_e32 v204, 0
	v_mov_b32_e32 v201, 0
	s_and_saveexec_b64 s[38:39], vcc
	s_cbranch_execz .LBB107_9
; %bb.8:                                ;   in Loop: Header=BB107_5 Depth=1
	v_lshlrev_b64 v[138:139], 2, v[138:139]
	v_lshl_add_u64 v[142:143], s[22:23], 0, v[138:139]
	v_lshl_add_u64 v[138:139], s[20:21], 0, v[138:139]
	global_load_dword v204, v[138:139], off
	global_load_dword v201, v[142:143], off
.LBB107_9:                              ;   in Loop: Header=BB107_5 Depth=1
	s_or_b64 exec, exec, s[38:39]
.LBB107_10:                             ;   in Loop: Header=BB107_5 Depth=1
	s_or_b64 exec, exec, s[36:37]
	v_cmp_gt_i64_e32 vcc, s[12:13], v[136:137]
	s_and_b64 s[38:39], s[6:7], vcc
	v_mov_b32_e32 v138, 0
	s_and_saveexec_b64 s[36:37], s[38:39]
	s_cbranch_execz .LBB107_12
; %bb.11:                               ;   in Loop: Header=BB107_5 Depth=1
	v_lshl_add_u64 v[138:139], v[132:133], 0, v[4:5]
	v_lshl_add_u64 v[140:141], v[134:135], 0, v[4:5]
	global_load_ushort v0, v[140:141], off
	s_nop 0
	global_load_ushort v138, v[138:139], off
	s_waitcnt vmcnt(1)
	v_lshlrev_b32_e32 v141, 16, v0
	s_waitcnt vmcnt(0)
	v_lshlrev_b32_e32 v138, 16, v138
.LBB107_12:                             ;   in Loop: Header=BB107_5 Depth=1
	s_or_b64 exec, exec, s[36:37]
	v_lshl_add_u64 v[142:143], v[136:137], 0, 1
	v_cmp_gt_i64_e32 vcc, s[12:13], v[142:143]
	s_and_b64 s[38:39], s[6:7], vcc
	v_mov_b32_e32 v143, 0
	v_mov_b32_e32 v147, 0
	v_mov_b32_e32 v140, 0
	s_and_saveexec_b64 s[36:37], s[38:39]
	s_cbranch_execz .LBB107_14
; %bb.13:                               ;   in Loop: Header=BB107_5 Depth=1
	v_lshl_add_u64 v[148:149], v[130:131], 0, v[4:5]
	v_lshl_add_u64 v[146:147], v[128:129], 0, v[4:5]
	global_load_ushort v0, v[148:149], off
	global_load_ushort v139, v[146:147], off
	s_waitcnt vmcnt(1)
	v_lshlrev_b32_e32 v147, 16, v0
	s_waitcnt vmcnt(0)
	v_lshlrev_b32_e32 v140, 16, v139
.LBB107_14:                             ;   in Loop: Header=BB107_5 Depth=1
	s_or_b64 exec, exec, s[36:37]
	v_lshl_add_u64 v[148:149], v[136:137], 0, 2
	v_cmp_gt_i64_e32 vcc, s[12:13], v[148:149]
	s_and_b64 s[38:39], s[6:7], vcc
	v_mov_b32_e32 v142, 0
	s_and_saveexec_b64 s[36:37], s[38:39]
	s_cbranch_execz .LBB107_16
; %bb.15:                               ;   in Loop: Header=BB107_5 Depth=1
	v_lshl_add_u64 v[148:149], v[126:127], 0, v[4:5]
	v_lshl_add_u64 v[142:143], v[124:125], 0, v[4:5]
	global_load_ushort v0, v[148:149], off
	global_load_ushort v139, v[142:143], off
	s_waitcnt vmcnt(1)
	v_lshlrev_b32_e32 v143, 16, v0
	s_waitcnt vmcnt(0)
	v_lshlrev_b32_e32 v142, 16, v139
.LBB107_16:                             ;   in Loop: Header=BB107_5 Depth=1
	s_or_b64 exec, exec, s[36:37]
	v_lshl_add_u64 v[148:149], v[136:137], 0, 3
	v_cmp_gt_i64_e32 vcc, s[12:13], v[148:149]
	s_and_b64 s[38:39], s[6:7], vcc
	v_mov_b32_e32 v149, 0
	v_mov_b32_e32 v151, 0
	v_mov_b32_e32 v146, 0
	s_and_saveexec_b64 s[36:37], s[38:39]
	s_cbranch_execz .LBB107_18
; %bb.17:                               ;   in Loop: Header=BB107_5 Depth=1
	v_lshl_add_u64 v[152:153], v[122:123], 0, v[4:5]
	v_lshl_add_u64 v[150:151], v[120:121], 0, v[4:5]
	global_load_ushort v0, v[152:153], off
	global_load_ushort v139, v[150:151], off
	s_waitcnt vmcnt(1)
	v_lshlrev_b32_e32 v151, 16, v0
	s_waitcnt vmcnt(0)
	v_lshlrev_b32_e32 v146, 16, v139
.LBB107_18:                             ;   in Loop: Header=BB107_5 Depth=1
	s_or_b64 exec, exec, s[36:37]
	v_lshl_add_u64 v[152:153], v[136:137], 0, 4
	v_cmp_gt_i64_e32 vcc, s[12:13], v[152:153]
	s_and_b64 s[38:39], s[6:7], vcc
	v_mov_b32_e32 v148, 0
	s_and_saveexec_b64 s[36:37], s[38:39]
	s_cbranch_execz .LBB107_20
; %bb.19:                               ;   in Loop: Header=BB107_5 Depth=1
	v_lshl_add_u64 v[152:153], v[118:119], 0, v[4:5]
	v_lshl_add_u64 v[148:149], v[116:117], 0, v[4:5]
	global_load_ushort v0, v[152:153], off
	global_load_ushort v139, v[148:149], off
	s_waitcnt vmcnt(1)
	v_lshlrev_b32_e32 v149, 16, v0
	s_waitcnt vmcnt(0)
	v_lshlrev_b32_e32 v148, 16, v139
.LBB107_20:                             ;   in Loop: Header=BB107_5 Depth=1
	;; [unrolled: 36-line block ×15, first 2 shown]
	s_or_b64 exec, exec, s[36:37]
	v_lshl_add_u64 v[208:209], v[136:137], 0, 31
	v_cmp_gt_i64_e32 vcc, s[12:13], v[208:209]
	s_and_b64 s[38:39], s[6:7], vcc
	v_mov_b32_e32 v0, 0
	v_mov_b32_e32 v145, 0
	s_and_saveexec_b64 s[36:37], s[38:39]
	s_cbranch_execz .LBB107_74
; %bb.73:                               ;   in Loop: Header=BB107_5 Depth=1
	v_lshl_add_u64 v[210:211], v[8:9], 0, v[4:5]
	v_lshl_add_u64 v[208:209], v[6:7], 0, v[4:5]
	global_load_ushort v0, v[210:211], off
	global_load_ushort v139, v[208:209], off
	s_waitcnt vmcnt(1)
	v_lshlrev_b32_e32 v0, 16, v0
	s_waitcnt vmcnt(0)
	v_lshlrev_b32_e32 v145, 16, v139
.LBB107_74:                             ;   in Loop: Header=BB107_5 Depth=1
	s_or_b64 exec, exec, s[36:37]
	s_waitcnt vmcnt(1)
	ds_bpermute_b32 v139, v203, v204
	ds_bpermute_b32 v209, v203, v204 offset:4
	s_waitcnt vmcnt(0)
	ds_bpermute_b32 v169, v203, v201
	ds_bpermute_b32 v210, v203, v204 offset:8
	ds_bpermute_b32 v208, v203, v201 offset:4
	s_waitcnt lgkmcnt(4)
	v_sub_f32_e32 v139, v141, v139
	s_waitcnt lgkmcnt(3)
	v_sub_f32_e32 v141, v147, v209
	ds_bpermute_b32 v147, v203, v201 offset:8
	v_mul_f32_e32 v139, v138, v139
	s_waitcnt lgkmcnt(3)
	v_mul_f32_e32 v139, v139, v169
	s_waitcnt lgkmcnt(2)
	v_sub_f32_e32 v143, v143, v210
	ds_bpermute_b32 v169, v203, v204 offset:12
	v_mul_f32_e32 v143, v142, v143
	v_mul_f32_e32 v141, v140, v141
	s_waitcnt lgkmcnt(1)
	v_mul_f32_e32 v143, v143, v147
	ds_bpermute_b32 v147, v203, v201 offset:12
	v_mul_f32_e32 v141, v141, v208
	ds_bpermute_b32 v208, v203, v204 offset:16
	s_waitcnt lgkmcnt(2)
	v_sub_f32_e32 v151, v151, v169
	ds_bpermute_b32 v169, v203, v201 offset:16
	v_mul_f32_e32 v151, v146, v151
	s_waitcnt lgkmcnt(2)
	v_mul_f32_e32 v147, v151, v147
	ds_bpermute_b32 v151, v203, v204 offset:20
	s_waitcnt lgkmcnt(2)
	v_sub_f32_e32 v149, v149, v208
	v_mul_f32_e32 v149, v148, v149
	s_waitcnt lgkmcnt(1)
	v_mul_f32_e32 v149, v149, v169
	ds_bpermute_b32 v169, v203, v201 offset:20
	ds_bpermute_b32 v208, v203, v204 offset:24
	s_waitcnt lgkmcnt(2)
	v_sub_f32_e32 v151, v155, v151
	ds_bpermute_b32 v155, v203, v201 offset:24
	v_mul_f32_e32 v151, v150, v151
	s_waitcnt lgkmcnt(2)
	v_mul_f32_e32 v151, v151, v169
	s_waitcnt lgkmcnt(1)
	v_sub_f32_e32 v153, v153, v208
	ds_bpermute_b32 v169, v203, v204 offset:28
	v_mul_f32_e32 v153, v152, v153
	s_waitcnt lgkmcnt(1)
	v_mul_f32_e32 v153, v153, v155
	ds_bpermute_b32 v155, v203, v201 offset:28
	ds_bpermute_b32 v208, v203, v204 offset:32
	s_waitcnt lgkmcnt(2)
	v_sub_f32_e32 v157, v157, v169
	ds_bpermute_b32 v169, v203, v201 offset:32
	v_mul_f32_e32 v157, v156, v157
	s_waitcnt lgkmcnt(2)
	v_mul_f32_e32 v157, v157, v155
	s_waitcnt lgkmcnt(1)
	v_sub_f32_e32 v155, v159, v208
	ds_bpermute_b32 v208, v203, v204 offset:36
	v_mul_f32_e32 v155, v158, v155
	v_pk_add_f32 v[138:139], v[66:67], v[138:139]
	s_waitcnt lgkmcnt(1)
	v_mul_f32_e32 v159, v155, v169
	ds_bpermute_b32 v155, v203, v201 offset:36
	ds_bpermute_b32 v169, v203, v204 offset:40
	v_pk_add_f32 v[138:139], v[138:139], v[140:141]
	ds_bpermute_b32 v140, v203, v204 offset:44
	s_waitcnt lgkmcnt(3)
	v_sub_f32_e32 v165, v165, v208
	ds_bpermute_b32 v208, v203, v201 offset:40
	ds_bpermute_b32 v141, v203, v201 offset:44
	v_mul_f32_e32 v165, v164, v165
	s_waitcnt lgkmcnt(4)
	v_mul_f32_e32 v165, v165, v155
	s_waitcnt lgkmcnt(3)
	v_sub_f32_e32 v155, v163, v169
	v_pk_add_f32 v[138:139], v[138:139], v[142:143]
	s_waitcnt lgkmcnt(2)
	v_sub_f32_e32 v140, v167, v140
	ds_bpermute_b32 v142, v203, v204 offset:48
	v_mul_f32_e32 v155, v168, v155
	v_mul_f32_e32 v140, v154, v140
	s_waitcnt lgkmcnt(2)
	v_mul_f32_e32 v169, v155, v208
	s_waitcnt lgkmcnt(1)
	v_mul_f32_e32 v155, v140, v141
	ds_bpermute_b32 v140, v203, v201 offset:48
	ds_bpermute_b32 v141, v203, v204 offset:52
	ds_bpermute_b32 v143, v203, v201 offset:52
	s_waitcnt lgkmcnt(3)
	v_sub_f32_e32 v142, v161, v142
	v_mul_f32_e32 v142, v160, v142
	s_waitcnt lgkmcnt(2)
	v_mul_f32_e32 v161, v142, v140
	s_waitcnt lgkmcnt(1)
	v_sub_f32_e32 v140, v173, v141
	ds_bpermute_b32 v141, v203, v204 offset:56
	v_mul_f32_e32 v140, v162, v140
	s_waitcnt lgkmcnt(1)
	v_mul_f32_e32 v163, v140, v143
	ds_bpermute_b32 v140, v203, v201 offset:56
	ds_bpermute_b32 v142, v203, v204 offset:60
	ds_bpermute_b32 v143, v203, v201 offset:60
	s_waitcnt lgkmcnt(3)
	v_sub_f32_e32 v141, v171, v141
	v_mul_f32_e32 v141, v166, v141
	s_waitcnt lgkmcnt(2)
	v_mul_f32_e32 v167, v141, v140
	s_waitcnt lgkmcnt(1)
	v_sub_f32_e32 v140, v177, v142
	ds_bpermute_b32 v141, v203, v204 offset:64
	;; [unrolled: 14-line block ×4, first 2 shown]
	v_mul_f32_e32 v140, v180, v140
	s_waitcnt lgkmcnt(1)
	v_mul_f32_e32 v181, v140, v143
	ds_bpermute_b32 v140, v203, v201 offset:80
	ds_bpermute_b32 v142, v203, v204 offset:84
	;; [unrolled: 1-line block ×3, first 2 shown]
	s_waitcnt lgkmcnt(3)
	v_sub_f32_e32 v141, v183, v141
	v_mul_f32_e32 v141, v182, v141
	s_waitcnt lgkmcnt(2)
	v_mul_f32_e32 v183, v141, v140
	s_waitcnt lgkmcnt(1)
	v_sub_f32_e32 v140, v189, v142
	v_mul_f32_e32 v140, v188, v140
	s_waitcnt lgkmcnt(0)
	v_mul_f32_e32 v189, v140, v143
	ds_bpermute_b32 v140, v203, v204 offset:88
	ds_bpermute_b32 v141, v203, v201 offset:88
	;; [unrolled: 1-line block ×4, first 2 shown]
	v_pk_add_f32 v[138:139], v[138:139], v[146:147]
	s_waitcnt lgkmcnt(3)
	v_sub_f32_e32 v140, v185, v140
	v_mul_f32_e32 v140, v178, v140
	s_waitcnt lgkmcnt(2)
	v_mul_f32_e32 v179, v140, v141
	s_waitcnt lgkmcnt(1)
	v_sub_f32_e32 v140, v193, v142
	ds_bpermute_b32 v141, v203, v204 offset:96
	v_mul_f32_e32 v140, v184, v140
	s_waitcnt lgkmcnt(1)
	v_mul_f32_e32 v185, v140, v143
	ds_bpermute_b32 v140, v203, v201 offset:96
	ds_bpermute_b32 v142, v203, v204 offset:100
	ds_bpermute_b32 v143, v203, v201 offset:100
	s_waitcnt lgkmcnt(3)
	v_sub_f32_e32 v141, v191, v141
	v_pk_add_f32 v[138:139], v[138:139], v[148:149]
	v_mul_f32_e32 v141, v186, v141
	v_pk_add_f32 v[138:139], v[138:139], v[150:151]
	s_waitcnt lgkmcnt(2)
	v_mul_f32_e32 v187, v141, v140
	s_waitcnt lgkmcnt(1)
	v_sub_f32_e32 v140, v197, v142
	ds_bpermute_b32 v141, v203, v204 offset:104
	v_pk_add_f32 v[138:139], v[138:139], v[152:153]
	v_mul_f32_e32 v140, v190, v140
	v_pk_add_f32 v[138:139], v[138:139], v[156:157]
	s_waitcnt lgkmcnt(1)
	v_mul_f32_e32 v191, v140, v143
	ds_bpermute_b32 v140, v203, v201 offset:104
	ds_bpermute_b32 v142, v203, v204 offset:108
	v_pk_add_f32 v[138:139], v[138:139], v[158:159]
	ds_bpermute_b32 v143, v203, v201 offset:108
	v_pk_add_f32 v[138:139], v[138:139], v[164:165]
	s_waitcnt lgkmcnt(3)
	v_sub_f32_e32 v141, v195, v141
	v_pk_add_f32 v[138:139], v[138:139], v[168:169]
	v_mul_f32_e32 v141, v192, v141
	v_pk_add_f32 v[138:139], v[138:139], v[154:155]
	s_waitcnt lgkmcnt(2)
	v_mul_f32_e32 v193, v141, v140
	v_pk_add_f32 v[138:139], v[138:139], v[160:161]
	s_waitcnt lgkmcnt(1)
	v_sub_f32_e32 v140, v206, v142
	ds_bpermute_b32 v141, v203, v204 offset:112
	v_pk_add_f32 v[138:139], v[138:139], v[162:163]
	v_mul_f32_e32 v140, v194, v140
	v_pk_add_f32 v[138:139], v[138:139], v[166:167]
	s_waitcnt lgkmcnt(1)
	v_mul_f32_e32 v195, v140, v143
	ds_bpermute_b32 v140, v203, v201 offset:112
	ds_bpermute_b32 v142, v203, v204 offset:116
	v_pk_add_f32 v[138:139], v[138:139], v[170:171]
	ds_bpermute_b32 v143, v203, v201 offset:116
	v_pk_add_f32 v[138:139], v[138:139], v[172:173]
	s_waitcnt lgkmcnt(3)
	v_sub_f32_e32 v141, v199, v141
	v_pk_add_f32 v[138:139], v[138:139], v[174:175]
	v_mul_f32_e32 v141, v196, v141
	v_pk_add_f32 v[138:139], v[138:139], v[176:177]
	s_waitcnt lgkmcnt(2)
	v_mul_f32_e32 v197, v141, v140
	v_pk_add_f32 v[138:139], v[138:139], v[180:181]
	s_waitcnt lgkmcnt(1)
	v_sub_f32_e32 v140, v207, v142
	v_pk_add_f32 v[138:139], v[138:139], v[182:183]
	v_mul_f32_e32 v140, v198, v140
	v_pk_add_f32 v[138:139], v[138:139], v[188:189]
	s_waitcnt lgkmcnt(0)
	v_mul_f32_e32 v199, v140, v143
	ds_bpermute_b32 v140, v203, v204 offset:120
	v_pk_add_f32 v[138:139], v[138:139], v[178:179]
	ds_bpermute_b32 v142, v203, v201 offset:120
	v_pk_add_f32 v[138:139], v[138:139], v[184:185]
	;; [unrolled: 2-line block ×3, first 2 shown]
	s_waitcnt lgkmcnt(2)
	v_sub_f32_e32 v143, v205, v140
	v_pk_add_f32 v[138:139], v[138:139], v[190:191]
	ds_bpermute_b32 v140, v203, v201 offset:124
	v_pk_add_f32 v[138:139], v[138:139], v[192:193]
	v_mul_f32_e32 v143, v200, v143
	v_pk_add_f32 v[138:139], v[138:139], v[194:195]
	s_waitcnt lgkmcnt(2)
	v_mul_f32_e32 v201, v143, v142
	v_pk_add_f32 v[138:139], v[138:139], v[196:197]
	s_nop 0
	v_pk_add_f32 v[138:139], v[138:139], v[198:199]
	s_nop 0
	v_pk_add_f32 v[138:139], v[138:139], v[200:201]
	s_branch .LBB107_4
.LBB107_75:                             ;   in Loop: Header=BB107_5 Depth=1
                                        ; implicit-def: $vgpr145
                                        ; implicit-def: $vgpr0
                                        ; implicit-def: $vgpr138_vgpr139
                                        ; implicit-def: $vgpr140
                                        ; implicit-def: $vgpr141
	s_cbranch_execz .LBB107_4
; %bb.76:                               ;   in Loop: Header=BB107_5 Depth=1
	s_load_dword s9, s[26:27], 0x0
	v_mov_b32_e32 v139, 0
	v_mov_b32_e32 v199, 0
	;; [unrolled: 1-line block ×3, first 2 shown]
	s_waitcnt lgkmcnt(0)
	s_cmp_lt_u32 s2, s9
	s_cselect_b32 s9, 12, 18
	s_add_u32 s36, s26, s9
	s_addc_u32 s37, s27, 0
	global_load_ushort v0, v1, s[36:37]
	s_waitcnt vmcnt(0)
	v_mad_u32_u24 v0, v202, v0, v144
	v_and_b32_e32 v0, 63, v0
	v_cmp_gt_u32_e32 vcc, 32, v0
	s_and_saveexec_b64 s[36:37], vcc
	s_cbranch_execz .LBB107_80
; %bb.77:                               ;   in Loop: Header=BB107_5 Depth=1
	v_lshl_add_u64 v[136:137], v[136:137], 0, v[0:1]
	v_cmp_gt_i64_e32 vcc, s[12:13], v[136:137]
	v_mov_b32_e32 v200, 0
	v_mov_b32_e32 v199, 0
	s_and_saveexec_b64 s[38:39], vcc
	s_cbranch_execz .LBB107_79
; %bb.78:                               ;   in Loop: Header=BB107_5 Depth=1
	v_lshlrev_b64 v[136:137], 2, v[136:137]
	v_lshl_add_u64 v[140:141], s[22:23], 0, v[136:137]
	v_lshl_add_u64 v[136:137], s[20:21], 0, v[136:137]
	global_load_dword v200, v[136:137], off
	global_load_dword v199, v[140:141], off
.LBB107_79:                             ;   in Loop: Header=BB107_5 Depth=1
	s_or_b64 exec, exec, s[38:39]
.LBB107_80:                             ;   in Loop: Header=BB107_5 Depth=1
	s_or_b64 exec, exec, s[36:37]
	v_mov_b32_e32 v136, 0
	s_and_saveexec_b64 s[36:37], s[6:7]
	s_cbranch_execz .LBB107_82
; %bb.81:                               ;   in Loop: Header=BB107_5 Depth=1
	v_lshl_add_u64 v[136:137], v[132:133], 0, v[4:5]
	v_lshl_add_u64 v[138:139], v[134:135], 0, v[4:5]
	global_load_ushort v0, v[138:139], off
	s_nop 0
	global_load_ushort v136, v[136:137], off
	s_waitcnt vmcnt(1)
	v_lshlrev_b32_e32 v139, 16, v0
	s_waitcnt vmcnt(0)
	v_lshlrev_b32_e32 v136, 16, v136
.LBB107_82:                             ;   in Loop: Header=BB107_5 Depth=1
	s_or_b64 exec, exec, s[36:37]
	v_mov_b32_e32 v141, 0
	v_mov_b32_e32 v143, 0
	v_mov_b32_e32 v138, 0
	s_and_saveexec_b64 s[36:37], s[6:7]
	s_cbranch_execz .LBB107_84
; %bb.83:                               ;   in Loop: Header=BB107_5 Depth=1
	v_lshl_add_u64 v[146:147], v[130:131], 0, v[4:5]
	v_lshl_add_u64 v[142:143], v[128:129], 0, v[4:5]
	global_load_ushort v0, v[146:147], off
	global_load_ushort v137, v[142:143], off
	s_waitcnt vmcnt(1)
	v_lshlrev_b32_e32 v143, 16, v0
	s_waitcnt vmcnt(0)
	v_lshlrev_b32_e32 v138, 16, v137
.LBB107_84:                             ;   in Loop: Header=BB107_5 Depth=1
	s_or_b64 exec, exec, s[36:37]
	v_mov_b32_e32 v140, 0
	s_and_saveexec_b64 s[36:37], s[6:7]
	s_cbranch_execz .LBB107_86
; %bb.85:                               ;   in Loop: Header=BB107_5 Depth=1
	v_lshl_add_u64 v[146:147], v[126:127], 0, v[4:5]
	v_lshl_add_u64 v[140:141], v[124:125], 0, v[4:5]
	global_load_ushort v0, v[146:147], off
	global_load_ushort v137, v[140:141], off
	s_waitcnt vmcnt(1)
	v_lshlrev_b32_e32 v141, 16, v0
	s_waitcnt vmcnt(0)
	v_lshlrev_b32_e32 v140, 16, v137
.LBB107_86:                             ;   in Loop: Header=BB107_5 Depth=1
	s_or_b64 exec, exec, s[36:37]
	v_mov_b32_e32 v147, 0
	v_mov_b32_e32 v149, 0
	v_mov_b32_e32 v142, 0
	s_and_saveexec_b64 s[36:37], s[6:7]
	s_cbranch_execz .LBB107_88
; %bb.87:                               ;   in Loop: Header=BB107_5 Depth=1
	v_lshl_add_u64 v[150:151], v[122:123], 0, v[4:5]
	v_lshl_add_u64 v[148:149], v[120:121], 0, v[4:5]
	global_load_ushort v0, v[150:151], off
	global_load_ushort v137, v[148:149], off
	s_waitcnt vmcnt(1)
	v_lshlrev_b32_e32 v149, 16, v0
	s_waitcnt vmcnt(0)
	v_lshlrev_b32_e32 v142, 16, v137
.LBB107_88:                             ;   in Loop: Header=BB107_5 Depth=1
	s_or_b64 exec, exec, s[36:37]
	v_mov_b32_e32 v146, 0
	s_and_saveexec_b64 s[36:37], s[6:7]
	s_cbranch_execz .LBB107_90
; %bb.89:                               ;   in Loop: Header=BB107_5 Depth=1
	v_lshl_add_u64 v[150:151], v[118:119], 0, v[4:5]
	v_lshl_add_u64 v[146:147], v[116:117], 0, v[4:5]
	global_load_ushort v0, v[150:151], off
	global_load_ushort v137, v[146:147], off
	s_waitcnt vmcnt(1)
	v_lshlrev_b32_e32 v147, 16, v0
	s_waitcnt vmcnt(0)
	v_lshlrev_b32_e32 v146, 16, v137
.LBB107_90:                             ;   in Loop: Header=BB107_5 Depth=1
	;; [unrolled: 30-line block ×4, first 2 shown]
	s_or_b64 exec, exec, s[36:37]
	v_mov_b32_e32 v165, 0
	v_mov_b32_e32 v163, 0
	;; [unrolled: 1-line block ×3, first 2 shown]
	s_and_saveexec_b64 s[36:37], s[6:7]
	s_cbranch_execz .LBB107_100
; %bb.99:                               ;   in Loop: Header=BB107_5 Depth=1
	v_lshl_add_u64 v[162:163], v[98:99], 0, v[4:5]
	v_lshl_add_u64 v[160:161], v[96:97], 0, v[4:5]
	global_load_ushort v0, v[162:163], off
	global_load_ushort v137, v[160:161], off
	s_waitcnt vmcnt(1)
	v_lshlrev_b32_e32 v163, 16, v0
	s_waitcnt vmcnt(0)
	v_lshlrev_b32_e32 v162, 16, v137
.LBB107_100:                            ;   in Loop: Header=BB107_5 Depth=1
	s_or_b64 exec, exec, s[36:37]
	v_mov_b32_e32 v166, 0
	s_and_saveexec_b64 s[36:37], s[6:7]
	s_cbranch_execz .LBB107_102
; %bb.101:                              ;   in Loop: Header=BB107_5 Depth=1
	v_lshl_add_u64 v[164:165], v[94:95], 0, v[4:5]
	v_lshl_add_u64 v[160:161], v[92:93], 0, v[4:5]
	global_load_ushort v0, v[164:165], off
	global_load_ushort v137, v[160:161], off
	s_waitcnt vmcnt(1)
	v_lshlrev_b32_e32 v165, 16, v0
	s_waitcnt vmcnt(0)
	v_lshlrev_b32_e32 v166, 16, v137
.LBB107_102:                            ;   in Loop: Header=BB107_5 Depth=1
	s_or_b64 exec, exec, s[36:37]
	v_mov_b32_e32 v161, 0
	v_mov_b32_e32 v169, 0
	v_mov_b32_e32 v150, 0
	s_and_saveexec_b64 s[36:37], s[6:7]
	s_cbranch_execz .LBB107_104
; %bb.103:                              ;   in Loop: Header=BB107_5 Depth=1
	v_lshl_add_u64 v[170:171], v[90:91], 0, v[4:5]
	v_lshl_add_u64 v[168:169], v[88:89], 0, v[4:5]
	global_load_ushort v0, v[170:171], off
	global_load_ushort v137, v[168:169], off
	s_waitcnt vmcnt(1)
	v_lshlrev_b32_e32 v169, 16, v0
	s_waitcnt vmcnt(0)
	v_lshlrev_b32_e32 v150, 16, v137
.LBB107_104:                            ;   in Loop: Header=BB107_5 Depth=1
	s_or_b64 exec, exec, s[36:37]
	v_mov_b32_e32 v154, 0
	s_and_saveexec_b64 s[36:37], s[6:7]
	s_cbranch_execz .LBB107_106
; %bb.105:                              ;   in Loop: Header=BB107_5 Depth=1
	v_lshl_add_u64 v[170:171], v[86:87], 0, v[4:5]
	v_lshl_add_u64 v[160:161], v[84:85], 0, v[4:5]
	global_load_ushort v0, v[170:171], off
	global_load_ushort v137, v[160:161], off
	s_waitcnt vmcnt(1)
	v_lshlrev_b32_e32 v161, 16, v0
	s_waitcnt vmcnt(0)
	v_lshlrev_b32_e32 v154, 16, v137
.LBB107_106:                            ;   in Loop: Header=BB107_5 Depth=1
	s_or_b64 exec, exec, s[36:37]
	v_mov_b32_e32 v171, 0
	v_mov_b32_e32 v173, 0
	v_mov_b32_e32 v160, 0
	s_and_saveexec_b64 s[36:37], s[6:7]
	s_cbranch_execz .LBB107_108
; %bb.107:                              ;   in Loop: Header=BB107_5 Depth=1
	v_lshl_add_u64 v[174:175], v[82:83], 0, v[4:5]
	v_lshl_add_u64 v[172:173], v[80:81], 0, v[4:5]
	global_load_ushort v0, v[174:175], off
	global_load_ushort v137, v[172:173], off
	s_waitcnt vmcnt(1)
	v_lshlrev_b32_e32 v173, 16, v0
	s_waitcnt vmcnt(0)
	v_lshlrev_b32_e32 v160, 16, v137
.LBB107_108:                            ;   in Loop: Header=BB107_5 Depth=1
	;; [unrolled: 30-line block ×10, first 2 shown]
	s_or_b64 exec, exec, s[36:37]
	v_mov_b32_e32 v198, 0
	s_and_saveexec_b64 s[36:37], s[6:7]
	s_cbranch_execz .LBB107_142
; %bb.141:                              ;   in Loop: Header=BB107_5 Depth=1
	v_lshl_add_u64 v[210:211], v[12:13], 0, v[4:5]
	v_lshl_add_u64 v[208:209], v[10:11], 0, v[4:5]
	global_load_ushort v0, v[210:211], off
	global_load_ushort v137, v[208:209], off
	s_waitcnt vmcnt(1)
	v_lshlrev_b32_e32 v204, 16, v0
	s_waitcnt vmcnt(0)
	v_lshlrev_b32_e32 v198, 16, v137
.LBB107_142:                            ;   in Loop: Header=BB107_5 Depth=1
	s_or_b64 exec, exec, s[36:37]
	v_mov_b32_e32 v0, 0
	v_mov_b32_e32 v145, 0
	s_and_saveexec_b64 s[36:37], s[6:7]
	s_cbranch_execz .LBB107_3
; %bb.143:                              ;   in Loop: Header=BB107_5 Depth=1
	v_lshl_add_u64 v[210:211], v[8:9], 0, v[4:5]
	v_lshl_add_u64 v[208:209], v[6:7], 0, v[4:5]
	global_load_ushort v0, v[210:211], off
	global_load_ushort v137, v[208:209], off
	s_waitcnt vmcnt(1)
	v_lshlrev_b32_e32 v0, 16, v0
	s_waitcnt vmcnt(0)
	v_lshlrev_b32_e32 v145, 16, v137
	s_branch .LBB107_3
.LBB107_144:
                                        ; implicit-def: $vgpr66_vgpr67
	s_branch .LBB107_146
.LBB107_145:
	s_cbranch_execnz .LBB107_226
.LBB107_146:
	s_mov_b32 s7, 0
	s_mov_b32 s6, s7
	s_and_b64 vcc, exec, s[4:5]
	v_mov_b64_e32 v[66:67], s[6:7]
	s_cbranch_vccnz .LBB107_226
; %bb.147:
	v_and_b32_e32 v0, 0x3ff, v212
	v_accvgpr_write_b32 a1, v0
	v_add_u32_e32 v74, s3, v0
	v_mov_b32_e32 v75, 0
	v_bfe_u32 v0, v212, 10, 10
	v_lshlrev_b64 v[6:7], 1, v[74:75]
	v_lshlrev_b32_e32 v74, 6, v0
	v_lshlrev_b32_e32 v72, 5, v0
	v_accvgpr_write_b32 a4, v0
	v_lshl_add_u64 v[0:1], s[10:11], 1, v[74:75]
	v_lshl_add_u64 v[42:43], v[0:1], 0, 2
	v_mov_b64_e32 v[10:11], s[16:17]
	v_mad_u64_u32 v[2:3], s[24:25], s14, v42, v[10:11]
	v_mul_lo_u32 v4, s14, v43
	v_mul_lo_u32 v5, s15, v42
	v_add3_u32 v3, v5, v3, v4
	v_accvgpr_write_b32 a9, v3
	v_lshl_add_u64 v[50:51], v[0:1], 0, 4
	v_accvgpr_write_b32 a8, v2
	v_mad_u64_u32 v[2:3], s[26:27], s14, v50, v[10:11]
	v_mul_lo_u32 v43, s14, v51
	v_mul_lo_u32 v51, s15, v50
	v_add3_u32 v3, v51, v3, v43
	v_accvgpr_write_b32 a11, v3
	v_lshl_add_u64 v[52:53], v[0:1], 0, 6
	v_accvgpr_write_b32 a10, v2
	;; [unrolled: 7-line block ×29, first 2 shown]
	v_mad_u64_u32 v[2:3], s[26:27], s14, v8, v[10:11]
	v_mul_lo_u32 v132, s14, v9
	v_mul_lo_u32 v133, s15, v8
	v_add3_u32 v3, v133, v3, v132
	v_accvgpr_write_b32 a67, v3
	v_accvgpr_write_b32 a66, v2
	v_lshl_add_u64 v[2:3], v[0:1], 0, 62
	v_mad_u64_u32 v[0:1], s[26:27], s14, v2, v[10:11]
	v_mul_lo_u32 v134, s14, v3
	v_mul_lo_u32 v135, s15, v2
	v_add3_u32 v1, v135, v1, v134
	v_mov_b32_e32 v73, v75
	v_accvgpr_write_b32 a69, v1
	v_accvgpr_write_b32 a68, v0
	v_lshl_add_u64 v[0:1], v[72:73], 0, s[10:11]
	v_mul_lo_u32 v3, s15, v0
	v_mul_lo_u32 v9, s14, v1
	v_mad_u64_u32 v[10:11], s[26:27], s14, v0, 0
	v_add3_u32 v11, v11, v9, v3
	v_lshlrev_b64 v[10:11], 1, v[10:11]
	v_lshl_add_u64 v[70:71], s[16:17], 0, v[10:11]
	v_accvgpr_write_b32 a70, v70
	v_accvgpr_write_b32 a71, v71
	v_mov_b64_e32 v[70:71], s[18:19]
	v_mad_u64_u32 v[92:93], s[26:27], s14, v56, v[70:71]
	v_add3_u32 v93, v94, v93, v57
	v_mad_u64_u32 v[94:95], s[26:27], s14, v48, v[70:71]
	v_add3_u32 v95, v96, v95, v49
	;; [unrolled: 2-line block ×11, first 2 shown]
	v_mad_u64_u32 v[114:115], s[26:27], s14, v26, v[70:71]
	v_mad_u64_u32 v[86:87], s[26:27], s14, v42, v[70:71]
	v_add3_u32 v115, v116, v115, v27
	v_mad_u64_u32 v[116:117], s[26:27], s14, v24, v[70:71]
	v_add3_u32 v87, v5, v87, v4
	;; [unrolled: 2-line block ×4, first 2 shown]
	v_add3_u32 v119, v120, v119, v23
	v_mad_u64_u32 v[120:121], s[26:27], s14, v20, v[70:71]
	v_accvgpr_write_b32 a75, v5
	v_add3_u32 v121, v122, v121, v21
	v_mad_u64_u32 v[122:123], s[26:27], s14, v18, v[70:71]
	v_accvgpr_write_b32 a74, v4
	v_mad_u64_u32 v[4:5], s[26:27], s14, v52, v[70:71]
	v_add3_u32 v123, v124, v123, v19
	v_mad_u64_u32 v[124:125], s[26:27], s14, v16, v[70:71]
	v_add3_u32 v5, v74, v5, v53
	v_add3_u32 v125, v126, v125, v17
	v_mad_u64_u32 v[126:127], s[26:27], s14, v14, v[70:71]
	v_accvgpr_write_b32 a77, v5
	v_add3_u32 v127, v128, v127, v15
	v_mad_u64_u32 v[128:129], s[26:27], s14, v12, v[70:71]
	v_accvgpr_write_b32 a76, v4
	v_mad_u64_u32 v[4:5], s[26:27], s14, v54, v[70:71]
	v_add3_u32 v129, v130, v129, v13
	v_mad_u64_u32 v[130:131], s[26:27], s14, v8, v[70:71]
	v_add3_u32 v5, v80, v5, v55
	v_add3_u32 v131, v133, v131, v132
	v_mad_u64_u32 v[132:133], s[26:27], s14, v2, v[70:71]
	v_accvgpr_write_b32 a79, v5
	v_add3_u32 v133, v135, v133, v134
	v_lshl_add_u64 v[134:135], s[18:19], 0, v[10:11]
	v_lshl_add_u64 v[10:11], v[0:1], 0, 31
	v_accvgpr_write_b32 a78, v4
	v_mul_lo_u32 v2, s15, v10
	v_mul_lo_u32 v4, s14, v11
	v_mad_u64_u32 v[10:11], s[28:29], s14, v10, 0
	v_add3_u32 v11, v11, v4, v2
	v_lshlrev_b64 v[10:11], 1, v[10:11]
	v_lshl_add_u64 v[136:137], s[16:17], 0, v[10:11]
	v_lshl_add_u64 v[138:139], s[18:19], 0, v[10:11]
	v_lshl_add_u64 v[10:11], v[0:1], 0, 30
	v_mul_lo_u32 v2, s15, v10
	v_mul_lo_u32 v4, s14, v11
	v_mad_u64_u32 v[10:11], s[28:29], s14, v10, 0
	v_add3_u32 v11, v11, v4, v2
	v_lshlrev_b64 v[10:11], 1, v[10:11]
	v_lshl_add_u64 v[140:141], s[16:17], 0, v[10:11]
	v_lshl_add_u64 v[142:143], s[18:19], 0, v[10:11]
	v_lshl_add_u64 v[10:11], v[0:1], 0, 29
	;; [unrolled: 8-line block ×19, first 2 shown]
	v_mul_lo_u32 v2, s15, v10
	v_mul_lo_u32 v4, s14, v11
	v_mad_u64_u32 v[10:11], s[28:29], s14, v10, 0
	v_add3_u32 v11, v11, v4, v2
	v_lshlrev_b64 v[10:11], 1, v[10:11]
	v_accvgpr_write_b32 a0, v212
	v_lshl_add_u64 v[212:213], s[16:17], 0, v[10:11]
	v_lshl_add_u64 v[214:215], s[18:19], 0, v[10:11]
	v_lshl_add_u64 v[10:11], v[0:1], 0, 11
	v_mul_lo_u32 v2, s15, v10
	v_mul_lo_u32 v4, s14, v11
	v_mad_u64_u32 v[10:11], s[28:29], s14, v10, 0
	v_add3_u32 v11, v11, v4, v2
	v_lshlrev_b64 v[10:11], 1, v[10:11]
	v_lshl_add_u64 v[216:217], s[16:17], 0, v[10:11]
	v_lshl_add_u64 v[218:219], s[18:19], 0, v[10:11]
	v_lshl_add_u64 v[10:11], v[0:1], 0, 10
	v_mul_lo_u32 v2, s15, v10
	v_mul_lo_u32 v4, s14, v11
	v_mad_u64_u32 v[10:11], s[28:29], s14, v10, 0
	v_add3_u32 v11, v11, v4, v2
	v_lshlrev_b64 v[10:11], 1, v[10:11]
	v_lshl_add_u64 v[220:221], s[16:17], 0, v[10:11]
	v_lshl_add_u64 v[222:223], s[18:19], 0, v[10:11]
	v_lshl_add_u64 v[10:11], v[0:1], 0, 9
	v_mul_lo_u32 v2, s15, v10
	v_mul_lo_u32 v4, s14, v11
	v_mad_u64_u32 v[10:11], s[28:29], s14, v10, 0
	v_add3_u32 v11, v11, v4, v2
	v_lshlrev_b64 v[10:11], 1, v[10:11]
	v_lshl_add_u64 v[224:225], s[16:17], 0, v[10:11]
	v_lshl_add_u64 v[226:227], s[18:19], 0, v[10:11]
	v_lshl_add_u64 v[10:11], v[0:1], 0, 8
	v_mul_lo_u32 v2, s15, v10
	v_mul_lo_u32 v4, s14, v11
	v_mad_u64_u32 v[10:11], s[28:29], s14, v10, 0
	v_add3_u32 v11, v11, v4, v2
	v_lshlrev_b64 v[10:11], 1, v[10:11]
	v_lshl_add_u64 v[228:229], s[16:17], 0, v[10:11]
	v_lshl_add_u64 v[230:231], s[18:19], 0, v[10:11]
	;; [unrolled: 1-line block ×3, first 2 shown]
	v_mul_lo_u32 v2, s15, v10
	v_mul_lo_u32 v4, s14, v11
	v_mad_u64_u32 v[10:11], s[28:29], s14, v10, 0
	v_lshl_add_u64 v[12:13], v[0:1], 0, 6
	v_add3_u32 v11, v11, v4, v2
	v_mul_lo_u32 v2, s15, v12
	v_mul_lo_u32 v4, s14, v13
	v_mad_u64_u32 v[12:13], s[28:29], s14, v12, 0
	v_lshl_add_u64 v[14:15], v[0:1], 0, 5
	v_add3_u32 v13, v13, v4, v2
	;; [unrolled: 5-line block ×5, first 2 shown]
	v_mul_lo_u32 v1, s15, v20
	v_mul_lo_u32 v2, s14, v21
	v_mad_u64_u32 v[20:21], s[28:29], s14, v20, 0
	v_mov_b64_e32 v[22:23], s[14:15]
	s_load_dword s3, s[0:1], 0x44
	v_add3_u32 v21, v21, v2, v1
	v_mad_u64_u32 v[0:1], s[28:29], s14, v0, v[22:23]
	v_add3_u32 v1, v3, v1, v9
	v_lshlrev_b64 v[2:3], 1, v[14:15]
	v_lshl_add_u64 v[240:241], s[16:17], 0, v[2:3]
	v_lshl_add_u64 v[242:243], s[18:19], 0, v[2:3]
	v_lshlrev_b64 v[2:3], 1, v[16:17]
	v_lshl_add_u64 v[244:245], s[16:17], 0, v[2:3]
	v_lshl_add_u64 v[246:247], s[18:19], 0, v[2:3]
	v_lshlrev_b64 v[2:3], 1, v[18:19]
	s_add_u32 s4, s0, 64
	v_lshl_add_u64 v[248:249], s[16:17], 0, v[2:3]
	v_lshl_add_u64 v[250:251], s[18:19], 0, v[2:3]
	v_lshlrev_b64 v[2:3], 1, v[20:21]
	v_lshlrev_b64 v[0:1], 1, v[0:1]
	s_addc_u32 s5, s1, 0
	s_waitcnt lgkmcnt(0)
	s_lshl_b32 s6, s3, 5
	v_mad_u64_u32 v[80:81], s[26:27], s14, v58, v[70:71]
	v_lshl_add_u64 v[252:253], s[16:17], 0, v[2:3]
	v_lshl_add_u64 v[254:255], s[18:19], 0, v[2:3]
	;; [unrolled: 1-line block ×4, first 2 shown]
	v_mbcnt_lo_u32_b32 v0, -1, 0
	s_mul_i32 s3, s15, s6
	s_mul_hi_u32 s9, s14, s6
	v_accvgpr_write_b32 a72, v86
	v_add3_u32 v81, v82, v81, v59
	v_mad_u64_u32 v[82:83], s[26:27], s14, v62, v[70:71]
	v_lshlrev_b64 v[10:11], 1, v[10:11]
	v_mbcnt_hi_u32_b32 v0, -1, v0
	s_add_i32 s25, s9, s3
	s_mul_i32 s24, s14, s6
	v_accvgpr_write_b32 a73, v87
	v_add3_u32 v83, v84, v83, v63
	v_mad_u64_u32 v[84:85], s[26:27], s14, v64, v[70:71]
	v_mad_u64_u32 v[86:87], s[26:27], s14, v68, v[70:71]
	;; [unrolled: 1-line block ×4, first 2 shown]
	v_lshl_add_u64 v[232:233], s[16:17], 0, v[10:11]
	v_lshl_add_u64 v[234:235], s[18:19], 0, v[10:11]
	v_lshlrev_b64 v[10:11], 1, v[12:13]
	v_lshlrev_b32_e32 v0, 2, v0
	s_lshl_b64 s[24:25], s[24:25], 1
	v_add3_u32 v85, v76, v85, v65
	v_add3_u32 v87, v77, v87, v69
	;; [unrolled: 1-line block ×4, first 2 shown]
	s_mov_b64 s[26:27], 31
	v_lshl_add_u64 v[236:237], s[16:17], 0, v[10:11]
	v_lshl_add_u64 v[238:239], s[18:19], 0, v[10:11]
	v_and_b32_e32 v76, 0x100, v0
	v_mov_b32_e32 v0, v75
	v_accvgpr_write_b32 a3, v75
	v_mov_b32_e32 v1, v75
	s_mov_b64 s[16:17], s[10:11]
	s_branch .LBB107_151
.LBB107_148:                            ;   in Loop: Header=BB107_151 Depth=1
	s_or_b64 exec, exec, s[28:29]
.LBB107_149:                            ;   in Loop: Header=BB107_151 Depth=1
	s_or_b64 exec, exec, s[18:19]
	v_accvgpr_read_b32 v4, a70
	v_accvgpr_read_b32 v5, a71
	v_lshl_add_u64 v[10:11], v[4:5], 0, v[6:7]
	global_load_ushort v4, v[10:11], off
	v_lshl_add_u64 v[12:13], v[134:135], 0, v[6:7]
	v_lshl_add_u64 v[68:69], v[130:131], 0, v[6:7]
	s_waitcnt vmcnt(0)
	v_lshlrev_b32_e32 v10, 16, v4
	global_load_ushort v4, v[12:13], off
	s_waitcnt vmcnt(0)
	v_lshlrev_b32_e32 v11, 16, v4
	v_accvgpr_read_b32 v4, a8
	v_accvgpr_read_b32 v5, a9
	v_lshl_add_u64 v[12:13], v[4:5], 0, v[6:7]
	global_load_ushort v4, v[12:13], off
	s_waitcnt vmcnt(0)
	v_lshlrev_b32_e32 v36, 16, v4
	v_accvgpr_read_b32 v4, a72
	v_accvgpr_read_b32 v5, a73
	v_lshl_add_u64 v[12:13], v[4:5], 0, v[6:7]
	;; [unrolled: 6-line block ×9, first 2 shown]
	global_load_ushort v4, v[12:13], off
	v_lshl_add_u64 v[12:13], v[80:81], 0, v[6:7]
	s_waitcnt vmcnt(0)
	v_lshlrev_b32_e32 v44, 16, v4
	global_load_ushort v4, v[12:13], off
	s_waitcnt vmcnt(0)
	v_lshlrev_b32_e32 v45, 16, v4
	v_accvgpr_read_b32 v4, a18
	v_accvgpr_read_b32 v5, a19
	v_lshl_add_u64 v[12:13], v[4:5], 0, v[6:7]
	global_load_ushort v4, v[12:13], off
	v_lshl_add_u64 v[12:13], v[82:83], 0, v[6:7]
	s_waitcnt vmcnt(0)
	v_lshlrev_b32_e32 v46, 16, v4
	global_load_ushort v4, v[12:13], off
	s_waitcnt vmcnt(0)
	v_lshlrev_b32_e32 v47, 16, v4
	v_accvgpr_read_b32 v4, a20
	v_accvgpr_read_b32 v5, a21
	v_lshl_add_u64 v[12:13], v[4:5], 0, v[6:7]
	;; [unrolled: 10-line block ×23, first 2 shown]
	global_load_ushort v4, v[12:13], off
	v_lshl_add_u64 v[12:13], v[126:127], 0, v[6:7]
	s_waitcnt vmcnt(0)
	v_lshlrev_b32_e32 v4, 16, v4
	v_accvgpr_write_b32 a80, v4
	global_load_ushort v4, v[12:13], off
	s_waitcnt vmcnt(0)
	v_lshlrev_b32_e32 v77, 16, v4
	v_accvgpr_read_b32 v4, a64
	v_accvgpr_read_b32 v5, a65
	v_lshl_add_u64 v[12:13], v[4:5], 0, v[6:7]
	global_load_ushort v4, v[12:13], off
	v_lshl_add_u64 v[12:13], v[128:129], 0, v[6:7]
	s_waitcnt vmcnt(0)
	v_lshlrev_b32_e32 v66, 16, v4
	global_load_ushort v4, v[12:13], off
	s_waitcnt vmcnt(0)
	v_lshlrev_b32_e32 v4, 16, v4
	v_accvgpr_write_b32 a5, v4
	v_accvgpr_read_b32 v4, a66
	v_accvgpr_read_b32 v5, a67
	v_lshl_add_u64 v[12:13], v[4:5], 0, v[6:7]
	global_load_ushort v4, v[12:13], off
	s_waitcnt vmcnt(0)
	v_lshlrev_b32_e32 v12, 16, v4
	global_load_ushort v4, v[68:69], off
	s_waitcnt vmcnt(0)
	v_lshlrev_b32_e32 v13, 16, v4
	v_accvgpr_read_b32 v4, a68
	v_accvgpr_read_b32 v5, a69
	v_lshl_add_u64 v[68:69], v[4:5], 0, v[6:7]
	global_load_ushort v4, v[68:69], off
	v_lshl_add_u64 v[68:69], v[132:133], 0, v[6:7]
	ds_bpermute_b32 v5, v76, v56
	s_waitcnt lgkmcnt(0)
	v_sub_f32_e32 v5, v11, v5
	v_mul_f32_e32 v5, v5, v10
	s_waitcnt vmcnt(0)
	v_lshlrev_b32_e32 v4, 16, v4
	v_accvgpr_write_b32 a2, v4
	global_load_ushort v4, v[68:69], off
	s_waitcnt vmcnt(0)
	v_lshlrev_b32_e32 v68, 16, v4
	ds_bpermute_b32 v4, v76, v57
	s_waitcnt lgkmcnt(0)
	v_mul_f32_e32 v11, v5, v4
	ds_bpermute_b32 v5, v76, v56 offset:4
	ds_bpermute_b32 v4, v76, v57 offset:4
	v_pk_add_f32 v[0:1], v[0:1], v[10:11]
	v_accvgpr_read_b32 v10, a80
	s_waitcnt lgkmcnt(1)
	v_sub_f32_e32 v5, v37, v5
	v_mul_f32_e32 v5, v5, v36
	s_waitcnt lgkmcnt(0)
	v_mul_f32_e32 v37, v5, v4
	ds_bpermute_b32 v5, v76, v56 offset:8
	ds_bpermute_b32 v4, v76, v57 offset:8
	v_pk_add_f32 v[0:1], v[0:1], v[36:37]
	s_waitcnt lgkmcnt(1)
	v_sub_f32_e32 v5, v39, v5
	v_mul_f32_e32 v5, v5, v38
	s_waitcnt lgkmcnt(0)
	v_mul_f32_e32 v39, v5, v4
	ds_bpermute_b32 v5, v76, v56 offset:12
	ds_bpermute_b32 v4, v76, v57 offset:12
	v_pk_add_f32 v[0:1], v[0:1], v[38:39]
	;; [unrolled: 8-line block ×11, first 2 shown]
	v_accvgpr_read_b32 v14, a5
	s_waitcnt lgkmcnt(1)
	v_sub_f32_e32 v5, v17, v5
	v_mul_f32_e32 v5, v5, v16
	s_waitcnt lgkmcnt(0)
	v_mul_f32_e32 v17, v5, v4
	ds_bpermute_b32 v5, v76, v56 offset:52
	ds_bpermute_b32 v4, v76, v57 offset:52
	v_pk_add_f32 v[0:1], v[0:1], v[16:17]
	s_waitcnt lgkmcnt(1)
	v_sub_f32_e32 v5, v19, v5
	v_mul_f32_e32 v5, v5, v18
	s_waitcnt lgkmcnt(0)
	v_mul_f32_e32 v19, v5, v4
	ds_bpermute_b32 v5, v76, v56 offset:56
	ds_bpermute_b32 v4, v76, v57 offset:56
	v_pk_add_f32 v[0:1], v[0:1], v[18:19]
	;; [unrolled: 8-line block ×17, first 2 shown]
	v_accvgpr_read_b32 v10, a2
	s_waitcnt lgkmcnt(1)
	v_sub_f32_e32 v5, v14, v5
	v_mul_f32_e32 v5, v5, v66
	s_waitcnt lgkmcnt(0)
	v_mul_f32_e32 v67, v5, v4
	ds_bpermute_b32 v5, v76, v56 offset:120
	ds_bpermute_b32 v4, v76, v57 offset:120
	v_pk_add_f32 v[0:1], v[0:1], v[66:67]
	s_waitcnt lgkmcnt(1)
	v_sub_f32_e32 v5, v13, v5
	v_mul_f32_e32 v5, v5, v12
	s_waitcnt lgkmcnt(0)
	v_mul_f32_e32 v13, v5, v4
	ds_bpermute_b32 v5, v76, v56 offset:124
	ds_bpermute_b32 v4, v76, v57 offset:124
	v_pk_add_f32 v[0:1], v[0:1], v[12:13]
	s_waitcnt lgkmcnt(1)
	v_sub_f32_e32 v5, v68, v5
	v_mul_f32_e32 v5, v5, v10
	s_waitcnt lgkmcnt(0)
	v_mul_f32_e32 v11, v5, v4
	v_pk_add_f32 v[66:67], v[0:1], v[10:11]
.LBB107_150:                            ;   in Loop: Header=BB107_151 Depth=1
	s_add_u32 s16, s16, s6
	s_addc_u32 s17, s17, 0
	v_mov_b64_e32 v[0:1], s[12:13]
	v_cmp_ge_i64_e32 vcc, s[16:17], v[0:1]
	v_accvgpr_read_b32 v0, a8
	v_accvgpr_read_b32 v1, a9
	v_lshl_add_u64 v[0:1], v[0:1], 0, s[24:25]
	v_accvgpr_write_b32 a9, v1
	v_accvgpr_write_b32 a8, v0
	v_accvgpr_read_b32 v0, a10
	v_accvgpr_read_b32 v1, a11
	v_lshl_add_u64 v[0:1], v[0:1], 0, s[24:25]
	v_accvgpr_write_b32 a11, v1
	v_accvgpr_write_b32 a10, v0
	;; [unrolled: 5-line block ×35, first 2 shown]
	v_accvgpr_read_b32 v0, a78
	v_accvgpr_read_b32 v1, a79
	;; [unrolled: 1-line block ×3, first 2 shown]
	v_lshl_add_u64 v[0:1], v[0:1], 0, s[24:25]
	v_accvgpr_read_b32 v72, a6
	v_accvgpr_write_b32 a79, v1
	s_add_u32 s26, s26, s6
	v_lshl_add_u64 v[72:73], v[72:73], 0, s[6:7]
	v_accvgpr_write_b32 a78, v0
	v_lshl_add_u64 v[80:81], v[80:81], 0, s[24:25]
	v_lshl_add_u64 v[82:83], v[82:83], 0, s[24:25]
	;; [unrolled: 1-line block ×90, first 2 shown]
	s_addc_u32 s27, s27, 0
	v_mov_b32_e32 v0, v66
	v_mov_b32_e32 v1, v67
	s_cbranch_vccnz .LBB107_225
.LBB107_151:                            ; =>This Inner Loop Header: Depth=1
	s_add_u32 s18, s10, s26
	s_addc_u32 s19, 0, s27
	v_mov_b64_e32 v[10:11], s[12:13]
	v_cmp_ge_i64_e32 vcc, s[18:19], v[10:11]
	v_accvgpr_write_b32 a6, v72
	v_accvgpr_write_b32 a7, v73
	v_lshl_add_u64 v[12:13], s[10:11], 0, v[72:73]
	s_cbranch_vccz .LBB107_221
; %bb.152:                              ;   in Loop: Header=BB107_151 Depth=1
	s_load_dword s3, s[4:5], 0xc
	v_accvgpr_read_b32 v4, a1
	v_accvgpr_read_b32 v5, a4
	v_mov_b32_e32 v29, 0
	v_mov_b32_e32 v77, 0
	s_waitcnt lgkmcnt(0)
	s_and_b32 s3, s3, 0xffff
	v_mad_u32_u24 v4, v5, s3, v4
	v_and_b32_e32 v4, 63, v4
	v_accvgpr_read_b32 v5, a3
	v_accvgpr_write_b32 a2, v4
	v_accvgpr_write_b32 a3, v5
	v_cmp_gt_u32_e32 vcc, 32, v4
	v_mov_b32_e32 v53, 0
	s_and_saveexec_b64 s[18:19], vcc
	s_cbranch_execz .LBB107_156
; %bb.153:                              ;   in Loop: Header=BB107_151 Depth=1
	v_accvgpr_read_b32 v5, a3
	v_accvgpr_read_b32 v4, a2
	v_lshl_add_u64 v[10:11], v[12:13], 0, v[4:5]
	v_cmp_gt_i64_e32 vcc, s[12:13], v[10:11]
	v_mov_b32_e32 v53, 0
	v_mov_b32_e32 v77, 0
	s_and_saveexec_b64 s[28:29], vcc
	s_cbranch_execz .LBB107_155
; %bb.154:                              ;   in Loop: Header=BB107_151 Depth=1
	v_lshlrev_b64 v[10:11], 2, v[10:11]
	v_lshl_add_u64 v[14:15], s[22:23], 0, v[10:11]
	v_lshl_add_u64 v[10:11], s[20:21], 0, v[10:11]
	global_load_dword v53, v[10:11], off
	global_load_dword v77, v[14:15], off
.LBB107_155:                            ;   in Loop: Header=BB107_151 Depth=1
	s_or_b64 exec, exec, s[28:29]
.LBB107_156:                            ;   in Loop: Header=BB107_151 Depth=1
	s_or_b64 exec, exec, s[18:19]
	v_cmp_gt_i64_e32 vcc, s[12:13], v[12:13]
	v_mov_b32_e32 v28, 0
	s_and_saveexec_b64 s[18:19], vcc
	s_cbranch_execz .LBB107_158
; %bb.157:                              ;   in Loop: Header=BB107_151 Depth=1
	v_accvgpr_read_b32 v4, a70
	v_accvgpr_read_b32 v5, a71
	v_lshl_add_u64 v[14:15], v[134:135], 0, v[6:7]
	v_lshl_add_u64 v[10:11], v[4:5], 0, v[6:7]
	global_load_ushort v4, v[14:15], off
	global_load_ushort v5, v[10:11], off
	s_waitcnt vmcnt(1)
	v_lshlrev_b32_e32 v29, 16, v4
	s_waitcnt vmcnt(0)
	v_lshlrev_b32_e32 v28, 16, v5
.LBB107_158:                            ;   in Loop: Header=BB107_151 Depth=1
	s_or_b64 exec, exec, s[18:19]
	v_lshl_add_u64 v[10:11], v[12:13], 0, 1
	v_cmp_gt_i64_e32 vcc, s[12:13], v[10:11]
	v_mov_b32_e32 v41, 0
	v_mov_b32_e32 v35, 0
	v_mov_b32_e32 v34, 0
	s_and_saveexec_b64 s[18:19], vcc
	s_cbranch_execz .LBB107_160
; %bb.159:                              ;   in Loop: Header=BB107_151 Depth=1
	v_lshl_add_u64 v[14:15], v[8:9], 0, v[6:7]
	v_lshl_add_u64 v[10:11], v[2:3], 0, v[6:7]
	global_load_ushort v4, v[14:15], off
	global_load_ushort v5, v[10:11], off
	s_waitcnt vmcnt(1)
	v_lshlrev_b32_e32 v35, 16, v4
	s_waitcnt vmcnt(0)
	v_lshlrev_b32_e32 v34, 16, v5
.LBB107_160:                            ;   in Loop: Header=BB107_151 Depth=1
	s_or_b64 exec, exec, s[18:19]
	v_lshl_add_u64 v[10:11], v[12:13], 0, 2
	v_cmp_gt_i64_e32 vcc, s[12:13], v[10:11]
	v_mov_b32_e32 v40, 0
	s_and_saveexec_b64 s[18:19], vcc
	s_cbranch_execz .LBB107_162
; %bb.161:                              ;   in Loop: Header=BB107_151 Depth=1
	v_lshl_add_u64 v[14:15], v[254:255], 0, v[6:7]
	v_lshl_add_u64 v[10:11], v[252:253], 0, v[6:7]
	global_load_ushort v4, v[14:15], off
	global_load_ushort v5, v[10:11], off
	s_waitcnt vmcnt(1)
	v_lshlrev_b32_e32 v41, 16, v4
	s_waitcnt vmcnt(0)
	v_lshlrev_b32_e32 v40, 16, v5
.LBB107_162:                            ;   in Loop: Header=BB107_151 Depth=1
	s_or_b64 exec, exec, s[18:19]
	v_lshl_add_u64 v[10:11], v[12:13], 0, 3
	v_cmp_gt_i64_e32 vcc, s[12:13], v[10:11]
	v_mov_b32_e32 v55, 0
	v_mov_b32_e32 v47, 0
	v_mov_b32_e32 v46, 0
	s_and_saveexec_b64 s[18:19], vcc
	s_cbranch_execz .LBB107_164
; %bb.163:                              ;   in Loop: Header=BB107_151 Depth=1
	v_lshl_add_u64 v[14:15], v[250:251], 0, v[6:7]
	v_lshl_add_u64 v[10:11], v[248:249], 0, v[6:7]
	global_load_ushort v4, v[14:15], off
	global_load_ushort v5, v[10:11], off
	s_waitcnt vmcnt(1)
	v_lshlrev_b32_e32 v47, 16, v4
	s_waitcnt vmcnt(0)
	v_lshlrev_b32_e32 v46, 16, v5
.LBB107_164:                            ;   in Loop: Header=BB107_151 Depth=1
	s_or_b64 exec, exec, s[18:19]
	v_lshl_add_u64 v[10:11], v[12:13], 0, 4
	v_cmp_gt_i64_e32 vcc, s[12:13], v[10:11]
	v_mov_b32_e32 v54, 0
	s_and_saveexec_b64 s[18:19], vcc
	s_cbranch_execz .LBB107_166
; %bb.165:                              ;   in Loop: Header=BB107_151 Depth=1
	v_lshl_add_u64 v[14:15], v[246:247], 0, v[6:7]
	v_lshl_add_u64 v[10:11], v[244:245], 0, v[6:7]
	global_load_ushort v4, v[14:15], off
	global_load_ushort v5, v[10:11], off
	s_waitcnt vmcnt(1)
	v_lshlrev_b32_e32 v55, 16, v4
	s_waitcnt vmcnt(0)
	v_lshlrev_b32_e32 v54, 16, v5
.LBB107_166:                            ;   in Loop: Header=BB107_151 Depth=1
	;; [unrolled: 34-line block ×14, first 2 shown]
	s_or_b64 exec, exec, s[18:19]
	v_lshl_add_u64 v[48:49], v[12:13], 0, 29
	v_cmp_gt_i64_e32 vcc, s[12:13], v[48:49]
	v_mov_b32_e32 v52, 0
	v_mov_b32_e32 v49, 0
	;; [unrolled: 1-line block ×3, first 2 shown]
	s_and_saveexec_b64 s[18:19], vcc
	s_cbranch_execz .LBB107_216
; %bb.215:                              ;   in Loop: Header=BB107_151 Depth=1
	v_lshl_add_u64 v[78:79], v[146:147], 0, v[6:7]
	v_lshl_add_u64 v[48:49], v[144:145], 0, v[6:7]
	global_load_ushort v4, v[78:79], off
	global_load_ushort v5, v[48:49], off
	s_waitcnt vmcnt(1)
	v_lshlrev_b32_e32 v49, 16, v4
	s_waitcnt vmcnt(0)
	v_lshlrev_b32_e32 v48, 16, v5
.LBB107_216:                            ;   in Loop: Header=BB107_151 Depth=1
	s_or_b64 exec, exec, s[18:19]
	v_lshl_add_u64 v[78:79], v[12:13], 0, 30
	v_cmp_gt_i64_e32 vcc, s[12:13], v[78:79]
	v_mov_b32_e32 v56, 0
	s_and_saveexec_b64 s[18:19], vcc
	s_cbranch_execz .LBB107_218
; %bb.217:                              ;   in Loop: Header=BB107_151 Depth=1
	v_lshl_add_u64 v[4:5], v[142:143], 0, v[6:7]
	v_lshl_add_u64 v[78:79], v[140:141], 0, v[6:7]
	global_load_ushort v4, v[4:5], off
	s_nop 0
	global_load_ushort v5, v[78:79], off
	s_waitcnt vmcnt(1)
	v_lshlrev_b32_e32 v52, 16, v4
	s_waitcnt vmcnt(0)
	v_lshlrev_b32_e32 v56, 16, v5
.LBB107_218:                            ;   in Loop: Header=BB107_151 Depth=1
	s_or_b64 exec, exec, s[18:19]
	v_lshl_add_u64 v[4:5], v[12:13], 0, 31
	v_accvgpr_write_b32 a2, v52
	v_cmp_gt_i64_e32 vcc, s[12:13], v[4:5]
	v_mov_b32_e32 v78, 0
	v_mov_b32_e32 v52, 0
	s_and_saveexec_b64 s[18:19], vcc
	s_cbranch_execz .LBB107_220
; %bb.219:                              ;   in Loop: Header=BB107_151 Depth=1
	v_lshl_add_u64 v[4:5], v[136:137], 0, v[6:7]
	v_lshl_add_u64 v[78:79], v[138:139], 0, v[6:7]
	global_load_ushort v52, v[78:79], off
	s_nop 0
	global_load_ushort v4, v[4:5], off
	s_waitcnt vmcnt(1)
	v_lshlrev_b32_e32 v78, 16, v52
	s_waitcnt vmcnt(0)
	v_lshlrev_b32_e32 v52, 16, v4
.LBB107_220:                            ;   in Loop: Header=BB107_151 Depth=1
	s_or_b64 exec, exec, s[18:19]
	s_waitcnt vmcnt(1)
	ds_bpermute_b32 v5, v76, v53
	s_waitcnt vmcnt(0)
	ds_bpermute_b32 v4, v76, v77
	s_waitcnt lgkmcnt(1)
	v_sub_f32_e32 v5, v29, v5
	v_mul_f32_e32 v5, v28, v5
	s_waitcnt lgkmcnt(0)
	v_mul_f32_e32 v29, v5, v4
	ds_bpermute_b32 v5, v76, v53 offset:4
	ds_bpermute_b32 v4, v76, v77 offset:4
	s_waitcnt lgkmcnt(1)
	v_sub_f32_e32 v5, v35, v5
	v_mul_f32_e32 v5, v34, v5
	s_waitcnt lgkmcnt(0)
	v_mul_f32_e32 v35, v5, v4
	ds_bpermute_b32 v5, v76, v53 offset:8
	ds_bpermute_b32 v4, v76, v77 offset:8
	;; [unrolled: 7-line block ×10, first 2 shown]
	s_waitcnt lgkmcnt(1)
	v_sub_f32_e32 v5, v69, v5
	v_mul_f32_e32 v5, v74, v5
	s_waitcnt lgkmcnt(0)
	v_mul_f32_e32 v75, v5, v4
	v_pk_add_f32 v[4:5], v[0:1], v[28:29]
	s_nop 0
	v_pk_add_f32 v[4:5], v[4:5], v[34:35]
	s_nop 0
	;; [unrolled: 2-line block ×10, first 2 shown]
	v_pk_add_f32 v[10:11], v[4:5], v[74:75]
	ds_bpermute_b32 v5, v76, v53 offset:44
	ds_bpermute_b32 v4, v76, v77 offset:44
	s_waitcnt lgkmcnt(1)
	v_sub_f32_e32 v5, v15, v5
	v_mul_f32_e32 v5, v14, v5
	s_waitcnt lgkmcnt(0)
	v_mul_f32_e32 v15, v5, v4
	ds_bpermute_b32 v5, v76, v53 offset:48
	ds_bpermute_b32 v4, v76, v77 offset:48
	s_waitcnt lgkmcnt(1)
	v_sub_f32_e32 v5, v19, v5
	v_mul_f32_e32 v5, v18, v5
	s_waitcnt lgkmcnt(0)
	v_mul_f32_e32 v19, v5, v4
	ds_bpermute_b32 v5, v76, v53 offset:52
	ds_bpermute_b32 v4, v76, v77 offset:52
	s_waitcnt lgkmcnt(1)
	v_sub_f32_e32 v5, v23, v5
	v_mul_f32_e32 v5, v22, v5
	s_waitcnt lgkmcnt(0)
	v_mul_f32_e32 v23, v5, v4
	ds_bpermute_b32 v5, v76, v53 offset:56
	ds_bpermute_b32 v4, v76, v77 offset:56
	s_waitcnt lgkmcnt(1)
	v_sub_f32_e32 v5, v27, v5
	v_mul_f32_e32 v5, v26, v5
	s_waitcnt lgkmcnt(0)
	v_mul_f32_e32 v27, v5, v4
	ds_bpermute_b32 v5, v76, v53 offset:60
	ds_bpermute_b32 v4, v76, v77 offset:60
	s_waitcnt lgkmcnt(1)
	v_sub_f32_e32 v5, v33, v5
	v_mul_f32_e32 v5, v32, v5
	s_waitcnt lgkmcnt(0)
	v_mul_f32_e32 v33, v5, v4
	ds_bpermute_b32 v5, v76, v53 offset:64
	ds_bpermute_b32 v4, v76, v77 offset:64
	s_waitcnt lgkmcnt(1)
	v_sub_f32_e32 v5, v39, v5
	v_mul_f32_e32 v5, v38, v5
	s_waitcnt lgkmcnt(0)
	v_mul_f32_e32 v39, v5, v4
	ds_bpermute_b32 v5, v76, v53 offset:68
	ds_bpermute_b32 v4, v76, v77 offset:68
	s_waitcnt lgkmcnt(1)
	v_sub_f32_e32 v5, v45, v5
	v_mul_f32_e32 v5, v44, v5
	s_waitcnt lgkmcnt(0)
	v_mul_f32_e32 v45, v5, v4
	ds_bpermute_b32 v5, v76, v53 offset:72
	ds_bpermute_b32 v4, v76, v77 offset:72
	s_waitcnt lgkmcnt(1)
	v_sub_f32_e32 v5, v51, v5
	v_mul_f32_e32 v5, v50, v5
	s_waitcnt lgkmcnt(0)
	v_mul_f32_e32 v51, v5, v4
	ds_bpermute_b32 v5, v76, v53 offset:76
	ds_bpermute_b32 v4, v76, v77 offset:76
	s_waitcnt lgkmcnt(1)
	v_sub_f32_e32 v5, v59, v5
	v_mul_f32_e32 v5, v58, v5
	s_waitcnt lgkmcnt(0)
	v_mul_f32_e32 v59, v5, v4
	ds_bpermute_b32 v5, v76, v53 offset:80
	ds_bpermute_b32 v4, v76, v77 offset:80
	s_waitcnt lgkmcnt(1)
	v_sub_f32_e32 v5, v65, v5
	v_mul_f32_e32 v5, v64, v5
	s_waitcnt lgkmcnt(0)
	v_mul_f32_e32 v65, v5, v4
	ds_bpermute_b32 v5, v76, v53 offset:84
	ds_bpermute_b32 v4, v76, v77 offset:84
	s_waitcnt lgkmcnt(1)
	v_sub_f32_e32 v5, v67, v5
	v_mul_f32_e32 v5, v68, v5
	s_waitcnt lgkmcnt(0)
	v_mul_f32_e32 v69, v5, v4
	v_pk_add_f32 v[4:5], v[10:11], v[14:15]
	ds_bpermute_b32 v11, v76, v53 offset:88
	ds_bpermute_b32 v10, v76, v77 offset:88
	v_pk_add_f32 v[4:5], v[4:5], v[18:19]
	v_accvgpr_read_b32 v14, a2
	v_pk_add_f32 v[4:5], v[4:5], v[22:23]
	s_waitcnt lgkmcnt(1)
	v_sub_f32_e32 v11, v17, v11
	v_mul_f32_e32 v11, v66, v11
	s_waitcnt lgkmcnt(0)
	v_mul_f32_e32 v67, v11, v10
	ds_bpermute_b32 v11, v76, v53 offset:92
	ds_bpermute_b32 v10, v76, v77 offset:92
	v_pk_add_f32 v[4:5], v[4:5], v[26:27]
	s_waitcnt lgkmcnt(1)
	v_sub_f32_e32 v11, v57, v11
	v_mul_f32_e32 v11, v16, v11
	s_waitcnt lgkmcnt(0)
	v_mul_f32_e32 v17, v11, v10
	ds_bpermute_b32 v11, v76, v53 offset:96
	ds_bpermute_b32 v10, v76, v77 offset:96
	;; [unrolled: 8-line block ×8, first 2 shown]
	v_pk_add_f32 v[4:5], v[4:5], v[68:69]
	s_waitcnt lgkmcnt(1)
	v_sub_f32_e32 v11, v14, v11
	v_mul_f32_e32 v11, v56, v11
	v_pk_add_f32 v[4:5], v[4:5], v[66:67]
	s_waitcnt lgkmcnt(0)
	v_mul_f32_e32 v57, v11, v10
	v_pk_add_f32 v[4:5], v[4:5], v[16:17]
	ds_bpermute_b32 v11, v76, v53 offset:124
	v_pk_add_f32 v[4:5], v[4:5], v[20:21]
	ds_bpermute_b32 v10, v76, v77 offset:124
	v_pk_add_f32 v[4:5], v[4:5], v[24:25]
	s_waitcnt lgkmcnt(1)
	v_sub_f32_e32 v11, v78, v11
	v_pk_add_f32 v[4:5], v[4:5], v[30:31]
	v_mul_f32_e32 v11, v52, v11
	v_pk_add_f32 v[4:5], v[4:5], v[36:37]
	s_waitcnt lgkmcnt(0)
	v_mul_f32_e32 v53, v11, v10
	v_pk_add_f32 v[4:5], v[4:5], v[42:43]
	s_nop 0
	v_pk_add_f32 v[4:5], v[4:5], v[48:49]
	s_nop 0
	;; [unrolled: 2-line block ×3, first 2 shown]
	v_pk_add_f32 v[66:67], v[4:5], v[52:53]
	s_branch .LBB107_150
.LBB107_221:                            ;   in Loop: Header=BB107_151 Depth=1
                                        ; implicit-def: $vgpr66_vgpr67
	s_cbranch_execz .LBB107_150
; %bb.222:                              ;   in Loop: Header=BB107_151 Depth=1
	s_load_dword s3, s[4:5], 0x0
	v_accvgpr_read_b32 v11, a3
	v_accvgpr_read_b32 v5, a1
	;; [unrolled: 1-line block ×3, first 2 shown]
	v_mov_b32_e32 v57, 0
	s_waitcnt lgkmcnt(0)
	s_cmp_lt_u32 s2, s3
	s_cselect_b32 s3, 12, 18
	s_add_u32 s18, s4, s3
	s_addc_u32 s19, s5, 0
	global_load_ushort v4, v11, s[18:19]
	v_mov_b32_e32 v56, 0
	s_waitcnt vmcnt(0)
	v_mad_u32_u24 v4, v10, v4, v5
	v_and_b32_e32 v10, 63, v4
	v_accvgpr_write_b32 a2, v10
	v_accvgpr_write_b32 a3, v11
	v_cmp_gt_u32_e32 vcc, 32, v10
	s_and_saveexec_b64 s[18:19], vcc
	s_cbranch_execz .LBB107_149
; %bb.223:                              ;   in Loop: Header=BB107_151 Depth=1
	v_accvgpr_read_b32 v5, a3
	v_accvgpr_read_b32 v4, a2
	v_lshl_add_u64 v[10:11], v[12:13], 0, v[4:5]
	v_cmp_gt_i64_e32 vcc, s[12:13], v[10:11]
	v_mov_b32_e32 v56, 0
	v_mov_b32_e32 v57, 0
	s_and_saveexec_b64 s[28:29], vcc
	s_cbranch_execz .LBB107_148
; %bb.224:                              ;   in Loop: Header=BB107_151 Depth=1
	v_lshlrev_b64 v[10:11], 2, v[10:11]
	v_lshl_add_u64 v[12:13], s[22:23], 0, v[10:11]
	v_lshl_add_u64 v[10:11], s[20:21], 0, v[10:11]
	global_load_dword v56, v[10:11], off
	global_load_dword v57, v[12:13], off
	s_branch .LBB107_148
.LBB107_225:
	v_accvgpr_read_b32 v212, a0
.LBB107_226:
	s_mov_b32 s3, 0
	s_lshl_b64 s[2:3], s[2:3], 5
	v_and_b32_e32 v0, 0x3ff, v212
	v_or_b32_e32 v0, s2, v0
	v_mov_b32_e32 v1, s3
	v_cmp_gt_i64_e32 vcc, s[14:15], v[0:1]
	s_and_saveexec_b64 s[2:3], vcc
	s_cbranch_execz .LBB107_231
; %bb.227:
	s_load_dword s2, s[0:1], 0x4c
	s_load_dwordx4 s[4:7], s[0:1], 0x30
	v_bfe_u32 v2, v212, 10, 10
	v_mov_b32_e32 v3, 0
	v_mov_b32_e32 v4, s8
	s_waitcnt lgkmcnt(0)
	s_lshr_b32 s0, s2, 16
	v_mad_u64_u32 v[2:3], s[0:1], s0, v4, v[2:3]
	s_cmp_eq_u64 s[4:5], 0
	v_mul_lo_u32 v3, v3, s14
	v_mul_lo_u32 v4, v2, s15
	s_cbranch_scc1 .LBB107_229
; %bb.228:
	v_bfe_u32 v5, v67, 16, 1
	s_movk_i32 s0, 0x7fff
	v_add3_u32 v5, v67, v5, s0
	v_lshrrev_b32_e32 v5, 16, v5
	v_mov_b32_e32 v6, 0x7fc0
	v_cmp_o_f32_e32 vcc, v67, v67
	s_nop 1
	v_cndmask_b32_e32 v5, v6, v5, vcc
	v_mad_u64_u32 v[6:7], s[0:1], v2, s14, 0
	v_add3_u32 v7, v7, v4, v3
	v_lshl_add_u64 v[6:7], v[6:7], 1, s[4:5]
	v_lshl_add_u64 v[6:7], v[0:1], 1, v[6:7]
	global_store_short v[6:7], v5, off
.LBB107_229:
	s_cmp_eq_u64 s[6:7], 0
	s_cbranch_scc1 .LBB107_231
; %bb.230:
	v_bfe_u32 v5, v66, 16, 1
	s_movk_i32 s0, 0x7fff
	v_add3_u32 v5, v66, v5, s0
	v_lshrrev_b32_e32 v5, 16, v5
	v_mov_b32_e32 v6, 0x7fc0
	v_cmp_o_f32_e32 vcc, v66, v66
	s_nop 1
	v_cndmask_b32_e32 v5, v6, v5, vcc
	v_mad_u64_u32 v[6:7], s[0:1], v2, s14, 0
	v_add3_u32 v7, v7, v4, v3
	v_lshl_add_u64 v[2:3], v[6:7], 1, s[6:7]
	v_lshl_add_u64 v[0:1], v[0:1], 1, v[2:3]
	global_store_short v[0:1], v5, off
.LBB107_231:
	s_endpgm
	.section	.rodata,"a",@progbits
	.p2align	6, 0x0
	.amdhsa_kernel _ZN2at6native12_GLOBAL__N_135GammaBetaBackwardCUDAKernelTemplateIN3c108BFloat16EfLj32ELj1ELj32ELb1ELb0ELb0EEEvllPKT_S7_PKT0_SA_PS5_SB_
		.amdhsa_group_segment_fixed_size 0
		.amdhsa_private_segment_fixed_size 0
		.amdhsa_kernarg_size 320
		.amdhsa_user_sgpr_count 2
		.amdhsa_user_sgpr_dispatch_ptr 0
		.amdhsa_user_sgpr_queue_ptr 0
		.amdhsa_user_sgpr_kernarg_segment_ptr 1
		.amdhsa_user_sgpr_dispatch_id 0
		.amdhsa_user_sgpr_kernarg_preload_length 0
		.amdhsa_user_sgpr_kernarg_preload_offset 0
		.amdhsa_user_sgpr_private_segment_size 0
		.amdhsa_uses_dynamic_stack 0
		.amdhsa_enable_private_segment 0
		.amdhsa_system_sgpr_workgroup_id_x 1
		.amdhsa_system_sgpr_workgroup_id_y 1
		.amdhsa_system_sgpr_workgroup_id_z 0
		.amdhsa_system_sgpr_workgroup_info 0
		.amdhsa_system_vgpr_workitem_id 1
		.amdhsa_next_free_vgpr 337
		.amdhsa_next_free_sgpr 40
		.amdhsa_accum_offset 256
		.amdhsa_reserve_vcc 1
		.amdhsa_float_round_mode_32 0
		.amdhsa_float_round_mode_16_64 0
		.amdhsa_float_denorm_mode_32 3
		.amdhsa_float_denorm_mode_16_64 3
		.amdhsa_dx10_clamp 1
		.amdhsa_ieee_mode 1
		.amdhsa_fp16_overflow 0
		.amdhsa_tg_split 0
		.amdhsa_exception_fp_ieee_invalid_op 0
		.amdhsa_exception_fp_denorm_src 0
		.amdhsa_exception_fp_ieee_div_zero 0
		.amdhsa_exception_fp_ieee_overflow 0
		.amdhsa_exception_fp_ieee_underflow 0
		.amdhsa_exception_fp_ieee_inexact 0
		.amdhsa_exception_int_div_zero 0
	.end_amdhsa_kernel
	.section	.text._ZN2at6native12_GLOBAL__N_135GammaBetaBackwardCUDAKernelTemplateIN3c108BFloat16EfLj32ELj1ELj32ELb1ELb0ELb0EEEvllPKT_S7_PKT0_SA_PS5_SB_,"axG",@progbits,_ZN2at6native12_GLOBAL__N_135GammaBetaBackwardCUDAKernelTemplateIN3c108BFloat16EfLj32ELj1ELj32ELb1ELb0ELb0EEEvllPKT_S7_PKT0_SA_PS5_SB_,comdat
.Lfunc_end107:
	.size	_ZN2at6native12_GLOBAL__N_135GammaBetaBackwardCUDAKernelTemplateIN3c108BFloat16EfLj32ELj1ELj32ELb1ELb0ELb0EEEvllPKT_S7_PKT0_SA_PS5_SB_, .Lfunc_end107-_ZN2at6native12_GLOBAL__N_135GammaBetaBackwardCUDAKernelTemplateIN3c108BFloat16EfLj32ELj1ELj32ELb1ELb0ELb0EEEvllPKT_S7_PKT0_SA_PS5_SB_
                                        ; -- End function
	.section	.AMDGPU.csdata,"",@progbits
; Kernel info:
; codeLenInByte = 25960
; NumSgprs: 46
; NumVgprs: 256
; NumAgprs: 81
; TotalNumVgprs: 337
; ScratchSize: 0
; MemoryBound: 0
; FloatMode: 240
; IeeeMode: 1
; LDSByteSize: 0 bytes/workgroup (compile time only)
; SGPRBlocks: 5
; VGPRBlocks: 42
; NumSGPRsForWavesPerEU: 46
; NumVGPRsForWavesPerEU: 337
; AccumOffset: 256
; Occupancy: 1
; WaveLimiterHint : 0
; COMPUTE_PGM_RSRC2:SCRATCH_EN: 0
; COMPUTE_PGM_RSRC2:USER_SGPR: 2
; COMPUTE_PGM_RSRC2:TRAP_HANDLER: 0
; COMPUTE_PGM_RSRC2:TGID_X_EN: 1
; COMPUTE_PGM_RSRC2:TGID_Y_EN: 1
; COMPUTE_PGM_RSRC2:TGID_Z_EN: 0
; COMPUTE_PGM_RSRC2:TIDIG_COMP_CNT: 1
; COMPUTE_PGM_RSRC3_GFX90A:ACCUM_OFFSET: 63
; COMPUTE_PGM_RSRC3_GFX90A:TG_SPLIT: 0
	.section	.text._ZN2at6native12_GLOBAL__N_135GammaBetaBackwardCUDAKernelTemplateIN3c108BFloat16EfLj32ELj1ELj8ELb1ELb1ELb0EEEvllPKT_S7_PKT0_SA_PS5_SB_,"axG",@progbits,_ZN2at6native12_GLOBAL__N_135GammaBetaBackwardCUDAKernelTemplateIN3c108BFloat16EfLj32ELj1ELj8ELb1ELb1ELb0EEEvllPKT_S7_PKT0_SA_PS5_SB_,comdat
	.globl	_ZN2at6native12_GLOBAL__N_135GammaBetaBackwardCUDAKernelTemplateIN3c108BFloat16EfLj32ELj1ELj8ELb1ELb1ELb0EEEvllPKT_S7_PKT0_SA_PS5_SB_ ; -- Begin function _ZN2at6native12_GLOBAL__N_135GammaBetaBackwardCUDAKernelTemplateIN3c108BFloat16EfLj32ELj1ELj8ELb1ELb1ELb0EEEvllPKT_S7_PKT0_SA_PS5_SB_
	.p2align	8
	.type	_ZN2at6native12_GLOBAL__N_135GammaBetaBackwardCUDAKernelTemplateIN3c108BFloat16EfLj32ELj1ELj8ELb1ELb1ELb0EEEvllPKT_S7_PKT0_SA_PS5_SB_,@function
_ZN2at6native12_GLOBAL__N_135GammaBetaBackwardCUDAKernelTemplateIN3c108BFloat16EfLj32ELj1ELj8ELb1ELb1ELb0EEEvllPKT_S7_PKT0_SA_PS5_SB_: ; @_ZN2at6native12_GLOBAL__N_135GammaBetaBackwardCUDAKernelTemplateIN3c108BFloat16EfLj32ELj1ELj8ELb1ELb1ELb0EEEvllPKT_S7_PKT0_SA_PS5_SB_
; %bb.0:
	s_load_dwordx4 s[16:19], s[0:1], 0x0
	s_lshl_b32 s6, s3, 3
	s_mov_b32 s7, 0
	s_mov_b32 s4, s3
	v_bfe_u32 v1, v0, 10, 10
	s_waitcnt lgkmcnt(0)
	v_mov_b64_e32 v[2:3], s[16:17]
	v_cmp_lt_i64_e32 vcc, s[6:7], v[2:3]
	s_cbranch_vccnz .LBB108_2
; %bb.1:
	s_add_u32 s24, s0, 64
	s_addc_u32 s25, s1, 0
	s_mov_b64 s[8:9], 0
	v_bfe_u32 v4, v0, 10, 10
	s_branch .LBB108_3
.LBB108_2:
	s_mov_b64 s[8:9], -1
                                        ; implicit-def: $sgpr24_sgpr25
                                        ; implicit-def: $vgpr4
.LBB108_3:
	s_load_dwordx4 s[20:23], s[0:1], 0x30
	v_and_b32_e32 v0, 0x3ff, v0
	s_andn2_b64 vcc, exec, s[8:9]
	v_mov_b32_e32 v3, s7
	v_mov_b32_e32 v2, s7
	s_cbranch_vccnz .LBB108_11
; %bb.4:
	s_load_dword s3, s[0:1], 0x4c
	s_load_dword s5, s[0:1], 0x44
	s_load_dwordx8 s[8:15], s[0:1], 0x10
	s_add_u32 s24, s0, 64
	s_addc_u32 s25, s1, 0
	s_waitcnt lgkmcnt(0)
	s_and_b32 s0, s3, 0xffff
	v_mad_u32_u24 v2, v1, s0, v0
	v_and_b32_e32 v4, 63, v2
	v_lshlrev_b32_e32 v2, 3, v1
	v_mov_b32_e32 v3, 0
	v_mbcnt_lo_u32_b32 v6, -1, 0
	v_mov_b32_e32 v5, v3
	v_mbcnt_hi_u32_b32 v6, -1, v6
	s_lshl_b32 s26, s5, 3
	v_lshl_add_u64 v[10:11], v[2:3], 0, s[6:7]
	v_cmp_gt_u32_e64 s[0:1], 8, v4
	v_lshl_add_u32 v8, s2, 5, v0
	v_mov_b32_e32 v9, v3
	v_lshlrev_b32_e32 v6, 2, v6
	v_lshl_add_u64 v[4:5], v[10:11], 0, v[4:5]
	v_mul_lo_u32 v2, s19, v10
	v_mul_lo_u32 v20, s18, v11
	v_mad_u64_u32 v[10:11], s[30:31], s18, v10, 0
	s_mul_i32 s3, s19, s26
	s_mul_hi_u32 s5, s18, s26
	s_mov_b32 s27, 0
	v_and_b32_e32 v12, 0x100, v6
	v_add3_u32 v11, v11, v20, v2
	v_lshlrev_b64 v[8:9], 1, v[8:9]
	s_add_i32 s31, s5, s3
	s_mul_i32 s30, s18, s26
	v_or_b32_e32 v13, 4, v12
	v_or_b32_e32 v14, 8, v12
	;; [unrolled: 1-line block ×7, first 2 shown]
	v_lshlrev_b64 v[6:7], 2, v[4:5]
	s_lshl_b64 s[28:29], s[26:27], 2
	v_lshl_add_u64 v[8:9], v[10:11], 1, v[8:9]
	s_lshl_b64 s[30:31], s[30:31], 1
	s_lshl_b64 s[34:35], s[18:19], 1
	v_mov_b64_e32 v[10:11], s[16:17]
	v_mov_b32_e32 v2, v3
	s_branch .LBB108_7
.LBB108_5:                              ;   in Loop: Header=BB108_7 Depth=1
	s_or_b64 exec, exec, s[38:39]
.LBB108_6:                              ;   in Loop: Header=BB108_7 Depth=1
	s_or_b64 exec, exec, s[36:37]
	v_lshl_add_u64 v[24:25], s[10:11], 0, v[8:9]
	v_lshl_add_u64 v[22:23], s[8:9], 0, v[8:9]
	global_load_ushort v27, v[24:25], off
	v_lshl_add_u64 v[24:25], v[24:25], 0, s[34:35]
	global_load_ushort v26, v[22:23], off
	;; [unrolled: 2-line block ×11, first 2 shown]
	global_load_ushort v36, v[22:23], off
	v_lshl_add_u64 v[22:23], v[22:23], 0, s[34:35]
	v_lshl_add_u64 v[24:25], v[24:25], 0, s[34:35]
	global_load_ushort v38, v[22:23], off
	global_load_ushort v39, v[24:25], off
	v_lshl_add_u64 v[22:23], v[22:23], 0, s[34:35]
	v_lshl_add_u64 v[24:25], v[24:25], 0, s[34:35]
	global_load_ushort v40, v[22:23], off
	global_load_ushort v41, v[24:25], off
	s_waitcnt vmcnt(17)
	ds_bpermute_b32 v24, v12, v20
	ds_bpermute_b32 v42, v13, v20
	s_waitcnt vmcnt(16)
	ds_bpermute_b32 v23, v12, v21
	ds_bpermute_b32 v44, v14, v20
	;; [unrolled: 1-line block ×14, first 2 shown]
	s_add_u32 s6, s6, s26
	s_addc_u32 s7, s7, 0
	v_cmp_lt_i64_e32 vcc, s[6:7], v[10:11]
	v_lshl_add_u64 v[6:7], v[6:7], 0, s[28:29]
	v_lshl_add_u64 v[4:5], v[4:5], 0, s[26:27]
	;; [unrolled: 1-line block ×3, first 2 shown]
	s_and_b64 vcc, exec, vcc
	s_waitcnt vmcnt(15)
	v_lshlrev_b32_e32 v21, 16, v27
	s_waitcnt lgkmcnt(14)
	v_sub_f32_e32 v21, v21, v24
	s_waitcnt vmcnt(14)
	v_lshlrev_b32_e32 v20, 16, v26
	v_mul_f32_e32 v21, v21, v20
	s_waitcnt vmcnt(13)
	v_lshlrev_b32_e32 v26, 16, v29
	s_waitcnt lgkmcnt(13)
	v_mul_f32_e32 v21, v21, v23
	s_waitcnt vmcnt(12)
	v_lshlrev_b32_e32 v22, 16, v28
	v_sub_f32_e32 v28, v26, v42
	s_waitcnt vmcnt(11)
	v_lshlrev_b32_e32 v27, 16, v31
	v_mul_f32_e32 v23, v28, v22
	s_waitcnt vmcnt(10)
	v_lshlrev_b32_e32 v24, 16, v30
	s_waitcnt lgkmcnt(12)
	v_sub_f32_e32 v27, v27, v44
	s_waitcnt vmcnt(9)
	v_lshlrev_b32_e32 v29, 16, v33
	s_waitcnt lgkmcnt(11)
	v_mul_f32_e32 v23, v23, v25
	s_waitcnt vmcnt(8)
	v_lshlrev_b32_e32 v26, 16, v32
	v_mul_f32_e32 v25, v27, v24
	s_waitcnt vmcnt(7)
	v_lshlrev_b32_e32 v30, 16, v35
	s_waitcnt lgkmcnt(10)
	v_sub_f32_e32 v27, v29, v46
	v_pk_add_f32 v[2:3], v[2:3], v[20:21]
	s_waitcnt vmcnt(6)
	v_lshlrev_b32_e32 v28, 16, v34
	s_waitcnt vmcnt(5)
	v_lshlrev_b32_e32 v21, 16, v37
	s_waitcnt lgkmcnt(9)
	v_mul_f32_e32 v25, v25, v43
	v_mul_f32_e32 v27, v27, v26
	s_waitcnt lgkmcnt(6)
	v_sub_f32_e32 v29, v30, v48
	v_pk_add_f32 v[2:3], v[2:3], v[22:23]
	s_waitcnt vmcnt(4)
	v_lshlrev_b32_e32 v20, 16, v36
	v_mul_f32_e32 v27, v27, v45
	v_mul_f32_e32 v29, v29, v28
	s_waitcnt lgkmcnt(2)
	v_sub_f32_e32 v21, v21, v50
	v_pk_add_f32 v[2:3], v[2:3], v[24:25]
	s_waitcnt vmcnt(2)
	v_lshlrev_b32_e32 v23, 16, v39
	v_mul_f32_e32 v29, v29, v47
	v_mul_f32_e32 v21, v21, v20
	v_pk_add_f32 v[2:3], v[2:3], v[26:27]
	v_lshlrev_b32_e32 v22, 16, v38
	s_waitcnt vmcnt(0)
	v_lshlrev_b32_e32 v25, 16, v41
	s_waitcnt lgkmcnt(1)
	v_sub_f32_e32 v23, v23, v52
	v_mul_f32_e32 v21, v21, v49
	v_pk_add_f32 v[2:3], v[2:3], v[28:29]
	v_lshlrev_b32_e32 v24, 16, v40
	v_mul_f32_e32 v23, v23, v22
	v_pk_add_f32 v[2:3], v[2:3], v[20:21]
	s_waitcnt lgkmcnt(0)
	v_sub_f32_e32 v20, v25, v54
	v_mul_f32_e32 v23, v23, v51
	v_mul_f32_e32 v20, v20, v24
	v_pk_add_f32 v[2:3], v[2:3], v[22:23]
	v_mul_f32_e32 v25, v20, v53
	v_pk_add_f32 v[2:3], v[2:3], v[24:25]
	s_cbranch_vccz .LBB108_10
.LBB108_7:                              ; =>This Inner Loop Header: Depth=1
	v_mov_b32_e32 v21, 0
	v_mov_b32_e32 v20, 0
	s_and_saveexec_b64 s[36:37], s[0:1]
	s_cbranch_execz .LBB108_6
; %bb.8:                                ;   in Loop: Header=BB108_7 Depth=1
	v_cmp_gt_i64_e32 vcc, s[16:17], v[4:5]
	v_mov_b32_e32 v20, 0
	v_mov_b32_e32 v21, 0
	s_and_saveexec_b64 s[38:39], vcc
	s_cbranch_execz .LBB108_5
; %bb.9:                                ;   in Loop: Header=BB108_7 Depth=1
	v_lshl_add_u64 v[24:25], s[12:13], 0, v[6:7]
	v_lshl_add_u64 v[22:23], s[14:15], 0, v[6:7]
	global_load_dword v20, v[24:25], off
	global_load_dword v21, v[22:23], off
	s_branch .LBB108_5
.LBB108_10:
	v_mov_b32_e32 v4, v1
.LBB108_11:
	s_load_dword s5, s[24:25], 0xc
	s_mov_b32 s3, 0
	v_mov_b32_e32 v1, 0
	s_lshl_b64 s[0:1], s[2:3], 5
	v_lshl_add_u64 v[6:7], s[0:1], 0, v[0:1]
	s_waitcnt lgkmcnt(0)
	s_lshr_b32 s0, s5, 16
	v_mov_b32_e32 v5, v1
	v_mov_b32_e32 v0, s4
	v_mad_u64_u32 v[0:1], s[0:1], s0, v0, v[4:5]
	s_cmp_eq_u64 s[20:21], 0
	v_mul_lo_u32 v1, v1, s18
	v_mul_lo_u32 v4, v0, s19
	s_cbranch_scc1 .LBB108_13
; %bb.12:
	v_bfe_u32 v5, v3, 16, 1
	s_movk_i32 s0, 0x7fff
	v_add3_u32 v5, v3, v5, s0
	v_lshrrev_b32_e32 v5, 16, v5
	v_mov_b32_e32 v8, 0x7fc0
	v_cmp_o_f32_e32 vcc, v3, v3
	s_nop 1
	v_cndmask_b32_e32 v3, v8, v5, vcc
	v_mad_u64_u32 v[8:9], s[0:1], v0, s18, 0
	v_add3_u32 v9, v9, v4, v1
	v_lshl_add_u64 v[8:9], v[8:9], 1, s[20:21]
	v_lshl_add_u64 v[8:9], v[6:7], 1, v[8:9]
	global_store_short v[8:9], v3, off
.LBB108_13:
	s_cmp_eq_u64 s[22:23], 0
	s_cbranch_scc1 .LBB108_15
; %bb.14:
	v_bfe_u32 v3, v2, 16, 1
	s_movk_i32 s0, 0x7fff
	v_add3_u32 v3, v2, v3, s0
	v_lshrrev_b32_e32 v3, 16, v3
	v_mov_b32_e32 v5, 0x7fc0
	v_cmp_o_f32_e32 vcc, v2, v2
	s_nop 1
	v_cndmask_b32_e32 v5, v5, v3, vcc
	v_mad_u64_u32 v[2:3], s[0:1], v0, s18, 0
	v_add3_u32 v3, v3, v4, v1
	v_lshl_add_u64 v[0:1], v[2:3], 1, s[22:23]
	v_lshl_add_u64 v[0:1], v[6:7], 1, v[0:1]
	global_store_short v[0:1], v5, off
.LBB108_15:
	s_endpgm
	.section	.rodata,"a",@progbits
	.p2align	6, 0x0
	.amdhsa_kernel _ZN2at6native12_GLOBAL__N_135GammaBetaBackwardCUDAKernelTemplateIN3c108BFloat16EfLj32ELj1ELj8ELb1ELb1ELb0EEEvllPKT_S7_PKT0_SA_PS5_SB_
		.amdhsa_group_segment_fixed_size 0
		.amdhsa_private_segment_fixed_size 0
		.amdhsa_kernarg_size 320
		.amdhsa_user_sgpr_count 2
		.amdhsa_user_sgpr_dispatch_ptr 0
		.amdhsa_user_sgpr_queue_ptr 0
		.amdhsa_user_sgpr_kernarg_segment_ptr 1
		.amdhsa_user_sgpr_dispatch_id 0
		.amdhsa_user_sgpr_kernarg_preload_length 0
		.amdhsa_user_sgpr_kernarg_preload_offset 0
		.amdhsa_user_sgpr_private_segment_size 0
		.amdhsa_uses_dynamic_stack 0
		.amdhsa_enable_private_segment 0
		.amdhsa_system_sgpr_workgroup_id_x 1
		.amdhsa_system_sgpr_workgroup_id_y 1
		.amdhsa_system_sgpr_workgroup_id_z 0
		.amdhsa_system_sgpr_workgroup_info 0
		.amdhsa_system_vgpr_workitem_id 1
		.amdhsa_next_free_vgpr 55
		.amdhsa_next_free_sgpr 40
		.amdhsa_accum_offset 56
		.amdhsa_reserve_vcc 1
		.amdhsa_float_round_mode_32 0
		.amdhsa_float_round_mode_16_64 0
		.amdhsa_float_denorm_mode_32 3
		.amdhsa_float_denorm_mode_16_64 3
		.amdhsa_dx10_clamp 1
		.amdhsa_ieee_mode 1
		.amdhsa_fp16_overflow 0
		.amdhsa_tg_split 0
		.amdhsa_exception_fp_ieee_invalid_op 0
		.amdhsa_exception_fp_denorm_src 0
		.amdhsa_exception_fp_ieee_div_zero 0
		.amdhsa_exception_fp_ieee_overflow 0
		.amdhsa_exception_fp_ieee_underflow 0
		.amdhsa_exception_fp_ieee_inexact 0
		.amdhsa_exception_int_div_zero 0
	.end_amdhsa_kernel
	.section	.text._ZN2at6native12_GLOBAL__N_135GammaBetaBackwardCUDAKernelTemplateIN3c108BFloat16EfLj32ELj1ELj8ELb1ELb1ELb0EEEvllPKT_S7_PKT0_SA_PS5_SB_,"axG",@progbits,_ZN2at6native12_GLOBAL__N_135GammaBetaBackwardCUDAKernelTemplateIN3c108BFloat16EfLj32ELj1ELj8ELb1ELb1ELb0EEEvllPKT_S7_PKT0_SA_PS5_SB_,comdat
.Lfunc_end108:
	.size	_ZN2at6native12_GLOBAL__N_135GammaBetaBackwardCUDAKernelTemplateIN3c108BFloat16EfLj32ELj1ELj8ELb1ELb1ELb0EEEvllPKT_S7_PKT0_SA_PS5_SB_, .Lfunc_end108-_ZN2at6native12_GLOBAL__N_135GammaBetaBackwardCUDAKernelTemplateIN3c108BFloat16EfLj32ELj1ELj8ELb1ELb1ELb0EEEvllPKT_S7_PKT0_SA_PS5_SB_
                                        ; -- End function
	.section	.AMDGPU.csdata,"",@progbits
; Kernel info:
; codeLenInByte = 1464
; NumSgprs: 46
; NumVgprs: 55
; NumAgprs: 0
; TotalNumVgprs: 55
; ScratchSize: 0
; MemoryBound: 0
; FloatMode: 240
; IeeeMode: 1
; LDSByteSize: 0 bytes/workgroup (compile time only)
; SGPRBlocks: 5
; VGPRBlocks: 6
; NumSGPRsForWavesPerEU: 46
; NumVGPRsForWavesPerEU: 55
; AccumOffset: 56
; Occupancy: 8
; WaveLimiterHint : 0
; COMPUTE_PGM_RSRC2:SCRATCH_EN: 0
; COMPUTE_PGM_RSRC2:USER_SGPR: 2
; COMPUTE_PGM_RSRC2:TRAP_HANDLER: 0
; COMPUTE_PGM_RSRC2:TGID_X_EN: 1
; COMPUTE_PGM_RSRC2:TGID_Y_EN: 1
; COMPUTE_PGM_RSRC2:TGID_Z_EN: 0
; COMPUTE_PGM_RSRC2:TIDIG_COMP_CNT: 1
; COMPUTE_PGM_RSRC3_GFX90A:ACCUM_OFFSET: 13
; COMPUTE_PGM_RSRC3_GFX90A:TG_SPLIT: 0
	.section	.text._ZN2at6native12_GLOBAL__N_135GammaBetaBackwardCUDAKernelTemplateIN3c108BFloat16EfLj32ELj1ELj8ELb1ELb0ELb0EEEvllPKT_S7_PKT0_SA_PS5_SB_,"axG",@progbits,_ZN2at6native12_GLOBAL__N_135GammaBetaBackwardCUDAKernelTemplateIN3c108BFloat16EfLj32ELj1ELj8ELb1ELb0ELb0EEEvllPKT_S7_PKT0_SA_PS5_SB_,comdat
	.globl	_ZN2at6native12_GLOBAL__N_135GammaBetaBackwardCUDAKernelTemplateIN3c108BFloat16EfLj32ELj1ELj8ELb1ELb0ELb0EEEvllPKT_S7_PKT0_SA_PS5_SB_ ; -- Begin function _ZN2at6native12_GLOBAL__N_135GammaBetaBackwardCUDAKernelTemplateIN3c108BFloat16EfLj32ELj1ELj8ELb1ELb0ELb0EEEvllPKT_S7_PKT0_SA_PS5_SB_
	.p2align	8
	.type	_ZN2at6native12_GLOBAL__N_135GammaBetaBackwardCUDAKernelTemplateIN3c108BFloat16EfLj32ELj1ELj8ELb1ELb0ELb0EEEvllPKT_S7_PKT0_SA_PS5_SB_,@function
_ZN2at6native12_GLOBAL__N_135GammaBetaBackwardCUDAKernelTemplateIN3c108BFloat16EfLj32ELj1ELj8ELb1ELb0ELb0EEEvllPKT_S7_PKT0_SA_PS5_SB_: ; @_ZN2at6native12_GLOBAL__N_135GammaBetaBackwardCUDAKernelTemplateIN3c108BFloat16EfLj32ELj1ELj8ELb1ELb0ELb0EEEvllPKT_S7_PKT0_SA_PS5_SB_
; %bb.0:
	s_load_dwordx8 s[12:19], s[0:1], 0x0
	s_load_dwordx4 s[28:31], s[0:1], 0x20
	s_mov_b32 s8, s3
	s_lshl_b32 s3, s2, 5
	s_mov_b32 s20, 0
	s_or_b32 s4, s3, 31
	s_mov_b32 s5, s20
	s_waitcnt lgkmcnt(0)
	v_mov_b64_e32 v[2:3], s[14:15]
	v_cmp_ge_i64_e32 vcc, s[4:5], v[2:3]
	s_lshl_b32 s10, s8, 3
	s_mov_b32 s11, s20
	v_mov_b64_e32 v[2:3], s[12:13]
	v_cmp_lt_i64_e64 s[4:5], s[10:11], v[2:3]
	s_nop 1
	v_cndmask_b32_e64 v1, 0, 1, s[4:5]
	v_cmp_ne_u32_e64 s[4:5], 1, v1
	s_cbranch_vccz .LBB109_48
; %bb.1:
	v_mov_b32_e32 v29, 0
	s_and_b64 vcc, exec, s[4:5]
	v_mov_b32_e32 v28, v29
	s_cbranch_vccnz .LBB109_49
; %bb.2:
	v_mov_b32_e32 v3, 0
	v_bfe_u32 v66, v0, 10, 10
	s_load_dword s9, s[0:1], 0x44
	v_lshlrev_b32_e32 v26, 3, v66
	v_mov_b32_e32 v27, v3
	v_and_b32_e32 v1, 0x3ff, v0
	v_lshl_add_u64 v[4:5], v[26:27], 0, s[10:11]
	v_add_u32_e32 v2, s3, v1
	v_lshl_add_u64 v[6:7], v[4:5], 0, 7
	s_add_u32 s34, s0, 64
	v_cmp_gt_i64_e64 s[6:7], s[14:15], v[2:3]
	v_lshlrev_b64 v[30:31], 1, v[2:3]
	v_mul_lo_u32 v2, s15, v6
	v_mul_lo_u32 v8, s14, v7
	v_mad_u64_u32 v[6:7], s[22:23], s14, v6, 0
	s_addc_u32 s35, s1, 0
	s_waitcnt lgkmcnt(0)
	s_lshl_b32 s36, s9, 3
	v_add3_u32 v7, v7, v8, v2
	v_lshlrev_b64 v[6:7], 1, v[6:7]
	s_mul_i32 s9, s15, s36
	s_mul_hi_u32 s21, s14, s36
	v_lshl_add_u64 v[32:33], s[16:17], 0, v[6:7]
	s_add_i32 s23, s21, s9
	s_mul_i32 s22, s14, s36
	v_lshl_add_u64 v[34:35], s[18:19], 0, v[6:7]
	v_lshl_add_u64 v[6:7], v[4:5], 0, 6
	s_lshl_b64 s[40:41], s[22:23], 1
	v_mul_lo_u32 v2, s15, v6
	v_mul_lo_u32 v8, s14, v7
	v_mad_u64_u32 v[6:7], s[22:23], s14, v6, 0
	v_add3_u32 v7, v7, v8, v2
	v_lshlrev_b64 v[6:7], 1, v[6:7]
	v_lshl_add_u64 v[36:37], s[16:17], 0, v[6:7]
	v_lshl_add_u64 v[38:39], s[18:19], 0, v[6:7]
	v_lshl_add_u64 v[6:7], v[4:5], 0, 5
	v_mul_lo_u32 v2, s15, v6
	v_mul_lo_u32 v8, s14, v7
	v_mad_u64_u32 v[6:7], s[22:23], s14, v6, 0
	v_add3_u32 v7, v7, v8, v2
	v_lshlrev_b64 v[6:7], 1, v[6:7]
	v_lshl_add_u64 v[40:41], s[16:17], 0, v[6:7]
	v_lshl_add_u64 v[42:43], s[18:19], 0, v[6:7]
	v_lshl_add_u64 v[6:7], v[4:5], 0, 4
	;; [unrolled: 8-line block ×4, first 2 shown]
	v_mul_lo_u32 v2, s15, v6
	v_mul_lo_u32 v8, s14, v7
	v_mad_u64_u32 v[6:7], s[22:23], s14, v6, 0
	v_add3_u32 v7, v7, v8, v2
	v_lshlrev_b64 v[6:7], 1, v[6:7]
	v_lshl_add_u64 v[52:53], s[16:17], 0, v[6:7]
	v_lshl_add_u64 v[54:55], s[18:19], 0, v[6:7]
	v_mov_b64_e32 v[6:7], s[14:15]
	v_mad_u64_u32 v[6:7], s[22:23], s14, v4, v[6:7]
	v_mul_lo_u32 v2, s14, v5
	v_mul_lo_u32 v8, s15, v4
	v_mad_u64_u32 v[4:5], s[22:23], s14, v4, 0
	v_add3_u32 v7, v8, v7, v2
	v_add3_u32 v5, v5, v2, v8
	v_mbcnt_lo_u32_b32 v2, -1, 0
	v_mbcnt_hi_u32_b32 v2, -1, v2
	v_lshlrev_b64 v[6:7], 1, v[6:7]
	v_lshlrev_b64 v[4:5], 1, v[4:5]
	v_lshlrev_b32_e32 v2, 2, v2
	s_mov_b32 s37, s20
	s_mov_b64 s[38:39], 7
	v_lshl_add_u64 v[56:57], s[16:17], 0, v[6:7]
	v_lshl_add_u64 v[58:59], s[18:19], 0, v[6:7]
	;; [unrolled: 1-line block ×4, first 2 shown]
	v_and_b32_e32 v67, 0x100, v2
	s_mov_b64 s[42:43], s[10:11]
	v_mov_b32_e32 v28, v3
	v_mov_b32_e32 v29, v3
	s_branch .LBB109_5
.LBB109_3:                              ;   in Loop: Header=BB109_5 Depth=1
	s_or_b64 exec, exec, s[22:23]
	s_waitcnt vmcnt(1)
	ds_bpermute_b32 v2, v67, v69
	ds_bpermute_b32 v4, v67, v69 offset:4
	s_waitcnt vmcnt(0)
	ds_bpermute_b32 v5, v67, v68
	ds_bpermute_b32 v6, v67, v68 offset:4
	ds_bpermute_b32 v8, v67, v68 offset:12
	s_waitcnt lgkmcnt(4)
	v_sub_f32_e32 v2, v10, v2
	v_mul_f32_e32 v2, v18, v2
	s_waitcnt lgkmcnt(3)
	v_sub_f32_e32 v4, v11, v4
	s_waitcnt lgkmcnt(2)
	v_mul_f32_e32 v5, v2, v5
	ds_bpermute_b32 v2, v67, v69 offset:8
	v_mul_f32_e32 v4, v19, v4
	s_waitcnt lgkmcnt(2)
	v_mul_f32_e32 v7, v4, v6
	ds_bpermute_b32 v4, v67, v68 offset:8
	ds_bpermute_b32 v6, v67, v69 offset:12
	s_waitcnt lgkmcnt(2)
	v_sub_f32_e32 v2, v12, v2
	v_mul_f32_e32 v2, v20, v2
	v_mov_b32_e32 v10, v21
	s_waitcnt lgkmcnt(1)
	v_mul_f32_e32 v9, v2, v4
	s_waitcnt lgkmcnt(0)
	v_sub_f32_e32 v2, v13, v6
	ds_bpermute_b32 v4, v67, v69 offset:16
	v_mul_f32_e32 v2, v21, v2
	v_mul_f32_e32 v11, v2, v8
	ds_bpermute_b32 v2, v67, v68 offset:16
	ds_bpermute_b32 v6, v67, v69 offset:20
	;; [unrolled: 1-line block ×3, first 2 shown]
	s_waitcnt lgkmcnt(3)
	v_sub_f32_e32 v4, v14, v4
	v_mul_f32_e32 v4, v22, v4
	s_waitcnt lgkmcnt(2)
	v_mul_f32_e32 v13, v4, v2
	s_waitcnt lgkmcnt(1)
	v_sub_f32_e32 v2, v15, v6
	v_mul_f32_e32 v2, v23, v2
	s_waitcnt lgkmcnt(0)
	v_mul_f32_e32 v15, v2, v8
	v_mov_b32_e32 v4, v18
	ds_bpermute_b32 v2, v67, v69 offset:24
	v_pk_add_f32 v[4:5], v[28:29], v[4:5]
	v_mov_b32_e32 v6, v19
	v_pk_add_f32 v[4:5], v[6:7], v[4:5]
	ds_bpermute_b32 v7, v67, v68 offset:24
	v_mov_b32_e32 v8, v20
	v_pk_add_f32 v[4:5], v[8:9], v[4:5]
	v_mov_b32_e32 v12, v22
	v_pk_add_f32 v[4:5], v[10:11], v[4:5]
	s_waitcnt lgkmcnt(1)
	v_sub_f32_e32 v8, v16, v2
	v_pk_add_f32 v[4:5], v[12:13], v[4:5]
	v_mov_b32_e32 v14, v23
	v_mul_f32_e32 v8, v24, v8
	v_pk_add_f32 v[4:5], v[14:15], v[4:5]
	s_waitcnt lgkmcnt(0)
	v_mul_f32_e32 v9, v8, v7
	v_mov_b32_e32 v8, v24
	ds_bpermute_b32 v2, v67, v68 offset:28
	ds_bpermute_b32 v6, v67, v69 offset:28
	v_pk_add_f32 v[4:5], v[8:9], v[4:5]
.LBB109_4:                              ;   in Loop: Header=BB109_5 Depth=1
	s_waitcnt lgkmcnt(0)
	v_sub_f32_e32 v6, v17, v6
	v_mul_f32_e32 v6, v25, v6
	v_mul_f32_e32 v7, v6, v2
	v_mov_b32_e32 v6, v25
	s_add_u32 s42, s42, s36
	v_pk_add_f32 v[28:29], v[4:5], v[6:7]
	s_addc_u32 s43, s43, 0
	v_mov_b64_e32 v[4:5], s[12:13]
	s_add_u32 s38, s38, s36
	v_cmp_lt_i64_e32 vcc, s[42:43], v[4:5]
	v_lshl_add_u64 v[32:33], v[32:33], 0, s[40:41]
	v_lshl_add_u64 v[34:35], v[34:35], 0, s[40:41]
	;; [unrolled: 1-line block ×17, first 2 shown]
	s_addc_u32 s39, s39, 0
	s_cbranch_vccz .LBB109_49
.LBB109_5:                              ; =>This Inner Loop Header: Depth=1
	s_add_u32 s22, s10, s38
	s_addc_u32 s23, 0, s39
	v_mov_b64_e32 v[4:5], s[12:13]
	v_cmp_ge_i64_e32 vcc, s[22:23], v[4:5]
	v_lshl_add_u64 v[64:65], s[10:11], 0, v[26:27]
	s_cbranch_vccz .LBB109_27
; %bb.6:                                ;   in Loop: Header=BB109_5 Depth=1
	s_load_dword s9, s[34:35], 0xc
	v_mov_b32_e32 v68, 0
	v_mov_b32_e32 v69, 0
	s_waitcnt lgkmcnt(0)
	s_and_b32 s9, s9, 0xffff
	v_mad_u32_u24 v2, v66, s9, v1
	v_and_b32_e32 v2, 63, v2
	v_cmp_gt_u32_e32 vcc, 8, v2
	s_and_saveexec_b64 s[22:23], vcc
	s_cbranch_execz .LBB109_10
; %bb.7:                                ;   in Loop: Header=BB109_5 Depth=1
	v_lshl_add_u64 v[4:5], v[64:65], 0, v[2:3]
	v_cmp_gt_i64_e32 vcc, s[12:13], v[4:5]
	v_mov_b32_e32 v69, 0
	v_mov_b32_e32 v68, 0
	s_and_saveexec_b64 s[24:25], vcc
	s_cbranch_execz .LBB109_9
; %bb.8:                                ;   in Loop: Header=BB109_5 Depth=1
	v_lshlrev_b64 v[4:5], 2, v[4:5]
	v_lshl_add_u64 v[6:7], s[30:31], 0, v[4:5]
	v_lshl_add_u64 v[4:5], s[28:29], 0, v[4:5]
	global_load_dword v69, v[4:5], off
	global_load_dword v68, v[6:7], off
.LBB109_9:                              ;   in Loop: Header=BB109_5 Depth=1
	s_or_b64 exec, exec, s[24:25]
.LBB109_10:                             ;   in Loop: Header=BB109_5 Depth=1
	s_or_b64 exec, exec, s[22:23]
	s_mov_b32 s21, s20
	s_mov_b32 s22, s20
	;; [unrolled: 1-line block ×7, first 2 shown]
	v_mov_b64_e32 v[10:11], s[20:21]
	v_mov_b64_e32 v[16:17], s[26:27]
	v_cmp_gt_i64_e32 vcc, s[12:13], v[64:65]
	v_mov_b64_e32 v[12:13], s[22:23]
	v_mov_b64_e32 v[14:15], s[24:25]
	;; [unrolled: 1-line block ×3, first 2 shown]
	s_and_b64 s[44:45], s[6:7], vcc
	v_mov_b64_e32 v[22:23], v[14:15]
	v_mov_b64_e32 v[20:21], v[12:13]
	;; [unrolled: 1-line block ×3, first 2 shown]
	s_and_saveexec_b64 s[22:23], s[44:45]
	s_cbranch_execz .LBB109_12
; %bb.11:                               ;   in Loop: Header=BB109_5 Depth=1
	v_lshl_add_u64 v[4:5], v[60:61], 0, v[30:31]
	global_load_ushort v2, v[4:5], off
	v_lshl_add_u64 v[4:5], v[62:63], 0, v[30:31]
	global_load_ushort v10, v[4:5], off
	v_mov_b32_e32 v8, v3
	v_mov_b32_e32 v9, v3
	;; [unrolled: 1-line block ×13, first 2 shown]
	s_waitcnt vmcnt(1)
	v_lshlrev_b32_e32 v2, 16, v2
	v_mov_b64_e32 v[24:25], v[8:9]
	s_waitcnt vmcnt(0)
	v_lshlrev_b32_e32 v10, 16, v10
	v_mov_b64_e32 v[22:23], v[6:7]
	v_mov_b64_e32 v[20:21], v[4:5]
	;; [unrolled: 1-line block ×3, first 2 shown]
.LBB109_12:                             ;   in Loop: Header=BB109_5 Depth=1
	s_or_b64 exec, exec, s[22:23]
	v_lshl_add_u64 v[4:5], v[64:65], 0, 1
	v_cmp_gt_i64_e32 vcc, s[12:13], v[4:5]
	s_and_b64 s[24:25], s[6:7], vcc
	s_and_saveexec_b64 s[22:23], s[24:25]
	s_cbranch_execz .LBB109_14
; %bb.13:                               ;   in Loop: Header=BB109_5 Depth=1
	v_lshl_add_u64 v[4:5], v[56:57], 0, v[30:31]
	global_load_ushort v2, v[4:5], off
	v_lshl_add_u64 v[4:5], v[58:59], 0, v[30:31]
	global_load_ushort v4, v[4:5], off
	s_waitcnt vmcnt(1)
	v_lshlrev_b32_e32 v19, 16, v2
	s_waitcnt vmcnt(0)
	v_lshlrev_b32_e32 v11, 16, v4
.LBB109_14:                             ;   in Loop: Header=BB109_5 Depth=1
	s_or_b64 exec, exec, s[22:23]
	v_lshl_add_u64 v[4:5], v[64:65], 0, 2
	v_cmp_gt_i64_e32 vcc, s[12:13], v[4:5]
	s_and_b64 s[24:25], s[6:7], vcc
	s_and_saveexec_b64 s[22:23], s[24:25]
	s_cbranch_execz .LBB109_16
; %bb.15:                               ;   in Loop: Header=BB109_5 Depth=1
	v_lshl_add_u64 v[4:5], v[52:53], 0, v[30:31]
	global_load_ushort v2, v[4:5], off
	v_lshl_add_u64 v[4:5], v[54:55], 0, v[30:31]
	global_load_ushort v4, v[4:5], off
	s_waitcnt vmcnt(1)
	v_lshlrev_b32_e32 v20, 16, v2
	s_waitcnt vmcnt(0)
	v_lshlrev_b32_e32 v12, 16, v4
.LBB109_16:                             ;   in Loop: Header=BB109_5 Depth=1
	s_or_b64 exec, exec, s[22:23]
	v_lshl_add_u64 v[4:5], v[64:65], 0, 3
	v_cmp_gt_i64_e32 vcc, s[12:13], v[4:5]
	s_and_b64 s[24:25], s[6:7], vcc
	s_and_saveexec_b64 s[22:23], s[24:25]
	s_cbranch_execz .LBB109_18
; %bb.17:                               ;   in Loop: Header=BB109_5 Depth=1
	v_lshl_add_u64 v[4:5], v[48:49], 0, v[30:31]
	global_load_ushort v2, v[4:5], off
	v_lshl_add_u64 v[4:5], v[50:51], 0, v[30:31]
	global_load_ushort v4, v[4:5], off
	s_waitcnt vmcnt(1)
	v_lshlrev_b32_e32 v21, 16, v2
	s_waitcnt vmcnt(0)
	v_lshlrev_b32_e32 v13, 16, v4
.LBB109_18:                             ;   in Loop: Header=BB109_5 Depth=1
	s_or_b64 exec, exec, s[22:23]
	v_lshl_add_u64 v[4:5], v[64:65], 0, 4
	v_cmp_gt_i64_e32 vcc, s[12:13], v[4:5]
	s_and_b64 s[24:25], s[6:7], vcc
	s_and_saveexec_b64 s[22:23], s[24:25]
	s_cbranch_execz .LBB109_20
; %bb.19:                               ;   in Loop: Header=BB109_5 Depth=1
	v_lshl_add_u64 v[4:5], v[44:45], 0, v[30:31]
	global_load_ushort v2, v[4:5], off
	v_lshl_add_u64 v[4:5], v[46:47], 0, v[30:31]
	global_load_ushort v4, v[4:5], off
	s_waitcnt vmcnt(1)
	v_lshlrev_b32_e32 v22, 16, v2
	s_waitcnt vmcnt(0)
	v_lshlrev_b32_e32 v14, 16, v4
.LBB109_20:                             ;   in Loop: Header=BB109_5 Depth=1
	s_or_b64 exec, exec, s[22:23]
	v_lshl_add_u64 v[4:5], v[64:65], 0, 5
	v_cmp_gt_i64_e32 vcc, s[12:13], v[4:5]
	s_and_b64 s[24:25], s[6:7], vcc
	s_and_saveexec_b64 s[22:23], s[24:25]
	s_cbranch_execz .LBB109_22
; %bb.21:                               ;   in Loop: Header=BB109_5 Depth=1
	v_lshl_add_u64 v[4:5], v[40:41], 0, v[30:31]
	global_load_ushort v2, v[4:5], off
	v_lshl_add_u64 v[4:5], v[42:43], 0, v[30:31]
	global_load_ushort v4, v[4:5], off
	s_waitcnt vmcnt(1)
	v_lshlrev_b32_e32 v23, 16, v2
	s_waitcnt vmcnt(0)
	v_lshlrev_b32_e32 v15, 16, v4
.LBB109_22:                             ;   in Loop: Header=BB109_5 Depth=1
	s_or_b64 exec, exec, s[22:23]
	v_lshl_add_u64 v[4:5], v[64:65], 0, 6
	v_cmp_gt_i64_e32 vcc, s[12:13], v[4:5]
	s_and_b64 s[24:25], s[6:7], vcc
	s_and_saveexec_b64 s[22:23], s[24:25]
	s_cbranch_execz .LBB109_24
; %bb.23:                               ;   in Loop: Header=BB109_5 Depth=1
	v_lshl_add_u64 v[4:5], v[36:37], 0, v[30:31]
	global_load_ushort v2, v[4:5], off
	v_lshl_add_u64 v[4:5], v[38:39], 0, v[30:31]
	global_load_ushort v4, v[4:5], off
	s_waitcnt vmcnt(1)
	v_lshlrev_b32_e32 v24, 16, v2
	s_waitcnt vmcnt(0)
	v_lshlrev_b32_e32 v16, 16, v4
.LBB109_24:                             ;   in Loop: Header=BB109_5 Depth=1
	s_or_b64 exec, exec, s[22:23]
	v_lshl_add_u64 v[4:5], v[64:65], 0, 7
	v_cmp_gt_i64_e32 vcc, s[12:13], v[4:5]
	s_and_b64 s[24:25], s[6:7], vcc
	s_and_saveexec_b64 s[22:23], s[24:25]
	s_cbranch_execz .LBB109_26
; %bb.25:                               ;   in Loop: Header=BB109_5 Depth=1
	v_lshl_add_u64 v[4:5], v[32:33], 0, v[30:31]
	global_load_ushort v2, v[4:5], off
	v_lshl_add_u64 v[4:5], v[34:35], 0, v[30:31]
	global_load_ushort v4, v[4:5], off
	s_waitcnt vmcnt(1)
	v_lshlrev_b32_e32 v25, 16, v2
	s_waitcnt vmcnt(0)
	v_lshlrev_b32_e32 v17, 16, v4
.LBB109_26:                             ;   in Loop: Header=BB109_5 Depth=1
	s_or_b64 exec, exec, s[22:23]
	s_waitcnt vmcnt(1)
	ds_bpermute_b32 v2, v67, v69
	ds_bpermute_b32 v4, v67, v69 offset:4
	s_waitcnt vmcnt(0)
	ds_bpermute_b32 v5, v67, v68
	ds_bpermute_b32 v6, v67, v68 offset:4
	ds_bpermute_b32 v8, v67, v68 offset:12
	s_waitcnt lgkmcnt(4)
	v_sub_f32_e32 v2, v10, v2
	v_mul_f32_e32 v2, v18, v2
	s_waitcnt lgkmcnt(3)
	v_sub_f32_e32 v4, v11, v4
	s_waitcnt lgkmcnt(2)
	v_mul_f32_e32 v5, v2, v5
	ds_bpermute_b32 v2, v67, v69 offset:8
	v_mul_f32_e32 v4, v19, v4
	s_waitcnt lgkmcnt(2)
	v_mul_f32_e32 v7, v4, v6
	ds_bpermute_b32 v4, v67, v68 offset:8
	ds_bpermute_b32 v6, v67, v69 offset:12
	s_waitcnt lgkmcnt(2)
	v_sub_f32_e32 v2, v12, v2
	v_mul_f32_e32 v2, v20, v2
	v_mov_b32_e32 v10, v21
	s_waitcnt lgkmcnt(1)
	v_mul_f32_e32 v9, v2, v4
	s_waitcnt lgkmcnt(0)
	v_sub_f32_e32 v2, v13, v6
	ds_bpermute_b32 v4, v67, v69 offset:16
	v_mul_f32_e32 v2, v21, v2
	v_mul_f32_e32 v11, v2, v8
	ds_bpermute_b32 v2, v67, v68 offset:16
	ds_bpermute_b32 v6, v67, v69 offset:20
	;; [unrolled: 1-line block ×3, first 2 shown]
	s_waitcnt lgkmcnt(3)
	v_sub_f32_e32 v4, v14, v4
	v_mul_f32_e32 v4, v22, v4
	s_waitcnt lgkmcnt(2)
	v_mul_f32_e32 v13, v4, v2
	s_waitcnt lgkmcnt(1)
	v_sub_f32_e32 v2, v15, v6
	v_mul_f32_e32 v2, v23, v2
	s_waitcnt lgkmcnt(0)
	v_mul_f32_e32 v15, v2, v8
	ds_bpermute_b32 v2, v67, v69 offset:24
	v_mov_b32_e32 v4, v18
	v_pk_add_f32 v[4:5], v[28:29], v[4:5]
	v_mov_b32_e32 v6, v19
	v_pk_add_f32 v[4:5], v[6:7], v[4:5]
	ds_bpermute_b32 v7, v67, v68 offset:24
	v_mov_b32_e32 v8, v20
	s_waitcnt lgkmcnt(1)
	v_sub_f32_e32 v2, v16, v2
	v_pk_add_f32 v[4:5], v[8:9], v[4:5]
	v_mul_f32_e32 v8, v24, v2
	ds_bpermute_b32 v2, v67, v68 offset:28
	ds_bpermute_b32 v6, v67, v69 offset:28
	v_pk_add_f32 v[4:5], v[10:11], v[4:5]
	v_mov_b32_e32 v12, v22
	v_pk_add_f32 v[4:5], v[12:13], v[4:5]
	v_mov_b32_e32 v14, v23
	v_pk_add_f32 v[4:5], v[14:15], v[4:5]
	s_waitcnt lgkmcnt(2)
	v_mul_f32_e32 v9, v8, v7
	v_mov_b32_e32 v8, v24
	v_pk_add_f32 v[4:5], v[8:9], v[4:5]
	s_branch .LBB109_4
.LBB109_27:                             ;   in Loop: Header=BB109_5 Depth=1
                                        ; implicit-def: $vgpr4_vgpr5
                                        ; implicit-def: $vgpr2
                                        ; implicit-def: $vgpr10_vgpr11_vgpr12_vgpr13_vgpr14_vgpr15_vgpr16_vgpr17
                                        ; implicit-def: $vgpr18_vgpr19_vgpr20_vgpr21_vgpr22_vgpr23_vgpr24_vgpr25
                                        ; implicit-def: $vgpr6
	s_cbranch_execz .LBB109_4
; %bb.28:                               ;   in Loop: Header=BB109_5 Depth=1
	s_load_dword s9, s[34:35], 0x0
	v_mov_b32_e32 v68, 0
	v_mov_b32_e32 v69, 0
	s_waitcnt lgkmcnt(0)
	s_cmp_lt_u32 s2, s9
	s_cselect_b32 s9, 12, 18
	s_add_u32 s22, s34, s9
	s_addc_u32 s23, s35, 0
	global_load_ushort v2, v3, s[22:23]
	s_waitcnt vmcnt(0)
	v_mad_u32_u24 v2, v66, v2, v1
	v_and_b32_e32 v2, 63, v2
	v_cmp_gt_u32_e32 vcc, 8, v2
	s_and_saveexec_b64 s[22:23], vcc
	s_cbranch_execz .LBB109_32
; %bb.29:                               ;   in Loop: Header=BB109_5 Depth=1
	v_lshl_add_u64 v[4:5], v[64:65], 0, v[2:3]
	v_cmp_gt_i64_e32 vcc, s[12:13], v[4:5]
	v_mov_b32_e32 v69, 0
	v_mov_b32_e32 v68, 0
	s_and_saveexec_b64 s[24:25], vcc
	s_cbranch_execz .LBB109_31
; %bb.30:                               ;   in Loop: Header=BB109_5 Depth=1
	v_lshlrev_b64 v[4:5], 2, v[4:5]
	v_lshl_add_u64 v[6:7], s[30:31], 0, v[4:5]
	v_lshl_add_u64 v[4:5], s[28:29], 0, v[4:5]
	global_load_dword v69, v[4:5], off
	global_load_dword v68, v[6:7], off
.LBB109_31:                             ;   in Loop: Header=BB109_5 Depth=1
	s_or_b64 exec, exec, s[24:25]
.LBB109_32:                             ;   in Loop: Header=BB109_5 Depth=1
	s_or_b64 exec, exec, s[22:23]
	s_mov_b32 s21, s20
	s_mov_b32 s22, s20
	;; [unrolled: 1-line block ×7, first 2 shown]
	v_mov_b64_e32 v[10:11], s[20:21]
	v_mov_b64_e32 v[16:17], s[26:27]
	;; [unrolled: 1-line block ×8, first 2 shown]
	s_and_saveexec_b64 s[22:23], s[6:7]
	s_cbranch_execnz .LBB109_40
; %bb.33:                               ;   in Loop: Header=BB109_5 Depth=1
	s_or_b64 exec, exec, s[22:23]
	s_and_saveexec_b64 s[22:23], s[6:7]
	s_cbranch_execnz .LBB109_41
.LBB109_34:                             ;   in Loop: Header=BB109_5 Depth=1
	s_or_b64 exec, exec, s[22:23]
	s_and_saveexec_b64 s[22:23], s[6:7]
	s_cbranch_execnz .LBB109_42
.LBB109_35:                             ;   in Loop: Header=BB109_5 Depth=1
	s_or_b64 exec, exec, s[22:23]
	s_and_saveexec_b64 s[22:23], s[6:7]
	s_cbranch_execnz .LBB109_43
.LBB109_36:                             ;   in Loop: Header=BB109_5 Depth=1
	s_or_b64 exec, exec, s[22:23]
	s_and_saveexec_b64 s[22:23], s[6:7]
	s_cbranch_execnz .LBB109_44
.LBB109_37:                             ;   in Loop: Header=BB109_5 Depth=1
	s_or_b64 exec, exec, s[22:23]
	s_and_saveexec_b64 s[22:23], s[6:7]
	s_cbranch_execnz .LBB109_45
.LBB109_38:                             ;   in Loop: Header=BB109_5 Depth=1
	s_or_b64 exec, exec, s[22:23]
	s_and_saveexec_b64 s[22:23], s[6:7]
	s_cbranch_execnz .LBB109_46
.LBB109_39:                             ;   in Loop: Header=BB109_5 Depth=1
	s_or_b64 exec, exec, s[22:23]
	s_and_saveexec_b64 s[22:23], s[6:7]
	s_cbranch_execz .LBB109_3
	s_branch .LBB109_47
.LBB109_40:                             ;   in Loop: Header=BB109_5 Depth=1
	v_lshl_add_u64 v[4:5], v[60:61], 0, v[30:31]
	global_load_ushort v2, v[4:5], off
	v_lshl_add_u64 v[4:5], v[62:63], 0, v[30:31]
	global_load_ushort v10, v[4:5], off
	v_mov_b32_e32 v8, v3
	v_mov_b32_e32 v9, v3
	;; [unrolled: 1-line block ×13, first 2 shown]
	s_waitcnt vmcnt(1)
	v_lshlrev_b32_e32 v2, 16, v2
	v_mov_b64_e32 v[24:25], v[8:9]
	s_waitcnt vmcnt(0)
	v_lshlrev_b32_e32 v10, 16, v10
	v_mov_b64_e32 v[22:23], v[6:7]
	v_mov_b64_e32 v[20:21], v[4:5]
	;; [unrolled: 1-line block ×3, first 2 shown]
	s_or_b64 exec, exec, s[22:23]
	s_and_saveexec_b64 s[22:23], s[6:7]
	s_cbranch_execz .LBB109_34
.LBB109_41:                             ;   in Loop: Header=BB109_5 Depth=1
	v_lshl_add_u64 v[4:5], v[56:57], 0, v[30:31]
	global_load_ushort v2, v[4:5], off
	v_lshl_add_u64 v[4:5], v[58:59], 0, v[30:31]
	global_load_ushort v4, v[4:5], off
	s_waitcnt vmcnt(1)
	v_lshlrev_b32_e32 v19, 16, v2
	s_waitcnt vmcnt(0)
	v_lshlrev_b32_e32 v11, 16, v4
	s_or_b64 exec, exec, s[22:23]
	s_and_saveexec_b64 s[22:23], s[6:7]
	s_cbranch_execz .LBB109_35
.LBB109_42:                             ;   in Loop: Header=BB109_5 Depth=1
	v_lshl_add_u64 v[4:5], v[52:53], 0, v[30:31]
	global_load_ushort v2, v[4:5], off
	v_lshl_add_u64 v[4:5], v[54:55], 0, v[30:31]
	global_load_ushort v4, v[4:5], off
	s_waitcnt vmcnt(1)
	v_lshlrev_b32_e32 v20, 16, v2
	s_waitcnt vmcnt(0)
	v_lshlrev_b32_e32 v12, 16, v4
	s_or_b64 exec, exec, s[22:23]
	s_and_saveexec_b64 s[22:23], s[6:7]
	s_cbranch_execz .LBB109_36
.LBB109_43:                             ;   in Loop: Header=BB109_5 Depth=1
	v_lshl_add_u64 v[4:5], v[48:49], 0, v[30:31]
	global_load_ushort v2, v[4:5], off
	v_lshl_add_u64 v[4:5], v[50:51], 0, v[30:31]
	global_load_ushort v4, v[4:5], off
	s_waitcnt vmcnt(1)
	v_lshlrev_b32_e32 v21, 16, v2
	s_waitcnt vmcnt(0)
	v_lshlrev_b32_e32 v13, 16, v4
	s_or_b64 exec, exec, s[22:23]
	s_and_saveexec_b64 s[22:23], s[6:7]
	s_cbranch_execz .LBB109_37
.LBB109_44:                             ;   in Loop: Header=BB109_5 Depth=1
	v_lshl_add_u64 v[4:5], v[44:45], 0, v[30:31]
	global_load_ushort v2, v[4:5], off
	v_lshl_add_u64 v[4:5], v[46:47], 0, v[30:31]
	global_load_ushort v4, v[4:5], off
	s_waitcnt vmcnt(1)
	v_lshlrev_b32_e32 v22, 16, v2
	s_waitcnt vmcnt(0)
	v_lshlrev_b32_e32 v14, 16, v4
	s_or_b64 exec, exec, s[22:23]
	s_and_saveexec_b64 s[22:23], s[6:7]
	s_cbranch_execz .LBB109_38
.LBB109_45:                             ;   in Loop: Header=BB109_5 Depth=1
	v_lshl_add_u64 v[4:5], v[40:41], 0, v[30:31]
	global_load_ushort v2, v[4:5], off
	v_lshl_add_u64 v[4:5], v[42:43], 0, v[30:31]
	global_load_ushort v4, v[4:5], off
	s_waitcnt vmcnt(1)
	v_lshlrev_b32_e32 v23, 16, v2
	s_waitcnt vmcnt(0)
	v_lshlrev_b32_e32 v15, 16, v4
	s_or_b64 exec, exec, s[22:23]
	s_and_saveexec_b64 s[22:23], s[6:7]
	s_cbranch_execz .LBB109_39
.LBB109_46:                             ;   in Loop: Header=BB109_5 Depth=1
	v_lshl_add_u64 v[4:5], v[36:37], 0, v[30:31]
	global_load_ushort v2, v[4:5], off
	v_lshl_add_u64 v[4:5], v[38:39], 0, v[30:31]
	global_load_ushort v4, v[4:5], off
	s_waitcnt vmcnt(1)
	v_lshlrev_b32_e32 v24, 16, v2
	s_waitcnt vmcnt(0)
	v_lshlrev_b32_e32 v16, 16, v4
	s_or_b64 exec, exec, s[22:23]
	s_and_saveexec_b64 s[22:23], s[6:7]
	s_cbranch_execz .LBB109_3
.LBB109_47:                             ;   in Loop: Header=BB109_5 Depth=1
	v_lshl_add_u64 v[4:5], v[32:33], 0, v[30:31]
	global_load_ushort v2, v[4:5], off
	v_lshl_add_u64 v[4:5], v[34:35], 0, v[30:31]
	global_load_ushort v4, v[4:5], off
	s_waitcnt vmcnt(1)
	v_lshlrev_b32_e32 v25, 16, v2
	s_waitcnt vmcnt(0)
	v_lshlrev_b32_e32 v17, 16, v4
	s_branch .LBB109_3
.LBB109_48:
                                        ; implicit-def: $vgpr29
	s_branch .LBB109_50
.LBB109_49:
	s_cbranch_execnz .LBB109_81
.LBB109_50:
	v_mov_b32_e32 v29, 0
	s_mov_b32 s20, 0
	s_and_b64 vcc, exec, s[4:5]
	v_mov_b32_e32 v28, v29
	s_cbranch_vccnz .LBB109_81
; %bb.51:
	v_and_b32_e32 v1, 0x3ff, v0
	v_add_u32_e32 v2, s3, v1
	v_mov_b32_e32 v3, 0
	v_bfe_u32 v96, v0, 10, 10
	v_lshlrev_b64 v[30:31], 1, v[2:3]
	v_lshlrev_b32_e32 v2, 4, v96
	v_lshl_add_u64 v[4:5], s[10:11], 1, v[2:3]
	v_lshl_add_u64 v[6:7], v[4:5], 0, 2
	v_mov_b64_e32 v[8:9], s[16:17]
	v_lshl_add_u64 v[10:11], v[4:5], 0, 4
	v_lshl_add_u64 v[12:13], v[4:5], 0, 6
	;; [unrolled: 1-line block ×6, first 2 shown]
	v_mad_u64_u32 v[32:33], s[4:5], s14, v6, v[8:9]
	v_mad_u64_u32 v[34:35], s[4:5], s14, v10, v[8:9]
	;; [unrolled: 1-line block ×7, first 2 shown]
	v_mov_b64_e32 v[8:9], s[18:19]
	v_lshlrev_b32_e32 v26, 3, v96
	v_mov_b32_e32 v27, v3
	v_mul_lo_u32 v2, s14, v7
	v_mul_lo_u32 v7, s15, v6
	v_mad_u64_u32 v[46:47], s[4:5], s14, v6, v[8:9]
	v_add3_u32 v33, v7, v33, v2
	v_mul_lo_u32 v5, s14, v5
	v_mul_lo_u32 v25, s15, v4
	v_add3_u32 v47, v7, v47, v2
	v_lshl_add_u64 v[6:7], v[26:27], 0, s[10:11]
	v_mad_u64_u32 v[58:59], s[4:5], s14, v4, v[8:9]
	v_add3_u32 v45, v25, v45, v5
	v_add3_u32 v59, v25, v59, v5
	v_lshl_add_u64 v[4:5], v[6:7], 0, 7
	v_mad_u64_u32 v[48:49], s[4:5], s14, v10, v[8:9]
	v_mad_u64_u32 v[50:51], s[4:5], s14, v12, v[8:9]
	;; [unrolled: 1-line block ×5, first 2 shown]
	v_mul_lo_u32 v8, s15, v4
	v_mul_lo_u32 v9, s14, v5
	v_mad_u64_u32 v[4:5], s[4:5], s14, v4, 0
	v_mul_lo_u32 v11, s14, v11
	v_mul_lo_u32 v20, s15, v10
	v_add3_u32 v5, v5, v9, v8
	v_lshl_add_u64 v[8:9], v[6:7], 0, 6
	v_add3_u32 v35, v20, v35, v11
	v_add3_u32 v49, v20, v49, v11
	v_mul_lo_u32 v10, s15, v8
	v_mul_lo_u32 v11, s14, v9
	v_mad_u64_u32 v[8:9], s[4:5], s14, v8, 0
	v_mul_lo_u32 v13, s14, v13
	v_mul_lo_u32 v21, s15, v12
	v_add3_u32 v9, v9, v11, v10
	v_lshl_add_u64 v[10:11], v[6:7], 0, 5
	v_add3_u32 v37, v21, v37, v13
	v_add3_u32 v51, v21, v51, v13
	;; [unrolled: 9-line block ×4, first 2 shown]
	v_mul_lo_u32 v16, s15, v14
	v_mul_lo_u32 v17, s14, v15
	v_mad_u64_u32 v[14:15], s[4:5], s14, v14, 0
	v_mul_lo_u32 v19, s14, v19
	v_mul_lo_u32 v24, s15, v18
	v_add3_u32 v15, v15, v17, v16
	v_lshl_add_u64 v[16:17], v[6:7], 0, 2
	s_load_dword s3, s[0:1], 0x44
	v_add3_u32 v43, v24, v43, v19
	v_add3_u32 v57, v24, v57, v19
	v_mul_lo_u32 v18, s15, v16
	v_mul_lo_u32 v19, s14, v17
	v_mad_u64_u32 v[16:17], s[4:5], s14, v16, 0
	v_lshlrev_b64 v[4:5], 1, v[4:5]
	v_add3_u32 v17, v17, v19, v18
	v_mov_b64_e32 v[18:19], s[14:15]
	v_lshl_add_u64 v[64:65], s[16:17], 0, v[4:5]
	v_lshl_add_u64 v[66:67], s[18:19], 0, v[4:5]
	v_lshlrev_b64 v[4:5], 1, v[8:9]
	v_mul_lo_u32 v2, s15, v6
	v_mad_u64_u32 v[18:19], s[4:5], s14, v6, v[18:19]
	v_mul_lo_u32 v20, s14, v7
	v_mad_u64_u32 v[6:7], s[4:5], s14, v6, 0
	v_lshl_add_u64 v[68:69], s[16:17], 0, v[4:5]
	v_lshl_add_u64 v[70:71], s[18:19], 0, v[4:5]
	v_lshlrev_b64 v[4:5], 1, v[10:11]
	s_add_u32 s4, s0, 64
	v_lshl_add_u64 v[72:73], s[16:17], 0, v[4:5]
	v_lshl_add_u64 v[74:75], s[18:19], 0, v[4:5]
	v_lshlrev_b64 v[4:5], 1, v[12:13]
	v_add3_u32 v7, v7, v20, v2
	v_add3_u32 v19, v2, v19, v20
	s_addc_u32 s5, s1, 0
	s_waitcnt lgkmcnt(0)
	s_lshl_b32 s6, s3, 3
	v_lshl_add_u64 v[76:77], s[16:17], 0, v[4:5]
	v_lshl_add_u64 v[78:79], s[18:19], 0, v[4:5]
	v_lshlrev_b64 v[4:5], 1, v[14:15]
	v_mbcnt_lo_u32_b32 v2, -1, 0
	s_mul_i32 s3, s15, s6
	s_mul_hi_u32 s9, s14, s6
	v_lshl_add_u64 v[80:81], s[16:17], 0, v[4:5]
	v_lshl_add_u64 v[82:83], s[18:19], 0, v[4:5]
	v_lshlrev_b64 v[4:5], 1, v[16:17]
	v_mbcnt_hi_u32_b32 v2, -1, v2
	s_add_i32 s23, s9, s3
	s_mul_i32 s22, s14, s6
	v_lshlrev_b64 v[6:7], 1, v[6:7]
	v_lshl_add_u64 v[84:85], s[16:17], 0, v[4:5]
	v_lshl_add_u64 v[86:87], s[18:19], 0, v[4:5]
	v_lshlrev_b64 v[4:5], 1, v[18:19]
	v_lshlrev_b32_e32 v2, 2, v2
	s_mov_b32 s7, s20
	s_lshl_b64 s[34:35], s[22:23], 1
	v_lshl_add_u64 v[60:61], s[16:17], 0, v[6:7]
	v_lshl_add_u64 v[62:63], s[18:19], 0, v[6:7]
	s_mov_b64 s[36:37], 7
	v_lshl_add_u64 v[88:89], s[16:17], 0, v[4:5]
	v_lshl_add_u64 v[90:91], s[18:19], 0, v[4:5]
	v_and_b32_e32 v97, 0x100, v2
	s_mov_b64 s[16:17], s[10:11]
	v_mov_b32_e32 v28, v3
	v_mov_b32_e32 v29, v3
	s_branch .LBB109_55
.LBB109_52:                             ;   in Loop: Header=BB109_55 Depth=1
	s_or_b64 exec, exec, s[22:23]
.LBB109_53:                             ;   in Loop: Header=BB109_55 Depth=1
	s_or_b64 exec, exec, s[18:19]
	v_lshl_add_u64 v[4:5], v[60:61], 0, v[30:31]
	global_load_ushort v2, v[4:5], off
	v_lshl_add_u64 v[4:5], v[62:63], 0, v[30:31]
	global_load_ushort v8, v[4:5], off
	;; [unrolled: 2-line block ×16, first 2 shown]
	s_waitcnt vmcnt(17)
	ds_bpermute_b32 v23, v97, v7
	ds_bpermute_b32 v25, v97, v7 offset:4
	s_waitcnt vmcnt(16)
	ds_bpermute_b32 v22, v97, v6
	ds_bpermute_b32 v29, v97, v7 offset:8
	ds_bpermute_b32 v95, v97, v7 offset:12
	;; [unrolled: 1-line block ×13, first 2 shown]
	s_waitcnt vmcnt(15)
	v_lshlrev_b32_e32 v4, 16, v2
	s_waitcnt vmcnt(14)
	v_lshlrev_b32_e32 v2, 16, v8
	s_waitcnt lgkmcnt(14)
	v_sub_f32_e32 v2, v2, v23
	s_waitcnt vmcnt(13)
	v_lshlrev_b32_e32 v6, 16, v9
	v_mul_f32_e32 v2, v2, v4
	s_waitcnt vmcnt(12)
	v_lshlrev_b32_e32 v7, 16, v10
	s_waitcnt vmcnt(11)
	v_lshlrev_b32_e32 v8, 16, v11
	;; [unrolled: 2-line block ×13, first 2 shown]
	v_sub_f32_e32 v5, v7, v25
	s_waitcnt lgkmcnt(12)
	v_sub_f32_e32 v7, v9, v29
	s_waitcnt lgkmcnt(11)
	;; [unrolled: 2-line block ×5, first 2 shown]
	v_sub_f32_e32 v15, v17, v103
	v_mul_f32_e32 v17, v5, v6
	v_mul_f32_e32 v5, v2, v22
	;; [unrolled: 1-line block ×3, first 2 shown]
	s_waitcnt lgkmcnt(7)
	v_mul_f32_e32 v7, v17, v24
	v_pk_add_f32 v[4:5], v[92:93], v[4:5]
	v_mul_f32_e32 v21, v9, v10
	s_waitcnt lgkmcnt(6)
	v_mul_f32_e32 v9, v20, v28
	v_pk_add_f32 v[4:5], v[4:5], v[6:7]
	v_mul_f32_e32 v23, v11, v12
	s_waitcnt lgkmcnt(5)
	v_mul_f32_e32 v11, v21, v94
	v_pk_add_f32 v[4:5], v[4:5], v[8:9]
	v_mul_f32_e32 v25, v13, v14
	s_waitcnt lgkmcnt(3)
	v_mul_f32_e32 v13, v23, v98
	v_pk_add_f32 v[4:5], v[4:5], v[10:11]
	v_mul_f32_e32 v29, v15, v16
	s_waitcnt lgkmcnt(2)
	v_mul_f32_e32 v15, v25, v100
	v_pk_add_f32 v[4:5], v[4:5], v[12:13]
	v_sub_f32_e32 v2, v19, v105
	s_waitcnt lgkmcnt(1)
	v_mul_f32_e32 v17, v29, v102
	v_pk_add_f32 v[4:5], v[4:5], v[14:15]
	v_mul_f32_e32 v2, v2, v18
	v_pk_add_f32 v[4:5], v[4:5], v[16:17]
	s_waitcnt lgkmcnt(0)
	v_mul_f32_e32 v19, v2, v104
	v_pk_add_f32 v[28:29], v[4:5], v[18:19]
.LBB109_54:                             ;   in Loop: Header=BB109_55 Depth=1
	s_add_u32 s16, s16, s6
	s_addc_u32 s17, s17, 0
	v_mov_b64_e32 v[4:5], s[12:13]
	s_add_u32 s36, s36, s6
	v_cmp_ge_i64_e32 vcc, s[16:17], v[4:5]
	v_lshl_add_u64 v[26:27], v[26:27], 0, s[6:7]
	v_lshl_add_u64 v[32:33], v[32:33], 0, s[34:35]
	;; [unrolled: 1-line block ×31, first 2 shown]
	s_addc_u32 s37, s37, 0
	s_cbranch_vccnz .LBB109_81
.LBB109_55:                             ; =>This Inner Loop Header: Depth=1
	s_add_u32 s18, s10, s36
	s_addc_u32 s19, 0, s37
	v_mov_b64_e32 v[4:5], s[12:13]
	v_cmp_ge_i64_e32 vcc, s[18:19], v[4:5]
	v_mov_b32_e32 v92, v28
	v_mov_b32_e32 v93, v29
	v_lshl_add_u64 v[94:95], s[10:11], 0, v[26:27]
	s_cbranch_vccz .LBB109_77
; %bb.56:                               ;   in Loop: Header=BB109_55 Depth=1
	s_load_dword s3, s[4:5], 0xc
	v_mov_b32_e32 v28, 0
	v_mov_b32_e32 v29, 0
	s_waitcnt lgkmcnt(0)
	s_and_b32 s3, s3, 0xffff
	v_mad_u32_u24 v2, v96, s3, v1
	v_and_b32_e32 v2, 63, v2
	v_cmp_gt_u32_e32 vcc, 8, v2
	s_and_saveexec_b64 s[18:19], vcc
	s_cbranch_execz .LBB109_60
; %bb.57:                               ;   in Loop: Header=BB109_55 Depth=1
	v_lshl_add_u64 v[4:5], v[94:95], 0, v[2:3]
	v_cmp_gt_i64_e32 vcc, s[12:13], v[4:5]
	v_mov_b32_e32 v29, 0
	v_mov_b32_e32 v28, 0
	s_and_saveexec_b64 s[22:23], vcc
	s_cbranch_execz .LBB109_59
; %bb.58:                               ;   in Loop: Header=BB109_55 Depth=1
	v_lshlrev_b64 v[4:5], 2, v[4:5]
	v_lshl_add_u64 v[6:7], s[30:31], 0, v[4:5]
	v_lshl_add_u64 v[4:5], s[28:29], 0, v[4:5]
	global_load_dword v29, v[4:5], off
	global_load_dword v28, v[6:7], off
.LBB109_59:                             ;   in Loop: Header=BB109_55 Depth=1
	s_or_b64 exec, exec, s[22:23]
.LBB109_60:                             ;   in Loop: Header=BB109_55 Depth=1
	s_or_b64 exec, exec, s[18:19]
	s_mov_b32 s21, s20
	s_mov_b32 s22, s20
	s_mov_b32 s23, s20
	s_mov_b32 s24, s20
	s_mov_b32 s25, s20
	s_mov_b32 s26, s20
	s_mov_b32 s27, s20
	v_mov_b64_e32 v[10:11], s[20:21]
	v_mov_b64_e32 v[16:17], s[26:27]
	;; [unrolled: 1-line block ×5, first 2 shown]
	v_cmp_gt_i64_e32 vcc, s[12:13], v[94:95]
	v_mov_b64_e32 v[22:23], v[14:15]
	v_mov_b64_e32 v[20:21], v[12:13]
	;; [unrolled: 1-line block ×3, first 2 shown]
	s_and_saveexec_b64 s[18:19], vcc
	s_cbranch_execz .LBB109_62
; %bb.61:                               ;   in Loop: Header=BB109_55 Depth=1
	v_lshl_add_u64 v[4:5], v[60:61], 0, v[30:31]
	global_load_ushort v2, v[4:5], off
	v_lshl_add_u64 v[4:5], v[62:63], 0, v[30:31]
	global_load_ushort v10, v[4:5], off
	v_mov_b32_e32 v8, v3
	v_mov_b32_e32 v9, v3
	;; [unrolled: 1-line block ×13, first 2 shown]
	s_waitcnt vmcnt(1)
	v_lshlrev_b32_e32 v2, 16, v2
	v_mov_b64_e32 v[24:25], v[8:9]
	s_waitcnt vmcnt(0)
	v_lshlrev_b32_e32 v10, 16, v10
	v_mov_b64_e32 v[22:23], v[6:7]
	v_mov_b64_e32 v[20:21], v[4:5]
	;; [unrolled: 1-line block ×3, first 2 shown]
.LBB109_62:                             ;   in Loop: Header=BB109_55 Depth=1
	s_or_b64 exec, exec, s[18:19]
	v_lshl_add_u64 v[4:5], v[94:95], 0, 1
	v_cmp_gt_i64_e32 vcc, s[12:13], v[4:5]
	s_and_saveexec_b64 s[18:19], vcc
	s_cbranch_execz .LBB109_64
; %bb.63:                               ;   in Loop: Header=BB109_55 Depth=1
	v_lshl_add_u64 v[4:5], v[88:89], 0, v[30:31]
	global_load_ushort v2, v[4:5], off
	v_lshl_add_u64 v[4:5], v[90:91], 0, v[30:31]
	global_load_ushort v4, v[4:5], off
	s_waitcnt vmcnt(1)
	v_lshlrev_b32_e32 v19, 16, v2
	s_waitcnt vmcnt(0)
	v_lshlrev_b32_e32 v11, 16, v4
.LBB109_64:                             ;   in Loop: Header=BB109_55 Depth=1
	s_or_b64 exec, exec, s[18:19]
	v_lshl_add_u64 v[4:5], v[94:95], 0, 2
	v_cmp_gt_i64_e32 vcc, s[12:13], v[4:5]
	s_and_saveexec_b64 s[18:19], vcc
	s_cbranch_execz .LBB109_66
; %bb.65:                               ;   in Loop: Header=BB109_55 Depth=1
	v_lshl_add_u64 v[4:5], v[84:85], 0, v[30:31]
	global_load_ushort v2, v[4:5], off
	v_lshl_add_u64 v[4:5], v[86:87], 0, v[30:31]
	global_load_ushort v4, v[4:5], off
	s_waitcnt vmcnt(1)
	v_lshlrev_b32_e32 v20, 16, v2
	s_waitcnt vmcnt(0)
	v_lshlrev_b32_e32 v12, 16, v4
.LBB109_66:                             ;   in Loop: Header=BB109_55 Depth=1
	;; [unrolled: 15-line block ×7, first 2 shown]
	s_or_b64 exec, exec, s[18:19]
	s_waitcnt vmcnt(1)
	ds_bpermute_b32 v2, v97, v29
	s_waitcnt vmcnt(0)
	ds_bpermute_b32 v4, v97, v28
	ds_bpermute_b32 v7, v97, v29 offset:4
	ds_bpermute_b32 v6, v97, v28 offset:4
	;; [unrolled: 1-line block ×3, first 2 shown]
	s_waitcnt lgkmcnt(4)
	v_sub_f32_e32 v2, v10, v2
	v_mul_f32_e32 v2, v18, v2
	s_waitcnt lgkmcnt(3)
	v_mul_f32_e32 v5, v2, v4
	ds_bpermute_b32 v4, v97, v28 offset:8
	s_waitcnt lgkmcnt(3)
	v_sub_f32_e32 v2, v11, v7
	v_mul_f32_e32 v2, v19, v2
	s_waitcnt lgkmcnt(2)
	v_mul_f32_e32 v7, v2, v6
	s_waitcnt lgkmcnt(1)
	v_sub_f32_e32 v2, v12, v8
	ds_bpermute_b32 v6, v97, v29 offset:12
	v_mul_f32_e32 v2, v20, v2
	s_waitcnt lgkmcnt(1)
	v_mul_f32_e32 v9, v2, v4
	ds_bpermute_b32 v2, v97, v28 offset:12
	ds_bpermute_b32 v4, v97, v29 offset:16
	;; [unrolled: 1-line block ×3, first 2 shown]
	s_waitcnt lgkmcnt(3)
	v_sub_f32_e32 v6, v13, v6
	v_mul_f32_e32 v6, v21, v6
	s_waitcnt lgkmcnt(2)
	v_mul_f32_e32 v11, v6, v2
	s_waitcnt lgkmcnt(1)
	v_sub_f32_e32 v2, v14, v4
	ds_bpermute_b32 v4, v97, v29 offset:20
	v_mul_f32_e32 v2, v22, v2
	s_waitcnt lgkmcnt(1)
	v_mul_f32_e32 v13, v2, v8
	ds_bpermute_b32 v2, v97, v28 offset:20
	ds_bpermute_b32 v6, v97, v29 offset:24
	;; [unrolled: 1-line block ×3, first 2 shown]
	s_waitcnt lgkmcnt(3)
	v_sub_f32_e32 v4, v15, v4
	v_mul_f32_e32 v4, v23, v4
	s_waitcnt lgkmcnt(2)
	v_mul_f32_e32 v15, v4, v2
	s_waitcnt lgkmcnt(1)
	v_sub_f32_e32 v2, v16, v6
	v_mul_f32_e32 v2, v24, v2
	s_waitcnt lgkmcnt(0)
	v_mul_f32_e32 v99, v2, v8
	v_mov_b32_e32 v4, v18
	ds_bpermute_b32 v2, v97, v29 offset:28
	v_pk_add_f32 v[4:5], v[92:93], v[4:5]
	v_mov_b32_e32 v6, v19
	v_pk_add_f32 v[4:5], v[6:7], v[4:5]
	v_mov_b32_e32 v8, v20
	ds_bpermute_b32 v6, v97, v28 offset:28
	v_pk_add_f32 v[4:5], v[8:9], v[4:5]
	v_mov_b32_e32 v10, v21
	v_pk_add_f32 v[4:5], v[10:11], v[4:5]
	v_mov_b32_e32 v12, v22
	;; [unrolled: 2-line block ×3, first 2 shown]
	s_waitcnt lgkmcnt(1)
	v_sub_f32_e32 v2, v17, v2
	v_pk_add_f32 v[4:5], v[14:15], v[4:5]
	v_mov_b32_e32 v98, v24
	v_mul_f32_e32 v2, v25, v2
	v_pk_add_f32 v[4:5], v[98:99], v[4:5]
	s_waitcnt lgkmcnt(0)
	v_mul_f32_e32 v7, v2, v6
	v_mov_b32_e32 v6, v25
	v_pk_add_f32 v[28:29], v[6:7], v[4:5]
	s_branch .LBB109_54
.LBB109_77:                             ;   in Loop: Header=BB109_55 Depth=1
                                        ; implicit-def: $vgpr29
	s_cbranch_execz .LBB109_54
; %bb.78:                               ;   in Loop: Header=BB109_55 Depth=1
	s_load_dword s3, s[4:5], 0x0
	v_mov_b32_e32 v6, 0
	v_mov_b32_e32 v7, 0
	s_waitcnt lgkmcnt(0)
	s_cmp_lt_u32 s2, s3
	s_cselect_b32 s3, 12, 18
	s_add_u32 s18, s4, s3
	s_addc_u32 s19, s5, 0
	global_load_ushort v2, v3, s[18:19]
	s_waitcnt vmcnt(0)
	v_mad_u32_u24 v2, v96, v2, v1
	v_and_b32_e32 v2, 63, v2
	v_cmp_gt_u32_e32 vcc, 8, v2
	s_and_saveexec_b64 s[18:19], vcc
	s_cbranch_execz .LBB109_53
; %bb.79:                               ;   in Loop: Header=BB109_55 Depth=1
	v_lshl_add_u64 v[4:5], v[94:95], 0, v[2:3]
	v_cmp_gt_i64_e32 vcc, s[12:13], v[4:5]
	v_mov_b32_e32 v7, 0
	v_mov_b32_e32 v6, 0
	s_and_saveexec_b64 s[22:23], vcc
	s_cbranch_execz .LBB109_52
; %bb.80:                               ;   in Loop: Header=BB109_55 Depth=1
	v_lshlrev_b64 v[4:5], 2, v[4:5]
	v_lshl_add_u64 v[8:9], s[30:31], 0, v[4:5]
	v_lshl_add_u64 v[4:5], s[28:29], 0, v[4:5]
	global_load_dword v7, v[4:5], off
	global_load_dword v6, v[8:9], off
	s_branch .LBB109_52
.LBB109_81:
	s_mov_b32 s3, 0
	s_lshl_b64 s[2:3], s[2:3], 5
	v_and_b32_e32 v1, 0x3ff, v0
	v_or_b32_e32 v2, s2, v1
	v_mov_b32_e32 v3, s3
	v_cmp_gt_i64_e32 vcc, s[14:15], v[2:3]
	s_and_saveexec_b64 s[2:3], vcc
	s_cbranch_execz .LBB109_86
; %bb.82:
	s_load_dword s2, s[0:1], 0x4c
	s_load_dwordx4 s[4:7], s[0:1], 0x30
	v_bfe_u32 v0, v0, 10, 10
	v_mov_b32_e32 v1, 0
	v_mov_b32_e32 v4, s8
	s_waitcnt lgkmcnt(0)
	s_lshr_b32 s0, s2, 16
	v_mad_u64_u32 v[0:1], s[0:1], s0, v4, v[0:1]
	s_cmp_eq_u64 s[4:5], 0
	v_mul_lo_u32 v1, v1, s14
	v_mul_lo_u32 v4, v0, s15
	s_cbranch_scc1 .LBB109_84
; %bb.83:
	v_bfe_u32 v5, v29, 16, 1
	s_movk_i32 s0, 0x7fff
	v_add3_u32 v5, v29, v5, s0
	v_lshrrev_b32_e32 v5, 16, v5
	v_mov_b32_e32 v6, 0x7fc0
	v_cmp_o_f32_e32 vcc, v29, v29
	s_nop 1
	v_cndmask_b32_e32 v5, v6, v5, vcc
	v_mad_u64_u32 v[6:7], s[0:1], v0, s14, 0
	v_add3_u32 v7, v7, v4, v1
	v_lshl_add_u64 v[6:7], v[6:7], 1, s[4:5]
	v_lshl_add_u64 v[6:7], v[2:3], 1, v[6:7]
	global_store_short v[6:7], v5, off
.LBB109_84:
	s_cmp_eq_u64 s[6:7], 0
	s_cbranch_scc1 .LBB109_86
; %bb.85:
	v_bfe_u32 v5, v28, 16, 1
	s_movk_i32 s0, 0x7fff
	v_add3_u32 v5, v28, v5, s0
	v_lshrrev_b32_e32 v5, 16, v5
	v_mov_b32_e32 v6, 0x7fc0
	v_cmp_o_f32_e32 vcc, v28, v28
	s_nop 1
	v_cndmask_b32_e32 v5, v6, v5, vcc
	v_mad_u64_u32 v[6:7], s[0:1], v0, s14, 0
	v_add3_u32 v7, v7, v4, v1
	v_lshl_add_u64 v[0:1], v[6:7], 1, s[6:7]
	v_lshl_add_u64 v[0:1], v[2:3], 1, v[0:1]
	global_store_short v[0:1], v5, off
.LBB109_86:
	s_endpgm
	.section	.rodata,"a",@progbits
	.p2align	6, 0x0
	.amdhsa_kernel _ZN2at6native12_GLOBAL__N_135GammaBetaBackwardCUDAKernelTemplateIN3c108BFloat16EfLj32ELj1ELj8ELb1ELb0ELb0EEEvllPKT_S7_PKT0_SA_PS5_SB_
		.amdhsa_group_segment_fixed_size 0
		.amdhsa_private_segment_fixed_size 0
		.amdhsa_kernarg_size 320
		.amdhsa_user_sgpr_count 2
		.amdhsa_user_sgpr_dispatch_ptr 0
		.amdhsa_user_sgpr_queue_ptr 0
		.amdhsa_user_sgpr_kernarg_segment_ptr 1
		.amdhsa_user_sgpr_dispatch_id 0
		.amdhsa_user_sgpr_kernarg_preload_length 0
		.amdhsa_user_sgpr_kernarg_preload_offset 0
		.amdhsa_user_sgpr_private_segment_size 0
		.amdhsa_uses_dynamic_stack 0
		.amdhsa_enable_private_segment 0
		.amdhsa_system_sgpr_workgroup_id_x 1
		.amdhsa_system_sgpr_workgroup_id_y 1
		.amdhsa_system_sgpr_workgroup_id_z 0
		.amdhsa_system_sgpr_workgroup_info 0
		.amdhsa_system_vgpr_workitem_id 1
		.amdhsa_next_free_vgpr 106
		.amdhsa_next_free_sgpr 46
		.amdhsa_accum_offset 108
		.amdhsa_reserve_vcc 1
		.amdhsa_float_round_mode_32 0
		.amdhsa_float_round_mode_16_64 0
		.amdhsa_float_denorm_mode_32 3
		.amdhsa_float_denorm_mode_16_64 3
		.amdhsa_dx10_clamp 1
		.amdhsa_ieee_mode 1
		.amdhsa_fp16_overflow 0
		.amdhsa_tg_split 0
		.amdhsa_exception_fp_ieee_invalid_op 0
		.amdhsa_exception_fp_denorm_src 0
		.amdhsa_exception_fp_ieee_div_zero 0
		.amdhsa_exception_fp_ieee_overflow 0
		.amdhsa_exception_fp_ieee_underflow 0
		.amdhsa_exception_fp_ieee_inexact 0
		.amdhsa_exception_int_div_zero 0
	.end_amdhsa_kernel
	.section	.text._ZN2at6native12_GLOBAL__N_135GammaBetaBackwardCUDAKernelTemplateIN3c108BFloat16EfLj32ELj1ELj8ELb1ELb0ELb0EEEvllPKT_S7_PKT0_SA_PS5_SB_,"axG",@progbits,_ZN2at6native12_GLOBAL__N_135GammaBetaBackwardCUDAKernelTemplateIN3c108BFloat16EfLj32ELj1ELj8ELb1ELb0ELb0EEEvllPKT_S7_PKT0_SA_PS5_SB_,comdat
.Lfunc_end109:
	.size	_ZN2at6native12_GLOBAL__N_135GammaBetaBackwardCUDAKernelTemplateIN3c108BFloat16EfLj32ELj1ELj8ELb1ELb0ELb0EEEvllPKT_S7_PKT0_SA_PS5_SB_, .Lfunc_end109-_ZN2at6native12_GLOBAL__N_135GammaBetaBackwardCUDAKernelTemplateIN3c108BFloat16EfLj32ELj1ELj8ELb1ELb0ELb0EEEvllPKT_S7_PKT0_SA_PS5_SB_
                                        ; -- End function
	.section	.AMDGPU.csdata,"",@progbits
; Kernel info:
; codeLenInByte = 7164
; NumSgprs: 52
; NumVgprs: 106
; NumAgprs: 0
; TotalNumVgprs: 106
; ScratchSize: 0
; MemoryBound: 0
; FloatMode: 240
; IeeeMode: 1
; LDSByteSize: 0 bytes/workgroup (compile time only)
; SGPRBlocks: 6
; VGPRBlocks: 13
; NumSGPRsForWavesPerEU: 52
; NumVGPRsForWavesPerEU: 106
; AccumOffset: 108
; Occupancy: 4
; WaveLimiterHint : 0
; COMPUTE_PGM_RSRC2:SCRATCH_EN: 0
; COMPUTE_PGM_RSRC2:USER_SGPR: 2
; COMPUTE_PGM_RSRC2:TRAP_HANDLER: 0
; COMPUTE_PGM_RSRC2:TGID_X_EN: 1
; COMPUTE_PGM_RSRC2:TGID_Y_EN: 1
; COMPUTE_PGM_RSRC2:TGID_Z_EN: 0
; COMPUTE_PGM_RSRC2:TIDIG_COMP_CNT: 1
; COMPUTE_PGM_RSRC3_GFX90A:ACCUM_OFFSET: 26
; COMPUTE_PGM_RSRC3_GFX90A:TG_SPLIT: 0
	.section	.text._ZN2at6native12_GLOBAL__N_135GammaBetaBackwardCUDAKernelTemplateIN3c108BFloat16EfLj32ELj8ELj64ELb0ELb1ELb0EEEvllPKT_S7_PKT0_SA_PS5_SB_,"axG",@progbits,_ZN2at6native12_GLOBAL__N_135GammaBetaBackwardCUDAKernelTemplateIN3c108BFloat16EfLj32ELj8ELj64ELb0ELb1ELb0EEEvllPKT_S7_PKT0_SA_PS5_SB_,comdat
	.globl	_ZN2at6native12_GLOBAL__N_135GammaBetaBackwardCUDAKernelTemplateIN3c108BFloat16EfLj32ELj8ELj64ELb0ELb1ELb0EEEvllPKT_S7_PKT0_SA_PS5_SB_ ; -- Begin function _ZN2at6native12_GLOBAL__N_135GammaBetaBackwardCUDAKernelTemplateIN3c108BFloat16EfLj32ELj8ELj64ELb0ELb1ELb0EEEvllPKT_S7_PKT0_SA_PS5_SB_
	.p2align	8
	.type	_ZN2at6native12_GLOBAL__N_135GammaBetaBackwardCUDAKernelTemplateIN3c108BFloat16EfLj32ELj8ELj64ELb0ELb1ELb0EEEvllPKT_S7_PKT0_SA_PS5_SB_,@function
_ZN2at6native12_GLOBAL__N_135GammaBetaBackwardCUDAKernelTemplateIN3c108BFloat16EfLj32ELj8ELj64ELb0ELb1ELb0EEEvllPKT_S7_PKT0_SA_PS5_SB_: ; @_ZN2at6native12_GLOBAL__N_135GammaBetaBackwardCUDAKernelTemplateIN3c108BFloat16EfLj32ELj8ELj64ELb0ELb1ELb0EEEvllPKT_S7_PKT0_SA_PS5_SB_
; %bb.0:
	s_load_dwordx4 s[16:19], s[0:1], 0x0
	s_lshl_b32 s6, s3, 6
	s_mov_b32 s7, 0
	v_bfe_u32 v12, v0, 10, 10
	s_waitcnt lgkmcnt(0)
	v_mov_b64_e32 v[2:3], s[16:17]
	v_cmp_lt_i64_e32 vcc, s[6:7], v[2:3]
	s_cbranch_vccnz .LBB110_2
; %bb.1:
	s_mov_b64 s[4:5], 0
	v_bfe_u32 v2, v0, 10, 10
	s_branch .LBB110_3
.LBB110_2:
	s_mov_b64 s[4:5], -1
                                        ; implicit-def: $vgpr2
.LBB110_3:
	v_and_b32_e32 v10, 0x3ff, v0
	s_andn2_b64 vcc, exec, s[4:5]
	v_mov_b32_e32 v1, s7
	v_mbcnt_lo_u32_b32 v11, -1, 0
	v_mov_b32_e32 v0, s7
	s_cbranch_vccnz .LBB110_11
; %bb.4:
	s_load_dword s3, s[0:1], 0x4c
	s_load_dword s20, s[0:1], 0x44
	s_load_dwordx8 s[8:15], s[0:1], 0x10
	v_lshlrev_b32_e32 v0, 3, v12
	v_mbcnt_hi_u32_b32 v4, -1, v11
	s_waitcnt lgkmcnt(0)
	s_and_b32 s3, s3, 0xffff
	v_mad_u32_u24 v1, v12, s3, v10
	v_and_b32_e32 v2, 63, v1
	v_mov_b32_e32 v1, 0
	v_mov_b32_e32 v3, v1
	v_lshl_add_u64 v[8:9], v[0:1], 0, s[6:7]
	v_cmp_gt_u32_e64 s[4:5], 8, v2
	s_lshl_b32 s20, s20, 6
	v_lshl_add_u64 v[2:3], v[8:9], 0, v[2:3]
	v_mul_lo_u32 v0, s19, v8
	v_mul_lo_u32 v21, s18, v9
	v_mad_u64_u32 v[8:9], s[24:25], s18, v8, 0
	v_lshl_add_u32 v6, s2, 5, v10
	v_mov_b32_e32 v7, v1
	v_lshlrev_b32_e32 v4, 2, v4
	s_mul_i32 s3, s19, s20
	s_mul_hi_u32 s24, s18, s20
	s_mov_b32 s21, 0
	v_and_b32_e32 v13, 0x100, v4
	v_add3_u32 v9, v9, v21, v0
	v_lshlrev_b64 v[6:7], 1, v[6:7]
	s_add_i32 s25, s24, s3
	s_mul_i32 s24, s18, s20
	v_or_b32_e32 v14, 4, v13
	v_or_b32_e32 v15, 8, v13
	;; [unrolled: 1-line block ×7, first 2 shown]
	v_lshlrev_b64 v[4:5], 2, v[2:3]
	s_lshl_b64 s[22:23], s[20:21], 2
	v_lshl_add_u64 v[6:7], v[8:9], 1, v[6:7]
	s_lshl_b64 s[24:25], s[24:25], 1
	s_lshl_b64 s[18:19], s[18:19], 1
	v_mov_b64_e32 v[8:9], s[16:17]
	v_mov_b32_e32 v0, v1
	s_branch .LBB110_7
.LBB110_5:                              ;   in Loop: Header=BB110_7 Depth=1
	s_or_b64 exec, exec, s[28:29]
.LBB110_6:                              ;   in Loop: Header=BB110_7 Depth=1
	s_or_b64 exec, exec, s[26:27]
	v_lshl_add_u64 v[24:25], s[8:9], 0, v[6:7]
	v_lshl_add_u64 v[26:27], s[10:11], 0, v[6:7]
	global_load_ushort v23, v[24:25], off
	global_load_ushort v28, v[26:27], off
	v_lshl_add_u64 v[24:25], v[24:25], 0, s[18:19]
	v_lshl_add_u64 v[26:27], v[26:27], 0, s[18:19]
	global_load_ushort v29, v[24:25], off
	global_load_ushort v30, v[26:27], off
	;; [unrolled: 4-line block ×8, first 2 shown]
	s_waitcnt vmcnt(17)
	ds_bpermute_b32 v26, v13, v21
	ds_bpermute_b32 v43, v14, v21
	s_waitcnt vmcnt(16)
	ds_bpermute_b32 v25, v13, v22
	ds_bpermute_b32 v45, v15, v21
	;; [unrolled: 1-line block ×14, first 2 shown]
	s_add_u32 s6, s6, s20
	s_addc_u32 s7, s7, 0
	v_cmp_lt_i64_e32 vcc, s[6:7], v[8:9]
	v_lshl_add_u64 v[4:5], v[4:5], 0, s[22:23]
	v_lshl_add_u64 v[2:3], v[2:3], 0, s[20:21]
	;; [unrolled: 1-line block ×3, first 2 shown]
	s_and_b64 vcc, exec, vcc
	s_waitcnt vmcnt(15)
	v_lshlrev_b32_e32 v22, 16, v23
	s_waitcnt vmcnt(14)
	v_lshlrev_b32_e32 v23, 16, v28
	s_waitcnt lgkmcnt(14)
	v_sub_f32_e32 v23, v23, v26
	v_mul_f32_e32 v23, v23, v22
	s_waitcnt vmcnt(13)
	v_lshlrev_b32_e32 v24, 16, v29
	s_waitcnt vmcnt(12)
	v_lshlrev_b32_e32 v28, 16, v30
	v_sub_f32_e32 v30, v28, v43
	s_waitcnt lgkmcnt(13)
	v_mul_f32_e32 v23, v23, v25
	s_waitcnt vmcnt(11)
	v_lshlrev_b32_e32 v26, 16, v31
	s_waitcnt vmcnt(10)
	v_lshlrev_b32_e32 v29, 16, v32
	v_mul_f32_e32 v25, v30, v24
	s_waitcnt lgkmcnt(12)
	v_sub_f32_e32 v29, v29, v45
	s_waitcnt vmcnt(9)
	v_lshlrev_b32_e32 v28, 16, v33
	s_waitcnt vmcnt(8)
	v_lshlrev_b32_e32 v31, 16, v34
	s_waitcnt lgkmcnt(11)
	v_mul_f32_e32 v25, v25, v27
	v_mul_f32_e32 v27, v29, v26
	s_waitcnt lgkmcnt(10)
	v_sub_f32_e32 v29, v31, v47
	s_waitcnt vmcnt(6)
	v_lshlrev_b32_e32 v32, 16, v36
	v_pk_add_f32 v[0:1], v[0:1], v[22:23]
	v_lshlrev_b32_e32 v30, 16, v35
	s_waitcnt lgkmcnt(9)
	v_mul_f32_e32 v27, v27, v44
	s_waitcnt vmcnt(4)
	v_lshlrev_b32_e32 v23, 16, v38
	v_mul_f32_e32 v29, v29, v28
	s_waitcnt lgkmcnt(6)
	v_sub_f32_e32 v31, v32, v49
	v_pk_add_f32 v[0:1], v[0:1], v[24:25]
	v_lshlrev_b32_e32 v22, 16, v37
	s_waitcnt vmcnt(2)
	v_lshlrev_b32_e32 v25, 16, v40
	v_mul_f32_e32 v29, v29, v46
	v_mul_f32_e32 v31, v31, v30
	s_waitcnt lgkmcnt(2)
	v_sub_f32_e32 v23, v23, v51
	v_pk_add_f32 v[0:1], v[0:1], v[26:27]
	v_lshlrev_b32_e32 v24, 16, v39
	s_waitcnt vmcnt(0)
	v_lshlrev_b32_e32 v27, 16, v42
	v_mul_f32_e32 v31, v31, v48
	v_mul_f32_e32 v23, v23, v22
	s_waitcnt lgkmcnt(1)
	v_sub_f32_e32 v25, v25, v53
	v_pk_add_f32 v[0:1], v[0:1], v[28:29]
	v_lshlrev_b32_e32 v26, 16, v41
	v_mul_f32_e32 v23, v23, v50
	v_mul_f32_e32 v25, v25, v24
	v_pk_add_f32 v[0:1], v[0:1], v[30:31]
	s_waitcnt lgkmcnt(0)
	v_sub_f32_e32 v21, v27, v21
	v_mul_f32_e32 v25, v25, v52
	v_pk_add_f32 v[0:1], v[0:1], v[22:23]
	v_mul_f32_e32 v21, v21, v26
	v_pk_add_f32 v[0:1], v[0:1], v[24:25]
	;; [unrolled: 2-line block ×3, first 2 shown]
	s_cbranch_vccz .LBB110_10
.LBB110_7:                              ; =>This Inner Loop Header: Depth=1
	v_mov_b32_e32 v22, 0
	v_mov_b32_e32 v21, 0
	s_and_saveexec_b64 s[26:27], s[4:5]
	s_cbranch_execz .LBB110_6
; %bb.8:                                ;   in Loop: Header=BB110_7 Depth=1
	v_cmp_gt_i64_e32 vcc, s[16:17], v[2:3]
	v_mov_b32_e32 v21, 0
	v_mov_b32_e32 v22, 0
	s_and_saveexec_b64 s[28:29], vcc
	s_cbranch_execz .LBB110_5
; %bb.9:                                ;   in Loop: Header=BB110_7 Depth=1
	v_lshl_add_u64 v[26:27], s[12:13], 0, v[4:5]
	v_lshl_add_u64 v[24:25], s[14:15], 0, v[4:5]
	global_load_dword v21, v[26:27], off
	global_load_dword v22, v[24:25], off
	s_branch .LBB110_5
.LBB110_10:
	v_mov_b32_e32 v2, v12
.LBB110_11:
	s_load_dwordx4 s[8:11], s[0:1], 0x30
	v_mad_u32_u24 v3, v2, 33, v10
	v_lshl_add_u32 v4, v3, 2, 0
	ds_write_b32 v4, v1
	ds_write_b32 v4, v0 offset:1056
	v_sub_u32_e32 v0, v3, v2
	s_movk_i32 s0, 0x800
	s_mov_b32 s3, 0
	v_cmp_gt_u32_e32 vcc, s0, v0
	s_waitcnt lgkmcnt(0)
	s_barrier
	s_and_saveexec_b64 s[0:1], vcc
	s_cbranch_execz .LBB110_21
; %bb.12:
	v_lshrrev_b32_e32 v4, 6, v0
	v_and_b32_e32 v5, 63, v0
	v_mbcnt_hi_u32_b32 v0, -1, v11
	v_and_b32_e32 v2, 64, v0
	v_add_u32_e32 v2, 64, v2
	v_xor_b32_e32 v3, 4, v0
	v_cmp_lt_i32_e32 vcc, v3, v2
	s_cmp_lg_u64 s[8:9], 0
	s_cselect_b64 s[6:7], -1, 0
	v_cndmask_b32_e32 v3, v0, v3, vcc
	v_lshlrev_b32_e32 v6, 2, v3
	v_xor_b32_e32 v3, 2, v0
	v_cmp_lt_i32_e32 vcc, v3, v2
	s_cmp_lg_u64 s[10:11], 0
	v_add_u32_e32 v9, -4, v4
	v_cndmask_b32_e32 v3, v0, v3, vcc
	v_lshlrev_b32_e32 v7, 2, v3
	v_xor_b32_e32 v3, 1, v0
	v_cmp_lt_i32_e32 vcc, v3, v2
	v_mov_b32_e32 v1, 0
	v_cmp_eq_u32_e64 s[4:5], 0, v10
	v_cndmask_b32_e32 v0, v0, v3, vcc
	v_lshlrev_b32_e32 v8, 2, v0
	v_lshlrev_b32_e32 v0, 1, v4
	v_mad_u32_u24 v4, v5, 33, v4
	s_cselect_b64 s[14:15], -1, 0
	s_lshl_b64 s[2:3], s[2:3], 6
	v_lshl_add_u32 v10, v4, 2, 0
	v_cndmask_b32_e64 v4, 0, 1, s[6:7]
	v_lshl_add_u64 v[2:3], s[2:3], 0, v[0:1]
	v_cmp_ne_u32_e64 s[2:3], 1, v4
	v_cndmask_b32_e64 v4, 0, 1, s[14:15]
	v_cmp_gt_u32_e64 s[0:1], 8, v5
	s_mov_b64 s[12:13], 0
	v_lshl_add_u64 v[0:1], s[10:11], 0, v[2:3]
	v_lshl_add_u64 v[2:3], s[8:9], 0, v[2:3]
	s_movk_i32 s10, 0x7fff
	v_cmp_ne_u32_e64 s[6:7], 1, v4
	v_mov_b32_e32 v11, 0x7fc0
                                        ; implicit-def: $vgpr4
	s_branch .LBB110_14
.LBB110_13:                             ;   in Loop: Header=BB110_14 Depth=1
	s_or_b64 exec, exec, s[8:9]
	v_add_u32_e32 v9, 4, v9
	v_cmp_lt_u32_e32 vcc, 27, v9
	v_lshl_add_u64 v[0:1], v[0:1], 0, 8
	v_lshl_add_u64 v[2:3], v[2:3], 0, 8
	s_or_b64 s[12:13], vcc, s[12:13]
	v_add_u32_e32 v10, 16, v10
	s_andn2_b64 exec, exec, s[12:13]
	s_cbranch_execz .LBB110_21
.LBB110_14:                             ; =>This Inner Loop Header: Depth=1
	s_and_saveexec_b64 s[8:9], s[0:1]
	s_cbranch_execz .LBB110_16
; %bb.15:                               ;   in Loop: Header=BB110_14 Depth=1
	ds_read_b32 v5, v10
	ds_read_b32 v4, v10 offset:1056
.LBB110_16:                             ;   in Loop: Header=BB110_14 Depth=1
	s_or_b64 exec, exec, s[8:9]
	s_waitcnt lgkmcnt(1)
	ds_bpermute_b32 v13, v6, v5
	s_waitcnt lgkmcnt(1)
	ds_bpermute_b32 v12, v6, v4
	s_waitcnt lgkmcnt(0)
	v_pk_add_f32 v[4:5], v[4:5], v[12:13]
	ds_bpermute_b32 v13, v7, v5
	ds_bpermute_b32 v12, v7, v4
	s_waitcnt lgkmcnt(0)
	v_pk_add_f32 v[4:5], v[4:5], v[12:13]
	ds_bpermute_b32 v13, v8, v5
	ds_bpermute_b32 v12, v8, v4
	s_waitcnt lgkmcnt(0)
	v_pk_add_f32 v[4:5], v[4:5], v[12:13]
	s_and_saveexec_b64 s[8:9], s[4:5]
	s_cbranch_execz .LBB110_13
; %bb.17:                               ;   in Loop: Header=BB110_14 Depth=1
	s_and_b64 vcc, exec, s[2:3]
	s_cbranch_vccnz .LBB110_19
; %bb.18:                               ;   in Loop: Header=BB110_14 Depth=1
	v_bfe_u32 v12, v5, 16, 1
	v_add3_u32 v12, v5, v12, s10
	v_lshrrev_b32_e32 v12, 16, v12
	v_cmp_o_f32_e32 vcc, v5, v5
	s_nop 1
	v_cndmask_b32_e32 v12, v11, v12, vcc
	global_store_short v[2:3], v12, off
.LBB110_19:                             ;   in Loop: Header=BB110_14 Depth=1
	s_and_b64 vcc, exec, s[6:7]
	s_cbranch_vccnz .LBB110_13
; %bb.20:                               ;   in Loop: Header=BB110_14 Depth=1
	v_bfe_u32 v12, v4, 16, 1
	v_add3_u32 v12, v4, v12, s10
	v_lshrrev_b32_e32 v12, 16, v12
	v_cmp_o_f32_e32 vcc, v4, v4
	s_nop 1
	v_cndmask_b32_e32 v12, v11, v12, vcc
	global_store_short v[0:1], v12, off
	s_branch .LBB110_13
.LBB110_21:
	s_endpgm
	.section	.rodata,"a",@progbits
	.p2align	6, 0x0
	.amdhsa_kernel _ZN2at6native12_GLOBAL__N_135GammaBetaBackwardCUDAKernelTemplateIN3c108BFloat16EfLj32ELj8ELj64ELb0ELb1ELb0EEEvllPKT_S7_PKT0_SA_PS5_SB_
		.amdhsa_group_segment_fixed_size 0
		.amdhsa_private_segment_fixed_size 0
		.amdhsa_kernarg_size 320
		.amdhsa_user_sgpr_count 2
		.amdhsa_user_sgpr_dispatch_ptr 0
		.amdhsa_user_sgpr_queue_ptr 0
		.amdhsa_user_sgpr_kernarg_segment_ptr 1
		.amdhsa_user_sgpr_dispatch_id 0
		.amdhsa_user_sgpr_kernarg_preload_length 0
		.amdhsa_user_sgpr_kernarg_preload_offset 0
		.amdhsa_user_sgpr_private_segment_size 0
		.amdhsa_uses_dynamic_stack 0
		.amdhsa_enable_private_segment 0
		.amdhsa_system_sgpr_workgroup_id_x 1
		.amdhsa_system_sgpr_workgroup_id_y 1
		.amdhsa_system_sgpr_workgroup_id_z 0
		.amdhsa_system_sgpr_workgroup_info 0
		.amdhsa_system_vgpr_workitem_id 1
		.amdhsa_next_free_vgpr 55
		.amdhsa_next_free_sgpr 30
		.amdhsa_accum_offset 56
		.amdhsa_reserve_vcc 1
		.amdhsa_float_round_mode_32 0
		.amdhsa_float_round_mode_16_64 0
		.amdhsa_float_denorm_mode_32 3
		.amdhsa_float_denorm_mode_16_64 3
		.amdhsa_dx10_clamp 1
		.amdhsa_ieee_mode 1
		.amdhsa_fp16_overflow 0
		.amdhsa_tg_split 0
		.amdhsa_exception_fp_ieee_invalid_op 0
		.amdhsa_exception_fp_denorm_src 0
		.amdhsa_exception_fp_ieee_div_zero 0
		.amdhsa_exception_fp_ieee_overflow 0
		.amdhsa_exception_fp_ieee_underflow 0
		.amdhsa_exception_fp_ieee_inexact 0
		.amdhsa_exception_int_div_zero 0
	.end_amdhsa_kernel
	.section	.text._ZN2at6native12_GLOBAL__N_135GammaBetaBackwardCUDAKernelTemplateIN3c108BFloat16EfLj32ELj8ELj64ELb0ELb1ELb0EEEvllPKT_S7_PKT0_SA_PS5_SB_,"axG",@progbits,_ZN2at6native12_GLOBAL__N_135GammaBetaBackwardCUDAKernelTemplateIN3c108BFloat16EfLj32ELj8ELj64ELb0ELb1ELb0EEEvllPKT_S7_PKT0_SA_PS5_SB_,comdat
.Lfunc_end110:
	.size	_ZN2at6native12_GLOBAL__N_135GammaBetaBackwardCUDAKernelTemplateIN3c108BFloat16EfLj32ELj8ELj64ELb0ELb1ELb0EEEvllPKT_S7_PKT0_SA_PS5_SB_, .Lfunc_end110-_ZN2at6native12_GLOBAL__N_135GammaBetaBackwardCUDAKernelTemplateIN3c108BFloat16EfLj32ELj8ELj64ELb0ELb1ELb0EEEvllPKT_S7_PKT0_SA_PS5_SB_
                                        ; -- End function
	.section	.AMDGPU.csdata,"",@progbits
; Kernel info:
; codeLenInByte = 1732
; NumSgprs: 36
; NumVgprs: 55
; NumAgprs: 0
; TotalNumVgprs: 55
; ScratchSize: 0
; MemoryBound: 0
; FloatMode: 240
; IeeeMode: 1
; LDSByteSize: 0 bytes/workgroup (compile time only)
; SGPRBlocks: 4
; VGPRBlocks: 6
; NumSGPRsForWavesPerEU: 36
; NumVGPRsForWavesPerEU: 55
; AccumOffset: 56
; Occupancy: 8
; WaveLimiterHint : 0
; COMPUTE_PGM_RSRC2:SCRATCH_EN: 0
; COMPUTE_PGM_RSRC2:USER_SGPR: 2
; COMPUTE_PGM_RSRC2:TRAP_HANDLER: 0
; COMPUTE_PGM_RSRC2:TGID_X_EN: 1
; COMPUTE_PGM_RSRC2:TGID_Y_EN: 1
; COMPUTE_PGM_RSRC2:TGID_Z_EN: 0
; COMPUTE_PGM_RSRC2:TIDIG_COMP_CNT: 1
; COMPUTE_PGM_RSRC3_GFX90A:ACCUM_OFFSET: 13
; COMPUTE_PGM_RSRC3_GFX90A:TG_SPLIT: 0
	.section	.text._ZN2at6native12_GLOBAL__N_135GammaBetaBackwardCUDAKernelTemplateIN3c108BFloat16EfLj32ELj8ELj64ELb0ELb0ELb0EEEvllPKT_S7_PKT0_SA_PS5_SB_,"axG",@progbits,_ZN2at6native12_GLOBAL__N_135GammaBetaBackwardCUDAKernelTemplateIN3c108BFloat16EfLj32ELj8ELj64ELb0ELb0ELb0EEEvllPKT_S7_PKT0_SA_PS5_SB_,comdat
	.globl	_ZN2at6native12_GLOBAL__N_135GammaBetaBackwardCUDAKernelTemplateIN3c108BFloat16EfLj32ELj8ELj64ELb0ELb0ELb0EEEvllPKT_S7_PKT0_SA_PS5_SB_ ; -- Begin function _ZN2at6native12_GLOBAL__N_135GammaBetaBackwardCUDAKernelTemplateIN3c108BFloat16EfLj32ELj8ELj64ELb0ELb0ELb0EEEvllPKT_S7_PKT0_SA_PS5_SB_
	.p2align	8
	.type	_ZN2at6native12_GLOBAL__N_135GammaBetaBackwardCUDAKernelTemplateIN3c108BFloat16EfLj32ELj8ELj64ELb0ELb0ELb0EEEvllPKT_S7_PKT0_SA_PS5_SB_,@function
_ZN2at6native12_GLOBAL__N_135GammaBetaBackwardCUDAKernelTemplateIN3c108BFloat16EfLj32ELj8ELj64ELb0ELb0ELb0EEEvllPKT_S7_PKT0_SA_PS5_SB_: ; @_ZN2at6native12_GLOBAL__N_135GammaBetaBackwardCUDAKernelTemplateIN3c108BFloat16EfLj32ELj8ELj64ELb0ELb0ELb0EEEvllPKT_S7_PKT0_SA_PS5_SB_
; %bb.0:
	s_load_dwordx8 s[8:15], s[0:1], 0x0
	s_load_dwordx4 s[24:27], s[0:1], 0x20
	s_lshl_b32 s33, s2, 5
	s_mov_b32 s16, 0
	s_or_b32 s4, s33, 31
	s_mov_b32 s5, s16
	s_waitcnt lgkmcnt(0)
	v_mov_b64_e32 v[2:3], s[10:11]
	v_cmp_ge_i64_e32 vcc, s[4:5], v[2:3]
	s_lshl_b32 s28, s3, 6
	s_mov_b32 s29, s16
	v_mov_b64_e32 v[2:3], s[8:9]
	v_cmp_lt_i64_e64 s[4:5], s[28:29], v[2:3]
	s_nop 1
	v_cndmask_b32_e64 v1, 0, 1, s[4:5]
	v_cmp_ne_u32_e64 s[4:5], 1, v1
	s_cbranch_vccz .LBB111_48
; %bb.1:
	v_mov_b32_e32 v43, 0
	s_and_b64 vcc, exec, s[4:5]
	v_mov_b32_e32 v42, v43
	s_cbranch_vccnz .LBB111_49
; %bb.2:
	v_mov_b32_e32 v3, 0
	v_bfe_u32 v66, v0, 10, 10
	s_load_dword s3, s[0:1], 0x44
	v_lshlrev_b32_e32 v26, 3, v66
	v_mov_b32_e32 v27, v3
	v_and_b32_e32 v1, 0x3ff, v0
	v_lshl_add_u64 v[4:5], v[26:27], 0, s[28:29]
	v_add_u32_e32 v2, s33, v1
	v_lshl_add_u64 v[6:7], v[4:5], 0, 7
	s_add_u32 s30, s0, 64
	v_cmp_gt_i64_e64 s[6:7], s[10:11], v[2:3]
	v_lshlrev_b64 v[28:29], 1, v[2:3]
	v_mul_lo_u32 v2, s11, v6
	v_mul_lo_u32 v8, s10, v7
	v_mad_u64_u32 v[6:7], s[18:19], s10, v6, 0
	s_addc_u32 s31, s1, 0
	s_waitcnt lgkmcnt(0)
	s_lshl_b32 s3, s3, 6
	v_add3_u32 v7, v7, v8, v2
	v_lshlrev_b64 v[6:7], 1, v[6:7]
	s_mul_i32 s17, s11, s3
	s_mul_hi_u32 s18, s10, s3
	v_lshl_add_u64 v[30:31], s[12:13], 0, v[6:7]
	s_add_i32 s19, s18, s17
	s_mul_i32 s18, s10, s3
	v_lshl_add_u64 v[32:33], s[14:15], 0, v[6:7]
	v_lshl_add_u64 v[6:7], v[4:5], 0, 6
	s_lshl_b64 s[34:35], s[18:19], 1
	v_mul_lo_u32 v2, s11, v6
	v_mul_lo_u32 v8, s10, v7
	v_mad_u64_u32 v[6:7], s[18:19], s10, v6, 0
	v_add3_u32 v7, v7, v8, v2
	v_lshlrev_b64 v[6:7], 1, v[6:7]
	v_lshl_add_u64 v[34:35], s[12:13], 0, v[6:7]
	v_lshl_add_u64 v[36:37], s[14:15], 0, v[6:7]
	v_lshl_add_u64 v[6:7], v[4:5], 0, 5
	v_mul_lo_u32 v2, s11, v6
	v_mul_lo_u32 v8, s10, v7
	v_mad_u64_u32 v[6:7], s[18:19], s10, v6, 0
	v_add3_u32 v7, v7, v8, v2
	v_lshlrev_b64 v[6:7], 1, v[6:7]
	v_lshl_add_u64 v[38:39], s[12:13], 0, v[6:7]
	v_lshl_add_u64 v[40:41], s[14:15], 0, v[6:7]
	v_lshl_add_u64 v[6:7], v[4:5], 0, 4
	;; [unrolled: 8-line block ×4, first 2 shown]
	v_mul_lo_u32 v2, s11, v6
	v_mul_lo_u32 v8, s10, v7
	v_mad_u64_u32 v[6:7], s[18:19], s10, v6, 0
	v_add3_u32 v7, v7, v8, v2
	v_lshlrev_b64 v[6:7], 1, v[6:7]
	v_lshl_add_u64 v[52:53], s[12:13], 0, v[6:7]
	v_lshl_add_u64 v[54:55], s[14:15], 0, v[6:7]
	v_mov_b64_e32 v[6:7], s[10:11]
	v_mad_u64_u32 v[6:7], s[18:19], s10, v4, v[6:7]
	v_mul_lo_u32 v2, s10, v5
	v_mul_lo_u32 v8, s11, v4
	v_mad_u64_u32 v[4:5], s[18:19], s10, v4, 0
	v_add3_u32 v7, v8, v7, v2
	v_add3_u32 v5, v5, v2, v8
	v_mbcnt_lo_u32_b32 v2, -1, 0
	v_mbcnt_hi_u32_b32 v2, -1, v2
	v_lshlrev_b64 v[6:7], 1, v[6:7]
	s_add_u32 s36, s28, 63
	v_lshlrev_b64 v[4:5], 1, v[4:5]
	s_movk_i32 s38, 0xffc1
	s_movk_i32 s40, 0xffc2
	;; [unrolled: 1-line block ×8, first 2 shown]
	v_lshlrev_b32_e32 v2, 2, v2
	v_lshl_add_u64 v[56:57], s[12:13], 0, v[6:7]
	v_lshl_add_u64 v[58:59], s[14:15], 0, v[6:7]
	s_addc_u32 s37, 0, 0
	v_lshl_add_u64 v[60:61], s[12:13], 0, v[4:5]
	v_lshl_add_u64 v[62:63], s[14:15], 0, v[4:5]
	s_mov_b32 s39, -1
	s_mov_b32 s41, -1
	;; [unrolled: 1-line block ×8, first 2 shown]
	v_and_b32_e32 v67, 0x100, v2
	s_mov_b64 s[54:55], s[28:29]
	v_mov_b32_e32 v42, v3
	v_mov_b32_e32 v43, v3
	s_branch .LBB111_5
.LBB111_3:                              ;   in Loop: Header=BB111_5 Depth=1
	s_or_b64 exec, exec, s[18:19]
	s_waitcnt vmcnt(1)
	ds_bpermute_b32 v2, v67, v69
	ds_bpermute_b32 v4, v67, v69 offset:4
	s_waitcnt vmcnt(0)
	ds_bpermute_b32 v5, v67, v68
	ds_bpermute_b32 v6, v67, v68 offset:4
	ds_bpermute_b32 v8, v67, v68 offset:12
	s_waitcnt lgkmcnt(4)
	v_sub_f32_e32 v2, v10, v2
	v_mul_f32_e32 v2, v18, v2
	s_waitcnt lgkmcnt(3)
	v_sub_f32_e32 v4, v11, v4
	s_waitcnt lgkmcnt(2)
	v_mul_f32_e32 v5, v2, v5
	ds_bpermute_b32 v2, v67, v69 offset:8
	v_mul_f32_e32 v4, v19, v4
	s_waitcnt lgkmcnt(2)
	v_mul_f32_e32 v7, v4, v6
	ds_bpermute_b32 v4, v67, v68 offset:8
	ds_bpermute_b32 v6, v67, v69 offset:12
	s_waitcnt lgkmcnt(2)
	v_sub_f32_e32 v2, v12, v2
	v_mul_f32_e32 v2, v20, v2
	v_mov_b32_e32 v10, v21
	s_waitcnt lgkmcnt(1)
	v_mul_f32_e32 v9, v2, v4
	s_waitcnt lgkmcnt(0)
	v_sub_f32_e32 v2, v13, v6
	ds_bpermute_b32 v4, v67, v69 offset:16
	v_mul_f32_e32 v2, v21, v2
	v_mul_f32_e32 v11, v2, v8
	ds_bpermute_b32 v2, v67, v68 offset:16
	ds_bpermute_b32 v6, v67, v69 offset:20
	;; [unrolled: 1-line block ×3, first 2 shown]
	s_waitcnt lgkmcnt(3)
	v_sub_f32_e32 v4, v14, v4
	v_mul_f32_e32 v4, v22, v4
	s_waitcnt lgkmcnt(2)
	v_mul_f32_e32 v13, v4, v2
	s_waitcnt lgkmcnt(1)
	v_sub_f32_e32 v2, v15, v6
	v_mul_f32_e32 v2, v23, v2
	s_waitcnt lgkmcnt(0)
	v_mul_f32_e32 v15, v2, v8
	v_mov_b32_e32 v4, v18
	ds_bpermute_b32 v2, v67, v69 offset:24
	v_pk_add_f32 v[4:5], v[42:43], v[4:5]
	v_mov_b32_e32 v6, v19
	v_pk_add_f32 v[4:5], v[6:7], v[4:5]
	ds_bpermute_b32 v7, v67, v68 offset:24
	v_mov_b32_e32 v8, v20
	v_pk_add_f32 v[4:5], v[8:9], v[4:5]
	v_mov_b32_e32 v12, v22
	v_pk_add_f32 v[4:5], v[10:11], v[4:5]
	s_waitcnt lgkmcnt(1)
	v_sub_f32_e32 v8, v16, v2
	v_pk_add_f32 v[4:5], v[12:13], v[4:5]
	v_mov_b32_e32 v14, v23
	v_mul_f32_e32 v8, v24, v8
	v_pk_add_f32 v[4:5], v[14:15], v[4:5]
	s_waitcnt lgkmcnt(0)
	v_mul_f32_e32 v9, v8, v7
	v_mov_b32_e32 v8, v24
	ds_bpermute_b32 v2, v67, v68 offset:28
	ds_bpermute_b32 v6, v67, v69 offset:28
	v_pk_add_f32 v[4:5], v[8:9], v[4:5]
.LBB111_4:                              ;   in Loop: Header=BB111_5 Depth=1
	s_waitcnt lgkmcnt(0)
	v_sub_f32_e32 v6, v17, v6
	v_mul_f32_e32 v6, v25, v6
	v_mul_f32_e32 v7, v6, v2
	v_mov_b32_e32 v6, v25
	s_add_u32 s54, s54, s3
	v_pk_add_f32 v[42:43], v[4:5], v[6:7]
	s_addc_u32 s55, s55, 0
	v_mov_b64_e32 v[4:5], s[8:9]
	s_add_u32 s36, s36, s3
	v_cmp_lt_i64_e32 vcc, s[54:55], v[4:5]
	v_lshl_add_u64 v[30:31], v[30:31], 0, s[34:35]
	v_lshl_add_u64 v[32:33], v[32:33], 0, s[34:35]
	;; [unrolled: 1-line block ×14, first 2 shown]
	s_addc_u32 s37, s37, 0
	v_lshl_add_u64 v[60:61], v[60:61], 0, s[34:35]
	v_lshl_add_u64 v[62:63], v[62:63], 0, s[34:35]
	s_cbranch_vccz .LBB111_49
.LBB111_5:                              ; =>This Inner Loop Header: Depth=1
	v_mov_b64_e32 v[4:5], s[8:9]
	v_cmp_ge_i64_e32 vcc, s[36:37], v[4:5]
	v_lshl_add_u64 v[64:65], v[26:27], 0, s[36:37]
	s_cbranch_vccz .LBB111_27
; %bb.6:                                ;   in Loop: Header=BB111_5 Depth=1
	s_load_dword s17, s[30:31], 0xc
	v_mov_b32_e32 v68, 0
	v_mov_b32_e32 v69, 0
	s_waitcnt lgkmcnt(0)
	s_and_b32 s17, s17, 0xffff
	v_mad_u32_u24 v2, v66, s17, v1
	v_and_b32_e32 v2, 63, v2
	v_cmp_gt_u32_e32 vcc, 8, v2
	s_and_saveexec_b64 s[18:19], vcc
	s_cbranch_execz .LBB111_10
; %bb.7:                                ;   in Loop: Header=BB111_5 Depth=1
	v_lshl_add_u64 v[4:5], v[64:65], 0, v[2:3]
	v_lshl_add_u64 v[4:5], v[4:5], 0, s[38:39]
	v_cmp_gt_i64_e32 vcc, s[8:9], v[4:5]
	v_mov_b32_e32 v69, 0
	v_mov_b32_e32 v68, 0
	s_and_saveexec_b64 s[20:21], vcc
	s_cbranch_execz .LBB111_9
; %bb.8:                                ;   in Loop: Header=BB111_5 Depth=1
	v_lshlrev_b64 v[4:5], 2, v[4:5]
	v_lshl_add_u64 v[6:7], s[26:27], 0, v[4:5]
	v_lshl_add_u64 v[4:5], s[24:25], 0, v[4:5]
	global_load_dword v69, v[4:5], off
	global_load_dword v68, v[6:7], off
.LBB111_9:                              ;   in Loop: Header=BB111_5 Depth=1
	s_or_b64 exec, exec, s[20:21]
.LBB111_10:                             ;   in Loop: Header=BB111_5 Depth=1
	s_or_b64 exec, exec, s[18:19]
	s_mov_b32 s17, s16
	s_mov_b32 s18, s16
	;; [unrolled: 1-line block ×7, first 2 shown]
	v_mov_b64_e32 v[10:11], s[16:17]
	v_lshl_add_u64 v[4:5], v[64:65], 0, s[38:39]
	v_mov_b64_e32 v[16:17], s[22:23]
	v_cmp_gt_i64_e32 vcc, s[8:9], v[4:5]
	v_mov_b64_e32 v[12:13], s[18:19]
	v_mov_b64_e32 v[14:15], s[20:21]
	;; [unrolled: 1-line block ×3, first 2 shown]
	s_and_b64 s[56:57], s[6:7], vcc
	v_mov_b64_e32 v[22:23], v[14:15]
	v_mov_b64_e32 v[20:21], v[12:13]
	;; [unrolled: 1-line block ×3, first 2 shown]
	s_and_saveexec_b64 s[18:19], s[56:57]
	s_cbranch_execz .LBB111_12
; %bb.11:                               ;   in Loop: Header=BB111_5 Depth=1
	v_lshl_add_u64 v[4:5], v[60:61], 0, v[28:29]
	global_load_ushort v2, v[4:5], off
	v_lshl_add_u64 v[4:5], v[62:63], 0, v[28:29]
	global_load_ushort v10, v[4:5], off
	v_mov_b32_e32 v8, v3
	v_mov_b32_e32 v9, v3
	;; [unrolled: 1-line block ×13, first 2 shown]
	s_waitcnt vmcnt(1)
	v_lshlrev_b32_e32 v2, 16, v2
	v_mov_b64_e32 v[24:25], v[8:9]
	s_waitcnt vmcnt(0)
	v_lshlrev_b32_e32 v10, 16, v10
	v_mov_b64_e32 v[22:23], v[6:7]
	v_mov_b64_e32 v[20:21], v[4:5]
	;; [unrolled: 1-line block ×3, first 2 shown]
.LBB111_12:                             ;   in Loop: Header=BB111_5 Depth=1
	s_or_b64 exec, exec, s[18:19]
	v_lshl_add_u64 v[4:5], v[64:65], 0, s[40:41]
	v_cmp_gt_i64_e32 vcc, s[8:9], v[4:5]
	s_and_b64 s[20:21], s[6:7], vcc
	s_and_saveexec_b64 s[18:19], s[20:21]
	s_cbranch_execz .LBB111_14
; %bb.13:                               ;   in Loop: Header=BB111_5 Depth=1
	v_lshl_add_u64 v[4:5], v[56:57], 0, v[28:29]
	global_load_ushort v2, v[4:5], off
	v_lshl_add_u64 v[4:5], v[58:59], 0, v[28:29]
	global_load_ushort v4, v[4:5], off
	s_waitcnt vmcnt(1)
	v_lshlrev_b32_e32 v19, 16, v2
	s_waitcnt vmcnt(0)
	v_lshlrev_b32_e32 v11, 16, v4
.LBB111_14:                             ;   in Loop: Header=BB111_5 Depth=1
	s_or_b64 exec, exec, s[18:19]
	v_lshl_add_u64 v[4:5], v[64:65], 0, s[42:43]
	v_cmp_gt_i64_e32 vcc, s[8:9], v[4:5]
	s_and_b64 s[20:21], s[6:7], vcc
	s_and_saveexec_b64 s[18:19], s[20:21]
	s_cbranch_execz .LBB111_16
; %bb.15:                               ;   in Loop: Header=BB111_5 Depth=1
	v_lshl_add_u64 v[4:5], v[52:53], 0, v[28:29]
	global_load_ushort v2, v[4:5], off
	v_lshl_add_u64 v[4:5], v[54:55], 0, v[28:29]
	global_load_ushort v4, v[4:5], off
	s_waitcnt vmcnt(1)
	v_lshlrev_b32_e32 v20, 16, v2
	s_waitcnt vmcnt(0)
	v_lshlrev_b32_e32 v12, 16, v4
.LBB111_16:                             ;   in Loop: Header=BB111_5 Depth=1
	s_or_b64 exec, exec, s[18:19]
	v_lshl_add_u64 v[4:5], v[64:65], 0, s[44:45]
	v_cmp_gt_i64_e32 vcc, s[8:9], v[4:5]
	s_and_b64 s[20:21], s[6:7], vcc
	s_and_saveexec_b64 s[18:19], s[20:21]
	s_cbranch_execz .LBB111_18
; %bb.17:                               ;   in Loop: Header=BB111_5 Depth=1
	v_lshl_add_u64 v[4:5], v[48:49], 0, v[28:29]
	global_load_ushort v2, v[4:5], off
	v_lshl_add_u64 v[4:5], v[50:51], 0, v[28:29]
	global_load_ushort v4, v[4:5], off
	s_waitcnt vmcnt(1)
	v_lshlrev_b32_e32 v21, 16, v2
	s_waitcnt vmcnt(0)
	v_lshlrev_b32_e32 v13, 16, v4
.LBB111_18:                             ;   in Loop: Header=BB111_5 Depth=1
	s_or_b64 exec, exec, s[18:19]
	v_lshl_add_u64 v[4:5], v[64:65], 0, s[46:47]
	v_cmp_gt_i64_e32 vcc, s[8:9], v[4:5]
	s_and_b64 s[20:21], s[6:7], vcc
	s_and_saveexec_b64 s[18:19], s[20:21]
	s_cbranch_execz .LBB111_20
; %bb.19:                               ;   in Loop: Header=BB111_5 Depth=1
	v_lshl_add_u64 v[4:5], v[44:45], 0, v[28:29]
	global_load_ushort v2, v[4:5], off
	v_lshl_add_u64 v[4:5], v[46:47], 0, v[28:29]
	global_load_ushort v4, v[4:5], off
	s_waitcnt vmcnt(1)
	v_lshlrev_b32_e32 v22, 16, v2
	s_waitcnt vmcnt(0)
	v_lshlrev_b32_e32 v14, 16, v4
.LBB111_20:                             ;   in Loop: Header=BB111_5 Depth=1
	s_or_b64 exec, exec, s[18:19]
	v_lshl_add_u64 v[4:5], v[64:65], 0, s[48:49]
	v_cmp_gt_i64_e32 vcc, s[8:9], v[4:5]
	s_and_b64 s[20:21], s[6:7], vcc
	s_and_saveexec_b64 s[18:19], s[20:21]
	s_cbranch_execz .LBB111_22
; %bb.21:                               ;   in Loop: Header=BB111_5 Depth=1
	v_lshl_add_u64 v[4:5], v[38:39], 0, v[28:29]
	global_load_ushort v2, v[4:5], off
	v_lshl_add_u64 v[4:5], v[40:41], 0, v[28:29]
	global_load_ushort v4, v[4:5], off
	s_waitcnt vmcnt(1)
	v_lshlrev_b32_e32 v23, 16, v2
	s_waitcnt vmcnt(0)
	v_lshlrev_b32_e32 v15, 16, v4
.LBB111_22:                             ;   in Loop: Header=BB111_5 Depth=1
	s_or_b64 exec, exec, s[18:19]
	v_lshl_add_u64 v[4:5], v[64:65], 0, s[50:51]
	v_cmp_gt_i64_e32 vcc, s[8:9], v[4:5]
	s_and_b64 s[20:21], s[6:7], vcc
	s_and_saveexec_b64 s[18:19], s[20:21]
	s_cbranch_execz .LBB111_24
; %bb.23:                               ;   in Loop: Header=BB111_5 Depth=1
	v_lshl_add_u64 v[4:5], v[34:35], 0, v[28:29]
	global_load_ushort v2, v[4:5], off
	v_lshl_add_u64 v[4:5], v[36:37], 0, v[28:29]
	global_load_ushort v4, v[4:5], off
	s_waitcnt vmcnt(1)
	v_lshlrev_b32_e32 v24, 16, v2
	s_waitcnt vmcnt(0)
	v_lshlrev_b32_e32 v16, 16, v4
.LBB111_24:                             ;   in Loop: Header=BB111_5 Depth=1
	s_or_b64 exec, exec, s[18:19]
	v_lshl_add_u64 v[4:5], v[64:65], 0, s[52:53]
	v_cmp_gt_i64_e32 vcc, s[8:9], v[4:5]
	s_and_b64 s[20:21], s[6:7], vcc
	s_and_saveexec_b64 s[18:19], s[20:21]
	s_cbranch_execz .LBB111_26
; %bb.25:                               ;   in Loop: Header=BB111_5 Depth=1
	v_lshl_add_u64 v[4:5], v[30:31], 0, v[28:29]
	global_load_ushort v2, v[4:5], off
	v_lshl_add_u64 v[4:5], v[32:33], 0, v[28:29]
	global_load_ushort v4, v[4:5], off
	s_waitcnt vmcnt(1)
	v_lshlrev_b32_e32 v25, 16, v2
	s_waitcnt vmcnt(0)
	v_lshlrev_b32_e32 v17, 16, v4
.LBB111_26:                             ;   in Loop: Header=BB111_5 Depth=1
	s_or_b64 exec, exec, s[18:19]
	s_waitcnt vmcnt(1)
	ds_bpermute_b32 v2, v67, v69
	ds_bpermute_b32 v4, v67, v69 offset:4
	s_waitcnt vmcnt(0)
	ds_bpermute_b32 v5, v67, v68
	ds_bpermute_b32 v6, v67, v68 offset:4
	ds_bpermute_b32 v8, v67, v68 offset:12
	s_waitcnt lgkmcnt(4)
	v_sub_f32_e32 v2, v10, v2
	v_mul_f32_e32 v2, v18, v2
	s_waitcnt lgkmcnt(3)
	v_sub_f32_e32 v4, v11, v4
	s_waitcnt lgkmcnt(2)
	v_mul_f32_e32 v5, v2, v5
	ds_bpermute_b32 v2, v67, v69 offset:8
	v_mul_f32_e32 v4, v19, v4
	s_waitcnt lgkmcnt(2)
	v_mul_f32_e32 v7, v4, v6
	ds_bpermute_b32 v4, v67, v68 offset:8
	ds_bpermute_b32 v6, v67, v69 offset:12
	s_waitcnt lgkmcnt(2)
	v_sub_f32_e32 v2, v12, v2
	v_mul_f32_e32 v2, v20, v2
	v_mov_b32_e32 v10, v21
	s_waitcnt lgkmcnt(1)
	v_mul_f32_e32 v9, v2, v4
	s_waitcnt lgkmcnt(0)
	v_sub_f32_e32 v2, v13, v6
	ds_bpermute_b32 v4, v67, v69 offset:16
	v_mul_f32_e32 v2, v21, v2
	v_mul_f32_e32 v11, v2, v8
	ds_bpermute_b32 v2, v67, v68 offset:16
	ds_bpermute_b32 v6, v67, v69 offset:20
	;; [unrolled: 1-line block ×3, first 2 shown]
	s_waitcnt lgkmcnt(3)
	v_sub_f32_e32 v4, v14, v4
	v_mul_f32_e32 v4, v22, v4
	s_waitcnt lgkmcnt(2)
	v_mul_f32_e32 v13, v4, v2
	s_waitcnt lgkmcnt(1)
	v_sub_f32_e32 v2, v15, v6
	v_mul_f32_e32 v2, v23, v2
	s_waitcnt lgkmcnt(0)
	v_mul_f32_e32 v15, v2, v8
	ds_bpermute_b32 v2, v67, v69 offset:24
	v_mov_b32_e32 v4, v18
	v_pk_add_f32 v[4:5], v[42:43], v[4:5]
	v_mov_b32_e32 v6, v19
	v_pk_add_f32 v[4:5], v[6:7], v[4:5]
	ds_bpermute_b32 v7, v67, v68 offset:24
	v_mov_b32_e32 v8, v20
	s_waitcnt lgkmcnt(1)
	v_sub_f32_e32 v2, v16, v2
	v_pk_add_f32 v[4:5], v[8:9], v[4:5]
	v_mul_f32_e32 v8, v24, v2
	ds_bpermute_b32 v2, v67, v68 offset:28
	ds_bpermute_b32 v6, v67, v69 offset:28
	v_pk_add_f32 v[4:5], v[10:11], v[4:5]
	v_mov_b32_e32 v12, v22
	v_pk_add_f32 v[4:5], v[12:13], v[4:5]
	v_mov_b32_e32 v14, v23
	v_pk_add_f32 v[4:5], v[14:15], v[4:5]
	s_waitcnt lgkmcnt(2)
	v_mul_f32_e32 v9, v8, v7
	v_mov_b32_e32 v8, v24
	v_pk_add_f32 v[4:5], v[8:9], v[4:5]
	s_branch .LBB111_4
.LBB111_27:                             ;   in Loop: Header=BB111_5 Depth=1
                                        ; implicit-def: $vgpr4_vgpr5
                                        ; implicit-def: $vgpr2
                                        ; implicit-def: $vgpr10_vgpr11_vgpr12_vgpr13_vgpr14_vgpr15_vgpr16_vgpr17
                                        ; implicit-def: $vgpr18_vgpr19_vgpr20_vgpr21_vgpr22_vgpr23_vgpr24_vgpr25
                                        ; implicit-def: $vgpr6
	s_cbranch_execz .LBB111_4
; %bb.28:                               ;   in Loop: Header=BB111_5 Depth=1
	s_load_dword s17, s[30:31], 0x0
	v_mov_b32_e32 v68, 0
	v_mov_b32_e32 v69, 0
	s_waitcnt lgkmcnt(0)
	s_cmp_lt_u32 s2, s17
	s_cselect_b32 s17, 12, 18
	s_add_u32 s18, s30, s17
	s_addc_u32 s19, s31, 0
	global_load_ushort v2, v3, s[18:19]
	s_waitcnt vmcnt(0)
	v_mad_u32_u24 v2, v66, v2, v1
	v_and_b32_e32 v2, 63, v2
	v_cmp_gt_u32_e32 vcc, 8, v2
	s_and_saveexec_b64 s[18:19], vcc
	s_cbranch_execz .LBB111_32
; %bb.29:                               ;   in Loop: Header=BB111_5 Depth=1
	v_lshl_add_u64 v[4:5], v[64:65], 0, v[2:3]
	v_lshl_add_u64 v[4:5], v[4:5], 0, s[38:39]
	v_cmp_gt_i64_e32 vcc, s[8:9], v[4:5]
	v_mov_b32_e32 v69, 0
	v_mov_b32_e32 v68, 0
	s_and_saveexec_b64 s[20:21], vcc
	s_cbranch_execz .LBB111_31
; %bb.30:                               ;   in Loop: Header=BB111_5 Depth=1
	v_lshlrev_b64 v[4:5], 2, v[4:5]
	v_lshl_add_u64 v[6:7], s[26:27], 0, v[4:5]
	v_lshl_add_u64 v[4:5], s[24:25], 0, v[4:5]
	global_load_dword v69, v[4:5], off
	global_load_dword v68, v[6:7], off
.LBB111_31:                             ;   in Loop: Header=BB111_5 Depth=1
	s_or_b64 exec, exec, s[20:21]
.LBB111_32:                             ;   in Loop: Header=BB111_5 Depth=1
	s_or_b64 exec, exec, s[18:19]
	s_mov_b32 s17, s16
	s_mov_b32 s18, s16
	;; [unrolled: 1-line block ×7, first 2 shown]
	v_mov_b64_e32 v[10:11], s[16:17]
	v_mov_b64_e32 v[16:17], s[22:23]
	;; [unrolled: 1-line block ×8, first 2 shown]
	s_and_saveexec_b64 s[18:19], s[6:7]
	s_cbranch_execnz .LBB111_40
; %bb.33:                               ;   in Loop: Header=BB111_5 Depth=1
	s_or_b64 exec, exec, s[18:19]
	s_and_saveexec_b64 s[18:19], s[6:7]
	s_cbranch_execnz .LBB111_41
.LBB111_34:                             ;   in Loop: Header=BB111_5 Depth=1
	s_or_b64 exec, exec, s[18:19]
	s_and_saveexec_b64 s[18:19], s[6:7]
	s_cbranch_execnz .LBB111_42
.LBB111_35:                             ;   in Loop: Header=BB111_5 Depth=1
	s_or_b64 exec, exec, s[18:19]
	s_and_saveexec_b64 s[18:19], s[6:7]
	s_cbranch_execnz .LBB111_43
.LBB111_36:                             ;   in Loop: Header=BB111_5 Depth=1
	s_or_b64 exec, exec, s[18:19]
	s_and_saveexec_b64 s[18:19], s[6:7]
	s_cbranch_execnz .LBB111_44
.LBB111_37:                             ;   in Loop: Header=BB111_5 Depth=1
	s_or_b64 exec, exec, s[18:19]
	s_and_saveexec_b64 s[18:19], s[6:7]
	s_cbranch_execnz .LBB111_45
.LBB111_38:                             ;   in Loop: Header=BB111_5 Depth=1
	s_or_b64 exec, exec, s[18:19]
	s_and_saveexec_b64 s[18:19], s[6:7]
	s_cbranch_execnz .LBB111_46
.LBB111_39:                             ;   in Loop: Header=BB111_5 Depth=1
	s_or_b64 exec, exec, s[18:19]
	s_and_saveexec_b64 s[18:19], s[6:7]
	s_cbranch_execz .LBB111_3
	s_branch .LBB111_47
.LBB111_40:                             ;   in Loop: Header=BB111_5 Depth=1
	v_lshl_add_u64 v[4:5], v[60:61], 0, v[28:29]
	global_load_ushort v2, v[4:5], off
	v_lshl_add_u64 v[4:5], v[62:63], 0, v[28:29]
	global_load_ushort v10, v[4:5], off
	v_mov_b32_e32 v8, v3
	v_mov_b32_e32 v9, v3
	v_mov_b32_e32 v4, v3
	v_mov_b32_e32 v5, v3
	v_mov_b32_e32 v6, v3
	v_mov_b32_e32 v7, v3
	v_mov_b32_e32 v11, v3
	v_mov_b32_e32 v12, v3
	v_mov_b32_e32 v13, v3
	v_mov_b32_e32 v14, v3
	v_mov_b32_e32 v15, v3
	v_mov_b32_e32 v16, v3
	v_mov_b32_e32 v17, v3
	s_waitcnt vmcnt(1)
	v_lshlrev_b32_e32 v2, 16, v2
	v_mov_b64_e32 v[24:25], v[8:9]
	s_waitcnt vmcnt(0)
	v_lshlrev_b32_e32 v10, 16, v10
	v_mov_b64_e32 v[22:23], v[6:7]
	v_mov_b64_e32 v[20:21], v[4:5]
	;; [unrolled: 1-line block ×3, first 2 shown]
	s_or_b64 exec, exec, s[18:19]
	s_and_saveexec_b64 s[18:19], s[6:7]
	s_cbranch_execz .LBB111_34
.LBB111_41:                             ;   in Loop: Header=BB111_5 Depth=1
	v_lshl_add_u64 v[4:5], v[56:57], 0, v[28:29]
	global_load_ushort v2, v[4:5], off
	v_lshl_add_u64 v[4:5], v[58:59], 0, v[28:29]
	global_load_ushort v4, v[4:5], off
	s_waitcnt vmcnt(1)
	v_lshlrev_b32_e32 v19, 16, v2
	s_waitcnt vmcnt(0)
	v_lshlrev_b32_e32 v11, 16, v4
	s_or_b64 exec, exec, s[18:19]
	s_and_saveexec_b64 s[18:19], s[6:7]
	s_cbranch_execz .LBB111_35
.LBB111_42:                             ;   in Loop: Header=BB111_5 Depth=1
	v_lshl_add_u64 v[4:5], v[52:53], 0, v[28:29]
	global_load_ushort v2, v[4:5], off
	v_lshl_add_u64 v[4:5], v[54:55], 0, v[28:29]
	global_load_ushort v4, v[4:5], off
	s_waitcnt vmcnt(1)
	v_lshlrev_b32_e32 v20, 16, v2
	s_waitcnt vmcnt(0)
	v_lshlrev_b32_e32 v12, 16, v4
	s_or_b64 exec, exec, s[18:19]
	s_and_saveexec_b64 s[18:19], s[6:7]
	s_cbranch_execz .LBB111_36
.LBB111_43:                             ;   in Loop: Header=BB111_5 Depth=1
	v_lshl_add_u64 v[4:5], v[48:49], 0, v[28:29]
	global_load_ushort v2, v[4:5], off
	v_lshl_add_u64 v[4:5], v[50:51], 0, v[28:29]
	global_load_ushort v4, v[4:5], off
	s_waitcnt vmcnt(1)
	v_lshlrev_b32_e32 v21, 16, v2
	s_waitcnt vmcnt(0)
	v_lshlrev_b32_e32 v13, 16, v4
	s_or_b64 exec, exec, s[18:19]
	s_and_saveexec_b64 s[18:19], s[6:7]
	s_cbranch_execz .LBB111_37
.LBB111_44:                             ;   in Loop: Header=BB111_5 Depth=1
	v_lshl_add_u64 v[4:5], v[44:45], 0, v[28:29]
	global_load_ushort v2, v[4:5], off
	v_lshl_add_u64 v[4:5], v[46:47], 0, v[28:29]
	global_load_ushort v4, v[4:5], off
	s_waitcnt vmcnt(1)
	v_lshlrev_b32_e32 v22, 16, v2
	s_waitcnt vmcnt(0)
	v_lshlrev_b32_e32 v14, 16, v4
	s_or_b64 exec, exec, s[18:19]
	s_and_saveexec_b64 s[18:19], s[6:7]
	s_cbranch_execz .LBB111_38
.LBB111_45:                             ;   in Loop: Header=BB111_5 Depth=1
	v_lshl_add_u64 v[4:5], v[38:39], 0, v[28:29]
	global_load_ushort v2, v[4:5], off
	v_lshl_add_u64 v[4:5], v[40:41], 0, v[28:29]
	global_load_ushort v4, v[4:5], off
	s_waitcnt vmcnt(1)
	v_lshlrev_b32_e32 v23, 16, v2
	s_waitcnt vmcnt(0)
	v_lshlrev_b32_e32 v15, 16, v4
	s_or_b64 exec, exec, s[18:19]
	s_and_saveexec_b64 s[18:19], s[6:7]
	s_cbranch_execz .LBB111_39
.LBB111_46:                             ;   in Loop: Header=BB111_5 Depth=1
	v_lshl_add_u64 v[4:5], v[34:35], 0, v[28:29]
	global_load_ushort v2, v[4:5], off
	v_lshl_add_u64 v[4:5], v[36:37], 0, v[28:29]
	global_load_ushort v4, v[4:5], off
	s_waitcnt vmcnt(1)
	v_lshlrev_b32_e32 v24, 16, v2
	s_waitcnt vmcnt(0)
	v_lshlrev_b32_e32 v16, 16, v4
	s_or_b64 exec, exec, s[18:19]
	s_and_saveexec_b64 s[18:19], s[6:7]
	s_cbranch_execz .LBB111_3
.LBB111_47:                             ;   in Loop: Header=BB111_5 Depth=1
	v_lshl_add_u64 v[4:5], v[30:31], 0, v[28:29]
	global_load_ushort v2, v[4:5], off
	v_lshl_add_u64 v[4:5], v[32:33], 0, v[28:29]
	global_load_ushort v4, v[4:5], off
	s_waitcnt vmcnt(1)
	v_lshlrev_b32_e32 v25, 16, v2
	s_waitcnt vmcnt(0)
	v_lshlrev_b32_e32 v17, 16, v4
	s_branch .LBB111_3
.LBB111_48:
                                        ; implicit-def: $vgpr43
	s_branch .LBB111_50
.LBB111_49:
	s_cbranch_execnz .LBB111_81
.LBB111_50:
	v_mov_b32_e32 v43, 0
	s_mov_b32 s16, 0
	s_and_b64 vcc, exec, s[4:5]
	v_mov_b32_e32 v42, v43
	s_cbranch_vccnz .LBB111_81
; %bb.51:
	v_and_b32_e32 v1, 0x3ff, v0
	v_add_u32_e32 v2, s33, v1
	v_mov_b32_e32 v3, 0
	v_bfe_u32 v96, v0, 10, 10
	v_lshlrev_b64 v[28:29], 1, v[2:3]
	v_lshlrev_b32_e32 v2, 4, v96
	v_lshl_add_u64 v[4:5], s[28:29], 1, v[2:3]
	v_lshl_add_u64 v[6:7], v[4:5], 0, 2
	v_mov_b64_e32 v[8:9], s[12:13]
	v_lshl_add_u64 v[10:11], v[4:5], 0, 4
	v_lshl_add_u64 v[12:13], v[4:5], 0, 6
	;; [unrolled: 1-line block ×6, first 2 shown]
	v_mad_u64_u32 v[30:31], s[4:5], s10, v6, v[8:9]
	v_mad_u64_u32 v[32:33], s[4:5], s10, v10, v[8:9]
	;; [unrolled: 1-line block ×7, first 2 shown]
	v_mov_b64_e32 v[8:9], s[14:15]
	v_lshlrev_b32_e32 v26, 3, v96
	v_mov_b32_e32 v27, v3
	v_mul_lo_u32 v2, s10, v7
	v_mul_lo_u32 v7, s11, v6
	v_mad_u64_u32 v[46:47], s[4:5], s10, v6, v[8:9]
	v_add3_u32 v31, v7, v31, v2
	v_mul_lo_u32 v5, s10, v5
	v_mul_lo_u32 v25, s11, v4
	v_add3_u32 v47, v7, v47, v2
	v_lshl_add_u64 v[6:7], v[26:27], 0, s[28:29]
	v_mad_u64_u32 v[58:59], s[4:5], s10, v4, v[8:9]
	v_add3_u32 v45, v25, v45, v5
	v_add3_u32 v59, v25, v59, v5
	v_lshl_add_u64 v[4:5], v[6:7], 0, 7
	v_mad_u64_u32 v[48:49], s[4:5], s10, v10, v[8:9]
	v_mad_u64_u32 v[50:51], s[4:5], s10, v12, v[8:9]
	;; [unrolled: 1-line block ×5, first 2 shown]
	v_mul_lo_u32 v8, s11, v4
	v_mul_lo_u32 v9, s10, v5
	v_mad_u64_u32 v[4:5], s[4:5], s10, v4, 0
	v_mul_lo_u32 v11, s10, v11
	v_mul_lo_u32 v20, s11, v10
	v_add3_u32 v5, v5, v9, v8
	v_lshl_add_u64 v[8:9], v[6:7], 0, 6
	v_add3_u32 v33, v20, v33, v11
	v_add3_u32 v49, v20, v49, v11
	v_mul_lo_u32 v10, s11, v8
	v_mul_lo_u32 v11, s10, v9
	v_mad_u64_u32 v[8:9], s[4:5], s10, v8, 0
	v_mul_lo_u32 v13, s10, v13
	v_mul_lo_u32 v21, s11, v12
	v_add3_u32 v9, v9, v11, v10
	v_lshl_add_u64 v[10:11], v[6:7], 0, 5
	v_add3_u32 v35, v21, v35, v13
	v_add3_u32 v51, v21, v51, v13
	;; [unrolled: 9-line block ×4, first 2 shown]
	v_mul_lo_u32 v16, s11, v14
	v_mul_lo_u32 v17, s10, v15
	v_mad_u64_u32 v[14:15], s[4:5], s10, v14, 0
	v_mul_lo_u32 v19, s10, v19
	v_mul_lo_u32 v24, s11, v18
	v_add3_u32 v15, v15, v17, v16
	v_lshl_add_u64 v[16:17], v[6:7], 0, 2
	s_load_dword s3, s[0:1], 0x44
	v_lshlrev_b64 v[4:5], 1, v[4:5]
	v_add3_u32 v41, v24, v41, v19
	v_add3_u32 v57, v24, v57, v19
	v_mul_lo_u32 v18, s11, v16
	v_mul_lo_u32 v19, s10, v17
	v_mad_u64_u32 v[16:17], s[4:5], s10, v16, 0
	v_lshl_add_u64 v[64:65], s[12:13], 0, v[4:5]
	v_lshl_add_u64 v[66:67], s[14:15], 0, v[4:5]
	v_lshlrev_b64 v[4:5], 1, v[8:9]
	v_add3_u32 v17, v17, v19, v18
	v_mov_b64_e32 v[18:19], s[10:11]
	v_lshl_add_u64 v[68:69], s[12:13], 0, v[4:5]
	v_lshl_add_u64 v[70:71], s[14:15], 0, v[4:5]
	v_lshlrev_b64 v[4:5], 1, v[10:11]
	v_mul_lo_u32 v2, s11, v6
	v_mad_u64_u32 v[18:19], s[4:5], s10, v6, v[18:19]
	v_mul_lo_u32 v20, s10, v7
	v_mad_u64_u32 v[6:7], s[4:5], s10, v6, 0
	v_lshl_add_u64 v[72:73], s[12:13], 0, v[4:5]
	v_lshl_add_u64 v[74:75], s[14:15], 0, v[4:5]
	v_lshlrev_b64 v[4:5], 1, v[12:13]
	s_add_u32 s4, s0, 64
	v_lshl_add_u64 v[76:77], s[12:13], 0, v[4:5]
	v_lshl_add_u64 v[78:79], s[14:15], 0, v[4:5]
	v_lshlrev_b64 v[4:5], 1, v[14:15]
	v_add3_u32 v7, v7, v20, v2
	v_add3_u32 v19, v2, v19, v20
	s_addc_u32 s5, s1, 0
	s_waitcnt lgkmcnt(0)
	s_lshl_b32 s3, s3, 6
	v_lshl_add_u64 v[80:81], s[12:13], 0, v[4:5]
	v_lshl_add_u64 v[82:83], s[14:15], 0, v[4:5]
	v_lshlrev_b64 v[4:5], 1, v[16:17]
	v_mbcnt_lo_u32_b32 v2, -1, 0
	s_add_u32 s6, s28, 63
	s_mul_i32 s17, s11, s3
	s_mul_hi_u32 s18, s10, s3
	v_lshlrev_b64 v[6:7], 1, v[6:7]
	v_lshl_add_u64 v[84:85], s[12:13], 0, v[4:5]
	v_lshl_add_u64 v[86:87], s[14:15], 0, v[4:5]
	v_lshlrev_b64 v[4:5], 1, v[18:19]
	v_mbcnt_hi_u32_b32 v2, -1, v2
	s_addc_u32 s7, 0, 0
	s_add_i32 s19, s18, s17
	s_mul_i32 s18, s10, s3
	v_lshl_add_u64 v[60:61], s[12:13], 0, v[6:7]
	v_lshl_add_u64 v[62:63], s[14:15], 0, v[6:7]
	;; [unrolled: 1-line block ×4, first 2 shown]
	s_movk_i32 s12, 0xffc1
	s_movk_i32 s14, 0xffc2
	;; [unrolled: 1-line block ×8, first 2 shown]
	v_lshlrev_b32_e32 v2, 2, v2
	s_lshl_b64 s[30:31], s[18:19], 1
	s_mov_b32 s13, -1
	s_mov_b32 s15, -1
	;; [unrolled: 1-line block ×8, first 2 shown]
	v_and_b32_e32 v97, 0x100, v2
	v_mov_b32_e32 v42, v3
	v_mov_b32_e32 v43, v3
	s_branch .LBB111_55
.LBB111_52:                             ;   in Loop: Header=BB111_55 Depth=1
	s_or_b64 exec, exec, s[20:21]
.LBB111_53:                             ;   in Loop: Header=BB111_55 Depth=1
	s_or_b64 exec, exec, s[18:19]
	v_lshl_add_u64 v[4:5], v[60:61], 0, v[28:29]
	global_load_ushort v2, v[4:5], off
	v_lshl_add_u64 v[4:5], v[62:63], 0, v[28:29]
	global_load_ushort v8, v[4:5], off
	v_lshl_add_u64 v[4:5], v[30:31], 0, v[28:29]
	global_load_ushort v9, v[4:5], off
	v_lshl_add_u64 v[4:5], v[46:47], 0, v[28:29]
	global_load_ushort v10, v[4:5], off
	v_lshl_add_u64 v[4:5], v[32:33], 0, v[28:29]
	global_load_ushort v11, v[4:5], off
	v_lshl_add_u64 v[4:5], v[48:49], 0, v[28:29]
	global_load_ushort v12, v[4:5], off
	v_lshl_add_u64 v[4:5], v[34:35], 0, v[28:29]
	global_load_ushort v13, v[4:5], off
	v_lshl_add_u64 v[4:5], v[50:51], 0, v[28:29]
	global_load_ushort v14, v[4:5], off
	v_lshl_add_u64 v[4:5], v[36:37], 0, v[28:29]
	global_load_ushort v15, v[4:5], off
	v_lshl_add_u64 v[4:5], v[52:53], 0, v[28:29]
	global_load_ushort v16, v[4:5], off
	v_lshl_add_u64 v[4:5], v[38:39], 0, v[28:29]
	global_load_ushort v17, v[4:5], off
	v_lshl_add_u64 v[4:5], v[54:55], 0, v[28:29]
	global_load_ushort v18, v[4:5], off
	v_lshl_add_u64 v[4:5], v[40:41], 0, v[28:29]
	global_load_ushort v19, v[4:5], off
	v_lshl_add_u64 v[4:5], v[56:57], 0, v[28:29]
	global_load_ushort v20, v[4:5], off
	v_lshl_add_u64 v[4:5], v[44:45], 0, v[28:29]
	global_load_ushort v21, v[4:5], off
	v_lshl_add_u64 v[4:5], v[58:59], 0, v[28:29]
	global_load_ushort v5, v[4:5], off
	s_waitcnt vmcnt(17)
	ds_bpermute_b32 v23, v97, v7
	ds_bpermute_b32 v25, v97, v7 offset:4
	s_waitcnt vmcnt(16)
	ds_bpermute_b32 v22, v97, v6
	ds_bpermute_b32 v43, v97, v7 offset:8
	ds_bpermute_b32 v95, v97, v7 offset:12
	;; [unrolled: 1-line block ×13, first 2 shown]
	s_waitcnt vmcnt(15)
	v_lshlrev_b32_e32 v4, 16, v2
	s_waitcnt vmcnt(14)
	v_lshlrev_b32_e32 v2, 16, v8
	s_waitcnt lgkmcnt(14)
	v_sub_f32_e32 v2, v2, v23
	s_waitcnt vmcnt(13)
	v_lshlrev_b32_e32 v6, 16, v9
	v_mul_f32_e32 v2, v2, v4
	s_waitcnt vmcnt(12)
	v_lshlrev_b32_e32 v7, 16, v10
	s_waitcnt vmcnt(11)
	v_lshlrev_b32_e32 v8, 16, v11
	;; [unrolled: 2-line block ×13, first 2 shown]
	v_sub_f32_e32 v5, v7, v25
	s_waitcnt lgkmcnt(12)
	v_sub_f32_e32 v7, v9, v43
	s_waitcnt lgkmcnt(11)
	;; [unrolled: 2-line block ×5, first 2 shown]
	v_sub_f32_e32 v15, v17, v103
	v_mul_f32_e32 v17, v5, v6
	v_mul_f32_e32 v5, v2, v22
	v_mul_f32_e32 v20, v7, v8
	s_waitcnt lgkmcnt(7)
	v_mul_f32_e32 v7, v17, v24
	v_pk_add_f32 v[4:5], v[92:93], v[4:5]
	v_mul_f32_e32 v21, v9, v10
	s_waitcnt lgkmcnt(6)
	v_mul_f32_e32 v9, v20, v42
	v_pk_add_f32 v[4:5], v[4:5], v[6:7]
	v_mul_f32_e32 v23, v11, v12
	;; [unrolled: 4-line block ×4, first 2 shown]
	s_waitcnt lgkmcnt(2)
	v_mul_f32_e32 v15, v25, v100
	v_pk_add_f32 v[4:5], v[4:5], v[12:13]
	v_sub_f32_e32 v2, v19, v105
	s_waitcnt lgkmcnt(1)
	v_mul_f32_e32 v17, v43, v102
	v_pk_add_f32 v[4:5], v[4:5], v[14:15]
	v_mul_f32_e32 v2, v2, v18
	v_pk_add_f32 v[4:5], v[4:5], v[16:17]
	s_waitcnt lgkmcnt(0)
	v_mul_f32_e32 v19, v2, v104
	v_pk_add_f32 v[42:43], v[4:5], v[18:19]
.LBB111_54:                             ;   in Loop: Header=BB111_55 Depth=1
	s_add_u32 s28, s28, s3
	s_addc_u32 s29, s29, 0
	v_mov_b64_e32 v[4:5], s[8:9]
	s_add_u32 s6, s6, s3
	v_cmp_ge_i64_e32 vcc, s[28:29], v[4:5]
	s_addc_u32 s7, s7, 0
	v_lshl_add_u64 v[30:31], v[30:31], 0, s[30:31]
	v_lshl_add_u64 v[32:33], v[32:33], 0, s[30:31]
	;; [unrolled: 1-line block ×30, first 2 shown]
	s_cbranch_vccnz .LBB111_81
.LBB111_55:                             ; =>This Inner Loop Header: Depth=1
	v_mov_b64_e32 v[4:5], s[8:9]
	v_cmp_ge_i64_e32 vcc, s[6:7], v[4:5]
	v_mov_b32_e32 v92, v42
	v_mov_b32_e32 v93, v43
	v_lshl_add_u64 v[94:95], v[26:27], 0, s[6:7]
	s_cbranch_vccz .LBB111_77
; %bb.56:                               ;   in Loop: Header=BB111_55 Depth=1
	s_load_dword s17, s[4:5], 0xc
	v_mov_b32_e32 v42, 0
	v_mov_b32_e32 v43, 0
	s_waitcnt lgkmcnt(0)
	s_and_b32 s17, s17, 0xffff
	v_mad_u32_u24 v2, v96, s17, v1
	v_and_b32_e32 v2, 63, v2
	v_cmp_gt_u32_e32 vcc, 8, v2
	s_and_saveexec_b64 s[18:19], vcc
	s_cbranch_execz .LBB111_60
; %bb.57:                               ;   in Loop: Header=BB111_55 Depth=1
	v_lshl_add_u64 v[4:5], v[94:95], 0, v[2:3]
	v_lshl_add_u64 v[4:5], v[4:5], 0, s[12:13]
	v_cmp_gt_i64_e32 vcc, s[8:9], v[4:5]
	v_mov_b32_e32 v43, 0
	v_mov_b32_e32 v42, 0
	s_and_saveexec_b64 s[20:21], vcc
	s_cbranch_execz .LBB111_59
; %bb.58:                               ;   in Loop: Header=BB111_55 Depth=1
	v_lshlrev_b64 v[4:5], 2, v[4:5]
	v_lshl_add_u64 v[6:7], s[26:27], 0, v[4:5]
	v_lshl_add_u64 v[4:5], s[24:25], 0, v[4:5]
	global_load_dword v43, v[4:5], off
	global_load_dword v42, v[6:7], off
.LBB111_59:                             ;   in Loop: Header=BB111_55 Depth=1
	s_or_b64 exec, exec, s[20:21]
.LBB111_60:                             ;   in Loop: Header=BB111_55 Depth=1
	s_or_b64 exec, exec, s[18:19]
	s_mov_b32 s17, s16
	s_mov_b32 s18, s16
	;; [unrolled: 1-line block ×7, first 2 shown]
	v_mov_b64_e32 v[10:11], s[16:17]
	v_mov_b64_e32 v[16:17], s[22:23]
	v_lshl_add_u64 v[4:5], v[94:95], 0, s[12:13]
	v_mov_b64_e32 v[12:13], s[18:19]
	v_mov_b64_e32 v[14:15], s[20:21]
	;; [unrolled: 1-line block ×3, first 2 shown]
	v_cmp_gt_i64_e32 vcc, s[8:9], v[4:5]
	v_mov_b64_e32 v[22:23], v[14:15]
	v_mov_b64_e32 v[20:21], v[12:13]
	;; [unrolled: 1-line block ×3, first 2 shown]
	s_and_saveexec_b64 s[18:19], vcc
	s_cbranch_execz .LBB111_62
; %bb.61:                               ;   in Loop: Header=BB111_55 Depth=1
	v_lshl_add_u64 v[4:5], v[60:61], 0, v[28:29]
	global_load_ushort v2, v[4:5], off
	v_lshl_add_u64 v[4:5], v[62:63], 0, v[28:29]
	global_load_ushort v10, v[4:5], off
	v_mov_b32_e32 v8, v3
	v_mov_b32_e32 v9, v3
	;; [unrolled: 1-line block ×13, first 2 shown]
	s_waitcnt vmcnt(1)
	v_lshlrev_b32_e32 v2, 16, v2
	v_mov_b64_e32 v[24:25], v[8:9]
	s_waitcnt vmcnt(0)
	v_lshlrev_b32_e32 v10, 16, v10
	v_mov_b64_e32 v[22:23], v[6:7]
	v_mov_b64_e32 v[20:21], v[4:5]
	v_mov_b64_e32 v[18:19], v[2:3]
.LBB111_62:                             ;   in Loop: Header=BB111_55 Depth=1
	s_or_b64 exec, exec, s[18:19]
	v_lshl_add_u64 v[4:5], v[94:95], 0, s[14:15]
	v_cmp_gt_i64_e32 vcc, s[8:9], v[4:5]
	s_and_saveexec_b64 s[18:19], vcc
	s_cbranch_execz .LBB111_64
; %bb.63:                               ;   in Loop: Header=BB111_55 Depth=1
	v_lshl_add_u64 v[4:5], v[88:89], 0, v[28:29]
	global_load_ushort v2, v[4:5], off
	v_lshl_add_u64 v[4:5], v[90:91], 0, v[28:29]
	global_load_ushort v4, v[4:5], off
	s_waitcnt vmcnt(1)
	v_lshlrev_b32_e32 v19, 16, v2
	s_waitcnt vmcnt(0)
	v_lshlrev_b32_e32 v11, 16, v4
.LBB111_64:                             ;   in Loop: Header=BB111_55 Depth=1
	s_or_b64 exec, exec, s[18:19]
	v_lshl_add_u64 v[4:5], v[94:95], 0, s[34:35]
	v_cmp_gt_i64_e32 vcc, s[8:9], v[4:5]
	s_and_saveexec_b64 s[18:19], vcc
	s_cbranch_execz .LBB111_66
; %bb.65:                               ;   in Loop: Header=BB111_55 Depth=1
	v_lshl_add_u64 v[4:5], v[84:85], 0, v[28:29]
	global_load_ushort v2, v[4:5], off
	v_lshl_add_u64 v[4:5], v[86:87], 0, v[28:29]
	global_load_ushort v4, v[4:5], off
	s_waitcnt vmcnt(1)
	v_lshlrev_b32_e32 v20, 16, v2
	s_waitcnt vmcnt(0)
	v_lshlrev_b32_e32 v12, 16, v4
.LBB111_66:                             ;   in Loop: Header=BB111_55 Depth=1
	;; [unrolled: 15-line block ×7, first 2 shown]
	s_or_b64 exec, exec, s[18:19]
	s_waitcnt vmcnt(1)
	ds_bpermute_b32 v2, v97, v43
	s_waitcnt vmcnt(0)
	ds_bpermute_b32 v4, v97, v42
	ds_bpermute_b32 v7, v97, v43 offset:4
	ds_bpermute_b32 v6, v97, v42 offset:4
	;; [unrolled: 1-line block ×3, first 2 shown]
	s_waitcnt lgkmcnt(4)
	v_sub_f32_e32 v2, v10, v2
	v_mul_f32_e32 v2, v18, v2
	s_waitcnt lgkmcnt(3)
	v_mul_f32_e32 v5, v2, v4
	ds_bpermute_b32 v4, v97, v42 offset:8
	s_waitcnt lgkmcnt(3)
	v_sub_f32_e32 v2, v11, v7
	v_mul_f32_e32 v2, v19, v2
	s_waitcnt lgkmcnt(2)
	v_mul_f32_e32 v7, v2, v6
	s_waitcnt lgkmcnt(1)
	v_sub_f32_e32 v2, v12, v8
	ds_bpermute_b32 v6, v97, v43 offset:12
	v_mul_f32_e32 v2, v20, v2
	s_waitcnt lgkmcnt(1)
	v_mul_f32_e32 v9, v2, v4
	ds_bpermute_b32 v2, v97, v42 offset:12
	ds_bpermute_b32 v4, v97, v43 offset:16
	;; [unrolled: 1-line block ×3, first 2 shown]
	s_waitcnt lgkmcnt(3)
	v_sub_f32_e32 v6, v13, v6
	v_mul_f32_e32 v6, v21, v6
	s_waitcnt lgkmcnt(2)
	v_mul_f32_e32 v11, v6, v2
	s_waitcnt lgkmcnt(1)
	v_sub_f32_e32 v2, v14, v4
	ds_bpermute_b32 v4, v97, v43 offset:20
	v_mul_f32_e32 v2, v22, v2
	s_waitcnt lgkmcnt(1)
	v_mul_f32_e32 v13, v2, v8
	ds_bpermute_b32 v2, v97, v42 offset:20
	ds_bpermute_b32 v6, v97, v43 offset:24
	ds_bpermute_b32 v8, v97, v42 offset:24
	s_waitcnt lgkmcnt(3)
	v_sub_f32_e32 v4, v15, v4
	v_mul_f32_e32 v4, v23, v4
	s_waitcnt lgkmcnt(2)
	v_mul_f32_e32 v15, v4, v2
	s_waitcnt lgkmcnt(1)
	v_sub_f32_e32 v2, v16, v6
	v_mul_f32_e32 v2, v24, v2
	s_waitcnt lgkmcnt(0)
	v_mul_f32_e32 v99, v2, v8
	v_mov_b32_e32 v4, v18
	ds_bpermute_b32 v2, v97, v43 offset:28
	v_pk_add_f32 v[4:5], v[92:93], v[4:5]
	v_mov_b32_e32 v6, v19
	v_pk_add_f32 v[4:5], v[6:7], v[4:5]
	v_mov_b32_e32 v8, v20
	ds_bpermute_b32 v6, v97, v42 offset:28
	v_pk_add_f32 v[4:5], v[8:9], v[4:5]
	v_mov_b32_e32 v10, v21
	v_pk_add_f32 v[4:5], v[10:11], v[4:5]
	v_mov_b32_e32 v12, v22
	;; [unrolled: 2-line block ×3, first 2 shown]
	s_waitcnt lgkmcnt(1)
	v_sub_f32_e32 v2, v17, v2
	v_pk_add_f32 v[4:5], v[14:15], v[4:5]
	v_mov_b32_e32 v98, v24
	v_mul_f32_e32 v2, v25, v2
	v_pk_add_f32 v[4:5], v[98:99], v[4:5]
	s_waitcnt lgkmcnt(0)
	v_mul_f32_e32 v7, v2, v6
	v_mov_b32_e32 v6, v25
	v_pk_add_f32 v[42:43], v[6:7], v[4:5]
	s_branch .LBB111_54
.LBB111_77:                             ;   in Loop: Header=BB111_55 Depth=1
                                        ; implicit-def: $vgpr43
	s_cbranch_execz .LBB111_54
; %bb.78:                               ;   in Loop: Header=BB111_55 Depth=1
	s_load_dword s17, s[4:5], 0x0
	v_mov_b32_e32 v6, 0
	v_mov_b32_e32 v7, 0
	s_waitcnt lgkmcnt(0)
	s_cmp_lt_u32 s2, s17
	s_cselect_b32 s17, 12, 18
	s_add_u32 s18, s4, s17
	s_addc_u32 s19, s5, 0
	global_load_ushort v2, v3, s[18:19]
	s_waitcnt vmcnt(0)
	v_mad_u32_u24 v2, v96, v2, v1
	v_and_b32_e32 v2, 63, v2
	v_cmp_gt_u32_e32 vcc, 8, v2
	s_and_saveexec_b64 s[18:19], vcc
	s_cbranch_execz .LBB111_53
; %bb.79:                               ;   in Loop: Header=BB111_55 Depth=1
	v_lshl_add_u64 v[4:5], v[94:95], 0, v[2:3]
	v_lshl_add_u64 v[4:5], v[4:5], 0, s[12:13]
	v_cmp_gt_i64_e32 vcc, s[8:9], v[4:5]
	v_mov_b32_e32 v7, 0
	v_mov_b32_e32 v6, 0
	s_and_saveexec_b64 s[20:21], vcc
	s_cbranch_execz .LBB111_52
; %bb.80:                               ;   in Loop: Header=BB111_55 Depth=1
	v_lshlrev_b64 v[4:5], 2, v[4:5]
	v_lshl_add_u64 v[8:9], s[26:27], 0, v[4:5]
	v_lshl_add_u64 v[4:5], s[24:25], 0, v[4:5]
	global_load_dword v7, v[4:5], off
	global_load_dword v6, v[8:9], off
	s_branch .LBB111_52
.LBB111_81:
	v_and_b32_e32 v2, 0x3ff, v0
	v_bfe_u32 v0, v0, 10, 10
	v_mad_u32_u24 v1, v0, 33, v2
	v_lshl_add_u32 v3, v1, 2, 0
	v_sub_u32_e32 v1, v1, v0
	s_movk_i32 s4, 0x800
	s_mov_b32 s3, 0
	v_cmp_gt_u32_e32 vcc, s4, v1
	ds_write_b32 v3, v43
	ds_write_b32 v3, v42 offset:1056
	s_waitcnt lgkmcnt(0)
	s_barrier
	s_and_saveexec_b64 s[4:5], vcc
	s_cbranch_execz .LBB111_91
; %bb.82:
	v_mbcnt_lo_u32_b32 v3, -1, 0
	v_mbcnt_hi_u32_b32 v3, -1, v3
	v_and_b32_e32 v4, 64, v3
	v_add_u32_e32 v4, 64, v4
	v_cmp_eq_u32_e64 s[4:5], 0, v2
	v_xor_b32_e32 v2, 4, v3
	v_cmp_lt_i32_e32 vcc, v2, v4
	s_load_dwordx4 s[16:19], s[0:1], 0x30
	s_lshl_b64 s[8:9], s[2:3], 5
	v_cndmask_b32_e32 v2, v3, v2, vcc
	v_lshlrev_b32_e32 v8, 2, v2
	v_xor_b32_e32 v2, 2, v3
	v_cmp_lt_i32_e32 vcc, v2, v4
	v_lshrrev_b32_e32 v0, 6, v1
	v_and_b32_e32 v6, 63, v1
	v_cndmask_b32_e32 v2, v3, v2, vcc
	v_lshlrev_b32_e32 v9, 2, v2
	v_xor_b32_e32 v2, 1, v3
	s_waitcnt lgkmcnt(0)
	s_cmp_lg_u64 s[16:17], 0
	v_cmp_lt_i32_e32 vcc, v2, v4
	v_cmp_gt_u32_e64 s[0:1], 8, v6
	v_mov_b32_e32 v1, 0
	s_cselect_b64 s[6:7], -1, 0
	s_cmp_lg_u64 s[18:19], 0
	v_cndmask_b32_e32 v2, v3, v2, vcc
	v_mad_u32_u24 v6, v6, 33, v0
	s_cselect_b64 s[14:15], -1, 0
	v_lshlrev_b32_e32 v10, 2, v2
	s_lshl_b64 s[2:3], s[2:3], 6
	v_lshlrev_b32_e32 v2, 1, v0
	v_mov_b32_e32 v3, v1
	v_lshl_add_u32 v11, v6, 2, 0
	v_cndmask_b32_e64 v6, 0, 1, s[6:7]
	v_lshl_add_u64 v[4:5], s[2:3], 0, v[2:3]
	v_cmp_ne_u32_e64 s[2:3], 1, v6
	v_cndmask_b32_e64 v6, 0, 1, s[14:15]
	s_mov_b64 s[12:13], 0
	v_lshl_add_u64 v[2:3], s[18:19], 0, v[4:5]
	v_lshl_add_u64 v[4:5], s[16:17], 0, v[4:5]
	s_movk_i32 s16, 0x7fff
	v_cmp_ne_u32_e64 s[6:7], 1, v6
	v_mov_b32_e32 v12, 0x7fc0
                                        ; implicit-def: $vgpr6
	s_branch .LBB111_84
.LBB111_83:                             ;   in Loop: Header=BB111_84 Depth=1
	s_or_b64 exec, exec, s[14:15]
	v_lshl_add_u64 v[0:1], v[0:1], 0, 4
	v_add_u32_e32 v13, -4, v0
	v_cmp_lt_u32_e32 vcc, 27, v13
	v_lshl_add_u64 v[2:3], v[2:3], 0, 8
	v_lshl_add_u64 v[4:5], v[4:5], 0, 8
	s_or_b64 s[12:13], vcc, s[12:13]
	v_add_u32_e32 v11, 16, v11
	s_andn2_b64 exec, exec, s[12:13]
	s_cbranch_execz .LBB111_91
.LBB111_84:                             ; =>This Inner Loop Header: Depth=1
	s_and_saveexec_b64 s[14:15], s[0:1]
	s_cbranch_execz .LBB111_86
; %bb.85:                               ;   in Loop: Header=BB111_84 Depth=1
	ds_read_b32 v7, v11
	ds_read_b32 v6, v11 offset:1056
.LBB111_86:                             ;   in Loop: Header=BB111_84 Depth=1
	s_or_b64 exec, exec, s[14:15]
	s_waitcnt lgkmcnt(1)
	ds_bpermute_b32 v15, v8, v7
	s_waitcnt lgkmcnt(1)
	ds_bpermute_b32 v14, v8, v6
	v_lshl_add_u64 v[16:17], s[8:9], 0, v[0:1]
	v_cmp_gt_i64_e32 vcc, s[10:11], v[16:17]
	s_and_b64 s[18:19], s[4:5], vcc
	s_waitcnt lgkmcnt(0)
	v_pk_add_f32 v[6:7], v[6:7], v[14:15]
	ds_bpermute_b32 v15, v9, v7
	ds_bpermute_b32 v14, v9, v6
	s_waitcnt lgkmcnt(0)
	v_pk_add_f32 v[6:7], v[6:7], v[14:15]
	ds_bpermute_b32 v15, v10, v7
	ds_bpermute_b32 v14, v10, v6
	s_waitcnt lgkmcnt(0)
	v_pk_add_f32 v[6:7], v[6:7], v[14:15]
	s_and_saveexec_b64 s[14:15], s[18:19]
	s_cbranch_execz .LBB111_83
; %bb.87:                               ;   in Loop: Header=BB111_84 Depth=1
	s_and_b64 vcc, exec, s[2:3]
	s_cbranch_vccnz .LBB111_89
; %bb.88:                               ;   in Loop: Header=BB111_84 Depth=1
	v_bfe_u32 v13, v7, 16, 1
	v_add3_u32 v13, v7, v13, s16
	v_lshrrev_b32_e32 v13, 16, v13
	v_cmp_o_f32_e32 vcc, v7, v7
	s_nop 1
	v_cndmask_b32_e32 v13, v12, v13, vcc
	global_store_short v[4:5], v13, off
.LBB111_89:                             ;   in Loop: Header=BB111_84 Depth=1
	s_and_b64 vcc, exec, s[6:7]
	s_cbranch_vccnz .LBB111_83
; %bb.90:                               ;   in Loop: Header=BB111_84 Depth=1
	v_bfe_u32 v13, v6, 16, 1
	v_add3_u32 v13, v6, v13, s16
	v_lshrrev_b32_e32 v13, 16, v13
	v_cmp_o_f32_e32 vcc, v6, v6
	s_nop 1
	v_cndmask_b32_e32 v13, v12, v13, vcc
	global_store_short v[2:3], v13, off
	s_branch .LBB111_83
.LBB111_91:
	s_endpgm
	.section	.rodata,"a",@progbits
	.p2align	6, 0x0
	.amdhsa_kernel _ZN2at6native12_GLOBAL__N_135GammaBetaBackwardCUDAKernelTemplateIN3c108BFloat16EfLj32ELj8ELj64ELb0ELb0ELb0EEEvllPKT_S7_PKT0_SA_PS5_SB_
		.amdhsa_group_segment_fixed_size 0
		.amdhsa_private_segment_fixed_size 0
		.amdhsa_kernarg_size 320
		.amdhsa_user_sgpr_count 2
		.amdhsa_user_sgpr_dispatch_ptr 0
		.amdhsa_user_sgpr_queue_ptr 0
		.amdhsa_user_sgpr_kernarg_segment_ptr 1
		.amdhsa_user_sgpr_dispatch_id 0
		.amdhsa_user_sgpr_kernarg_preload_length 0
		.amdhsa_user_sgpr_kernarg_preload_offset 0
		.amdhsa_user_sgpr_private_segment_size 0
		.amdhsa_uses_dynamic_stack 0
		.amdhsa_enable_private_segment 0
		.amdhsa_system_sgpr_workgroup_id_x 1
		.amdhsa_system_sgpr_workgroup_id_y 1
		.amdhsa_system_sgpr_workgroup_id_z 0
		.amdhsa_system_sgpr_workgroup_info 0
		.amdhsa_system_vgpr_workitem_id 1
		.amdhsa_next_free_vgpr 106
		.amdhsa_next_free_sgpr 58
		.amdhsa_accum_offset 108
		.amdhsa_reserve_vcc 1
		.amdhsa_float_round_mode_32 0
		.amdhsa_float_round_mode_16_64 0
		.amdhsa_float_denorm_mode_32 3
		.amdhsa_float_denorm_mode_16_64 3
		.amdhsa_dx10_clamp 1
		.amdhsa_ieee_mode 1
		.amdhsa_fp16_overflow 0
		.amdhsa_tg_split 0
		.amdhsa_exception_fp_ieee_invalid_op 0
		.amdhsa_exception_fp_denorm_src 0
		.amdhsa_exception_fp_ieee_div_zero 0
		.amdhsa_exception_fp_ieee_overflow 0
		.amdhsa_exception_fp_ieee_underflow 0
		.amdhsa_exception_fp_ieee_inexact 0
		.amdhsa_exception_int_div_zero 0
	.end_amdhsa_kernel
	.section	.text._ZN2at6native12_GLOBAL__N_135GammaBetaBackwardCUDAKernelTemplateIN3c108BFloat16EfLj32ELj8ELj64ELb0ELb0ELb0EEEvllPKT_S7_PKT0_SA_PS5_SB_,"axG",@progbits,_ZN2at6native12_GLOBAL__N_135GammaBetaBackwardCUDAKernelTemplateIN3c108BFloat16EfLj32ELj8ELj64ELb0ELb0ELb0EEEvllPKT_S7_PKT0_SA_PS5_SB_,comdat
.Lfunc_end111:
	.size	_ZN2at6native12_GLOBAL__N_135GammaBetaBackwardCUDAKernelTemplateIN3c108BFloat16EfLj32ELj8ELj64ELb0ELb0ELb0EEEvllPKT_S7_PKT0_SA_PS5_SB_, .Lfunc_end111-_ZN2at6native12_GLOBAL__N_135GammaBetaBackwardCUDAKernelTemplateIN3c108BFloat16EfLj32ELj8ELj64ELb0ELb0ELb0EEEvllPKT_S7_PKT0_SA_PS5_SB_
                                        ; -- End function
	.section	.AMDGPU.csdata,"",@progbits
; Kernel info:
; codeLenInByte = 7628
; NumSgprs: 64
; NumVgprs: 106
; NumAgprs: 0
; TotalNumVgprs: 106
; ScratchSize: 0
; MemoryBound: 0
; FloatMode: 240
; IeeeMode: 1
; LDSByteSize: 0 bytes/workgroup (compile time only)
; SGPRBlocks: 7
; VGPRBlocks: 13
; NumSGPRsForWavesPerEU: 64
; NumVGPRsForWavesPerEU: 106
; AccumOffset: 108
; Occupancy: 4
; WaveLimiterHint : 0
; COMPUTE_PGM_RSRC2:SCRATCH_EN: 0
; COMPUTE_PGM_RSRC2:USER_SGPR: 2
; COMPUTE_PGM_RSRC2:TRAP_HANDLER: 0
; COMPUTE_PGM_RSRC2:TGID_X_EN: 1
; COMPUTE_PGM_RSRC2:TGID_Y_EN: 1
; COMPUTE_PGM_RSRC2:TGID_Z_EN: 0
; COMPUTE_PGM_RSRC2:TIDIG_COMP_CNT: 1
; COMPUTE_PGM_RSRC3_GFX90A:ACCUM_OFFSET: 26
; COMPUTE_PGM_RSRC3_GFX90A:TG_SPLIT: 0
	.section	.text._ZN2at6native12_GLOBAL__N_135GammaBetaBackwardCUDAKernelTemplateIN3c108BFloat16EfLj32ELj16ELj128ELb0ELb1ELb0EEEvllPKT_S7_PKT0_SA_PS5_SB_,"axG",@progbits,_ZN2at6native12_GLOBAL__N_135GammaBetaBackwardCUDAKernelTemplateIN3c108BFloat16EfLj32ELj16ELj128ELb0ELb1ELb0EEEvllPKT_S7_PKT0_SA_PS5_SB_,comdat
	.globl	_ZN2at6native12_GLOBAL__N_135GammaBetaBackwardCUDAKernelTemplateIN3c108BFloat16EfLj32ELj16ELj128ELb0ELb1ELb0EEEvllPKT_S7_PKT0_SA_PS5_SB_ ; -- Begin function _ZN2at6native12_GLOBAL__N_135GammaBetaBackwardCUDAKernelTemplateIN3c108BFloat16EfLj32ELj16ELj128ELb0ELb1ELb0EEEvllPKT_S7_PKT0_SA_PS5_SB_
	.p2align	8
	.type	_ZN2at6native12_GLOBAL__N_135GammaBetaBackwardCUDAKernelTemplateIN3c108BFloat16EfLj32ELj16ELj128ELb0ELb1ELb0EEEvllPKT_S7_PKT0_SA_PS5_SB_,@function
_ZN2at6native12_GLOBAL__N_135GammaBetaBackwardCUDAKernelTemplateIN3c108BFloat16EfLj32ELj16ELj128ELb0ELb1ELb0EEEvllPKT_S7_PKT0_SA_PS5_SB_: ; @_ZN2at6native12_GLOBAL__N_135GammaBetaBackwardCUDAKernelTemplateIN3c108BFloat16EfLj32ELj16ELj128ELb0ELb1ELb0EEEvllPKT_S7_PKT0_SA_PS5_SB_
; %bb.0:
	s_load_dwordx4 s[16:19], s[0:1], 0x0
	s_lshl_b32 s6, s3, 7
	s_mov_b32 s7, 0
	v_bfe_u32 v12, v0, 10, 10
	s_waitcnt lgkmcnt(0)
	v_mov_b64_e32 v[2:3], s[16:17]
	v_cmp_lt_i64_e32 vcc, s[6:7], v[2:3]
	s_cbranch_vccnz .LBB112_2
; %bb.1:
	s_mov_b64 s[4:5], 0
	v_bfe_u32 v2, v0, 10, 10
	s_branch .LBB112_3
.LBB112_2:
	s_mov_b64 s[4:5], -1
                                        ; implicit-def: $vgpr2
.LBB112_3:
	v_and_b32_e32 v10, 0x3ff, v0
	s_andn2_b64 vcc, exec, s[4:5]
	v_mov_b32_e32 v1, s7
	v_mbcnt_lo_u32_b32 v11, -1, 0
	v_mov_b32_e32 v0, s7
	s_cbranch_vccnz .LBB112_11
; %bb.4:
	s_load_dword s3, s[0:1], 0x4c
	s_load_dword s20, s[0:1], 0x44
	s_load_dwordx8 s[8:15], s[0:1], 0x10
	v_lshlrev_b32_e32 v0, 3, v12
	v_mbcnt_hi_u32_b32 v4, -1, v11
	s_waitcnt lgkmcnt(0)
	s_and_b32 s3, s3, 0xffff
	v_mad_u32_u24 v1, v12, s3, v10
	v_and_b32_e32 v2, 63, v1
	v_mov_b32_e32 v1, 0
	v_mov_b32_e32 v3, v1
	v_lshl_add_u64 v[8:9], v[0:1], 0, s[6:7]
	v_cmp_gt_u32_e64 s[4:5], 8, v2
	s_lshl_b32 s20, s20, 7
	v_lshl_add_u64 v[2:3], v[8:9], 0, v[2:3]
	v_mul_lo_u32 v0, s19, v8
	v_mul_lo_u32 v21, s18, v9
	v_mad_u64_u32 v[8:9], s[24:25], s18, v8, 0
	v_lshl_add_u32 v6, s2, 5, v10
	v_mov_b32_e32 v7, v1
	v_lshlrev_b32_e32 v4, 2, v4
	s_mul_i32 s3, s19, s20
	s_mul_hi_u32 s24, s18, s20
	s_mov_b32 s21, 0
	v_and_b32_e32 v13, 0x100, v4
	v_add3_u32 v9, v9, v21, v0
	v_lshlrev_b64 v[6:7], 1, v[6:7]
	s_add_i32 s25, s24, s3
	s_mul_i32 s24, s18, s20
	v_or_b32_e32 v14, 4, v13
	v_or_b32_e32 v15, 8, v13
	;; [unrolled: 1-line block ×7, first 2 shown]
	v_lshlrev_b64 v[4:5], 2, v[2:3]
	s_lshl_b64 s[22:23], s[20:21], 2
	v_lshl_add_u64 v[6:7], v[8:9], 1, v[6:7]
	s_lshl_b64 s[24:25], s[24:25], 1
	s_lshl_b64 s[18:19], s[18:19], 1
	v_mov_b64_e32 v[8:9], s[16:17]
	v_mov_b32_e32 v0, v1
	s_branch .LBB112_7
.LBB112_5:                              ;   in Loop: Header=BB112_7 Depth=1
	s_or_b64 exec, exec, s[28:29]
.LBB112_6:                              ;   in Loop: Header=BB112_7 Depth=1
	s_or_b64 exec, exec, s[26:27]
	v_lshl_add_u64 v[24:25], s[8:9], 0, v[6:7]
	v_lshl_add_u64 v[26:27], s[10:11], 0, v[6:7]
	global_load_ushort v23, v[24:25], off
	global_load_ushort v28, v[26:27], off
	v_lshl_add_u64 v[24:25], v[24:25], 0, s[18:19]
	v_lshl_add_u64 v[26:27], v[26:27], 0, s[18:19]
	global_load_ushort v29, v[24:25], off
	global_load_ushort v30, v[26:27], off
	;; [unrolled: 4-line block ×8, first 2 shown]
	s_waitcnt vmcnt(17)
	ds_bpermute_b32 v26, v13, v21
	ds_bpermute_b32 v43, v14, v21
	s_waitcnt vmcnt(16)
	ds_bpermute_b32 v25, v13, v22
	ds_bpermute_b32 v45, v15, v21
	;; [unrolled: 1-line block ×14, first 2 shown]
	s_add_u32 s6, s6, s20
	s_addc_u32 s7, s7, 0
	v_cmp_lt_i64_e32 vcc, s[6:7], v[8:9]
	v_lshl_add_u64 v[4:5], v[4:5], 0, s[22:23]
	v_lshl_add_u64 v[2:3], v[2:3], 0, s[20:21]
	;; [unrolled: 1-line block ×3, first 2 shown]
	s_and_b64 vcc, exec, vcc
	s_waitcnt vmcnt(15)
	v_lshlrev_b32_e32 v22, 16, v23
	s_waitcnt vmcnt(14)
	v_lshlrev_b32_e32 v23, 16, v28
	s_waitcnt lgkmcnt(14)
	v_sub_f32_e32 v23, v23, v26
	v_mul_f32_e32 v23, v23, v22
	s_waitcnt vmcnt(13)
	v_lshlrev_b32_e32 v24, 16, v29
	s_waitcnt vmcnt(12)
	v_lshlrev_b32_e32 v28, 16, v30
	v_sub_f32_e32 v30, v28, v43
	s_waitcnt lgkmcnt(13)
	v_mul_f32_e32 v23, v23, v25
	s_waitcnt vmcnt(11)
	v_lshlrev_b32_e32 v26, 16, v31
	s_waitcnt vmcnt(10)
	v_lshlrev_b32_e32 v29, 16, v32
	v_mul_f32_e32 v25, v30, v24
	s_waitcnt lgkmcnt(12)
	v_sub_f32_e32 v29, v29, v45
	s_waitcnt vmcnt(9)
	v_lshlrev_b32_e32 v28, 16, v33
	s_waitcnt vmcnt(8)
	v_lshlrev_b32_e32 v31, 16, v34
	s_waitcnt lgkmcnt(11)
	v_mul_f32_e32 v25, v25, v27
	v_mul_f32_e32 v27, v29, v26
	s_waitcnt lgkmcnt(10)
	v_sub_f32_e32 v29, v31, v47
	s_waitcnt vmcnt(6)
	v_lshlrev_b32_e32 v32, 16, v36
	v_pk_add_f32 v[0:1], v[0:1], v[22:23]
	v_lshlrev_b32_e32 v30, 16, v35
	s_waitcnt lgkmcnt(9)
	v_mul_f32_e32 v27, v27, v44
	s_waitcnt vmcnt(4)
	v_lshlrev_b32_e32 v23, 16, v38
	v_mul_f32_e32 v29, v29, v28
	s_waitcnt lgkmcnt(6)
	v_sub_f32_e32 v31, v32, v49
	v_pk_add_f32 v[0:1], v[0:1], v[24:25]
	v_lshlrev_b32_e32 v22, 16, v37
	s_waitcnt vmcnt(2)
	v_lshlrev_b32_e32 v25, 16, v40
	v_mul_f32_e32 v29, v29, v46
	v_mul_f32_e32 v31, v31, v30
	s_waitcnt lgkmcnt(2)
	v_sub_f32_e32 v23, v23, v51
	v_pk_add_f32 v[0:1], v[0:1], v[26:27]
	v_lshlrev_b32_e32 v24, 16, v39
	s_waitcnt vmcnt(0)
	v_lshlrev_b32_e32 v27, 16, v42
	v_mul_f32_e32 v31, v31, v48
	v_mul_f32_e32 v23, v23, v22
	s_waitcnt lgkmcnt(1)
	v_sub_f32_e32 v25, v25, v53
	v_pk_add_f32 v[0:1], v[0:1], v[28:29]
	v_lshlrev_b32_e32 v26, 16, v41
	v_mul_f32_e32 v23, v23, v50
	v_mul_f32_e32 v25, v25, v24
	v_pk_add_f32 v[0:1], v[0:1], v[30:31]
	s_waitcnt lgkmcnt(0)
	v_sub_f32_e32 v21, v27, v21
	v_mul_f32_e32 v25, v25, v52
	v_pk_add_f32 v[0:1], v[0:1], v[22:23]
	v_mul_f32_e32 v21, v21, v26
	v_pk_add_f32 v[0:1], v[0:1], v[24:25]
	;; [unrolled: 2-line block ×3, first 2 shown]
	s_cbranch_vccz .LBB112_10
.LBB112_7:                              ; =>This Inner Loop Header: Depth=1
	v_mov_b32_e32 v22, 0
	v_mov_b32_e32 v21, 0
	s_and_saveexec_b64 s[26:27], s[4:5]
	s_cbranch_execz .LBB112_6
; %bb.8:                                ;   in Loop: Header=BB112_7 Depth=1
	v_cmp_gt_i64_e32 vcc, s[16:17], v[2:3]
	v_mov_b32_e32 v21, 0
	v_mov_b32_e32 v22, 0
	s_and_saveexec_b64 s[28:29], vcc
	s_cbranch_execz .LBB112_5
; %bb.9:                                ;   in Loop: Header=BB112_7 Depth=1
	v_lshl_add_u64 v[26:27], s[12:13], 0, v[4:5]
	v_lshl_add_u64 v[24:25], s[14:15], 0, v[4:5]
	global_load_dword v21, v[26:27], off
	global_load_dword v22, v[24:25], off
	s_branch .LBB112_5
.LBB112_10:
	v_mov_b32_e32 v2, v12
.LBB112_11:
	s_load_dwordx4 s[8:11], s[0:1], 0x30
	v_mad_u32_u24 v3, v2, 33, v10
	v_lshl_add_u32 v4, v3, 2, 0
	ds_write_b32 v4, v1
	ds_write_b32 v4, v0 offset:2112
	v_sub_u32_e32 v0, v3, v2
	s_movk_i32 s0, 0x800
	s_mov_b32 s3, 0
	v_cmp_gt_u32_e32 vcc, s0, v0
	s_waitcnt lgkmcnt(0)
	s_barrier
	s_and_saveexec_b64 s[0:1], vcc
	s_cbranch_execz .LBB112_21
; %bb.12:
	v_lshrrev_b32_e32 v4, 6, v0
	v_and_b32_e32 v5, 63, v0
	v_mbcnt_hi_u32_b32 v0, -1, v11
	v_and_b32_e32 v2, 64, v0
	v_add_u32_e32 v2, 64, v2
	v_xor_b32_e32 v3, 8, v0
	v_cmp_lt_i32_e32 vcc, v3, v2
	s_cmp_lg_u64 s[8:9], 0
	v_cmp_eq_u32_e64 s[4:5], 0, v10
	v_cndmask_b32_e32 v3, v0, v3, vcc
	v_lshlrev_b32_e32 v6, 2, v3
	v_xor_b32_e32 v3, 4, v0
	v_cmp_lt_i32_e32 vcc, v3, v2
	s_cselect_b64 s[6:7], -1, 0
	s_cmp_lg_u64 s[10:11], 0
	v_cndmask_b32_e32 v3, v0, v3, vcc
	v_lshlrev_b32_e32 v7, 2, v3
	v_xor_b32_e32 v3, 2, v0
	v_cmp_lt_i32_e32 vcc, v3, v2
	v_add_u32_e32 v10, -8, v4
	v_mov_b32_e32 v1, 0
	v_cndmask_b32_e32 v3, v0, v3, vcc
	v_lshlrev_b32_e32 v8, 2, v3
	v_xor_b32_e32 v3, 1, v0
	v_cmp_lt_i32_e32 vcc, v3, v2
	s_cselect_b64 s[14:15], -1, 0
	s_lshl_b64 s[2:3], s[2:3], 6
	v_cndmask_b32_e32 v0, v0, v3, vcc
	v_lshlrev_b32_e32 v9, 2, v0
	v_lshlrev_b32_e32 v0, 1, v4
	v_mad_u32_u24 v4, v5, 33, v4
	v_lshl_add_u32 v11, v4, 2, 0
	v_cndmask_b32_e64 v4, 0, 1, s[6:7]
	v_lshl_add_u64 v[2:3], s[2:3], 0, v[0:1]
	v_cmp_ne_u32_e64 s[2:3], 1, v4
	v_cndmask_b32_e64 v4, 0, 1, s[14:15]
	v_cmp_gt_u32_e64 s[0:1], 16, v5
	s_mov_b64 s[12:13], 0
	v_lshl_add_u64 v[0:1], s[10:11], 0, v[2:3]
	v_lshl_add_u64 v[2:3], s[8:9], 0, v[2:3]
	s_movk_i32 s10, 0x7fff
	v_cmp_ne_u32_e64 s[6:7], 1, v4
	v_mov_b32_e32 v12, 0x7fc0
                                        ; implicit-def: $vgpr4
	s_branch .LBB112_14
.LBB112_13:                             ;   in Loop: Header=BB112_14 Depth=1
	s_or_b64 exec, exec, s[8:9]
	v_add_u32_e32 v10, 8, v10
	v_cmp_lt_u32_e32 vcc, 23, v10
	v_lshl_add_u64 v[0:1], v[0:1], 0, 16
	v_lshl_add_u64 v[2:3], v[2:3], 0, 16
	s_or_b64 s[12:13], vcc, s[12:13]
	v_add_u32_e32 v11, 32, v11
	s_andn2_b64 exec, exec, s[12:13]
	s_cbranch_execz .LBB112_21
.LBB112_14:                             ; =>This Inner Loop Header: Depth=1
	s_and_saveexec_b64 s[8:9], s[0:1]
	s_cbranch_execz .LBB112_16
; %bb.15:                               ;   in Loop: Header=BB112_14 Depth=1
	ds_read_b32 v5, v11
	ds_read_b32 v4, v11 offset:2112
.LBB112_16:                             ;   in Loop: Header=BB112_14 Depth=1
	s_or_b64 exec, exec, s[8:9]
	s_waitcnt lgkmcnt(1)
	ds_bpermute_b32 v15, v6, v5
	s_waitcnt lgkmcnt(1)
	ds_bpermute_b32 v14, v6, v4
	s_waitcnt lgkmcnt(0)
	v_pk_add_f32 v[4:5], v[4:5], v[14:15]
	ds_bpermute_b32 v15, v7, v5
	ds_bpermute_b32 v14, v7, v4
	s_waitcnt lgkmcnt(0)
	v_pk_add_f32 v[4:5], v[4:5], v[14:15]
	ds_bpermute_b32 v15, v8, v5
	;; [unrolled: 4-line block ×3, first 2 shown]
	ds_bpermute_b32 v14, v9, v4
	s_waitcnt lgkmcnt(0)
	v_pk_add_f32 v[4:5], v[4:5], v[14:15]
	s_and_saveexec_b64 s[8:9], s[4:5]
	s_cbranch_execz .LBB112_13
; %bb.17:                               ;   in Loop: Header=BB112_14 Depth=1
	s_and_b64 vcc, exec, s[2:3]
	s_cbranch_vccnz .LBB112_19
; %bb.18:                               ;   in Loop: Header=BB112_14 Depth=1
	v_bfe_u32 v13, v5, 16, 1
	v_add3_u32 v13, v5, v13, s10
	v_lshrrev_b32_e32 v13, 16, v13
	v_cmp_o_f32_e32 vcc, v5, v5
	s_nop 1
	v_cndmask_b32_e32 v13, v12, v13, vcc
	global_store_short v[2:3], v13, off
.LBB112_19:                             ;   in Loop: Header=BB112_14 Depth=1
	s_and_b64 vcc, exec, s[6:7]
	s_cbranch_vccnz .LBB112_13
; %bb.20:                               ;   in Loop: Header=BB112_14 Depth=1
	v_bfe_u32 v13, v4, 16, 1
	v_add3_u32 v13, v4, v13, s10
	v_lshrrev_b32_e32 v13, 16, v13
	v_cmp_o_f32_e32 vcc, v4, v4
	s_nop 1
	v_cndmask_b32_e32 v13, v12, v13, vcc
	global_store_short v[0:1], v13, off
	s_branch .LBB112_13
.LBB112_21:
	s_endpgm
	.section	.rodata,"a",@progbits
	.p2align	6, 0x0
	.amdhsa_kernel _ZN2at6native12_GLOBAL__N_135GammaBetaBackwardCUDAKernelTemplateIN3c108BFloat16EfLj32ELj16ELj128ELb0ELb1ELb0EEEvllPKT_S7_PKT0_SA_PS5_SB_
		.amdhsa_group_segment_fixed_size 0
		.amdhsa_private_segment_fixed_size 0
		.amdhsa_kernarg_size 320
		.amdhsa_user_sgpr_count 2
		.amdhsa_user_sgpr_dispatch_ptr 0
		.amdhsa_user_sgpr_queue_ptr 0
		.amdhsa_user_sgpr_kernarg_segment_ptr 1
		.amdhsa_user_sgpr_dispatch_id 0
		.amdhsa_user_sgpr_kernarg_preload_length 0
		.amdhsa_user_sgpr_kernarg_preload_offset 0
		.amdhsa_user_sgpr_private_segment_size 0
		.amdhsa_uses_dynamic_stack 0
		.amdhsa_enable_private_segment 0
		.amdhsa_system_sgpr_workgroup_id_x 1
		.amdhsa_system_sgpr_workgroup_id_y 1
		.amdhsa_system_sgpr_workgroup_id_z 0
		.amdhsa_system_sgpr_workgroup_info 0
		.amdhsa_system_vgpr_workitem_id 1
		.amdhsa_next_free_vgpr 55
		.amdhsa_next_free_sgpr 30
		.amdhsa_accum_offset 56
		.amdhsa_reserve_vcc 1
		.amdhsa_float_round_mode_32 0
		.amdhsa_float_round_mode_16_64 0
		.amdhsa_float_denorm_mode_32 3
		.amdhsa_float_denorm_mode_16_64 3
		.amdhsa_dx10_clamp 1
		.amdhsa_ieee_mode 1
		.amdhsa_fp16_overflow 0
		.amdhsa_tg_split 0
		.amdhsa_exception_fp_ieee_invalid_op 0
		.amdhsa_exception_fp_denorm_src 0
		.amdhsa_exception_fp_ieee_div_zero 0
		.amdhsa_exception_fp_ieee_overflow 0
		.amdhsa_exception_fp_ieee_underflow 0
		.amdhsa_exception_fp_ieee_inexact 0
		.amdhsa_exception_int_div_zero 0
	.end_amdhsa_kernel
	.section	.text._ZN2at6native12_GLOBAL__N_135GammaBetaBackwardCUDAKernelTemplateIN3c108BFloat16EfLj32ELj16ELj128ELb0ELb1ELb0EEEvllPKT_S7_PKT0_SA_PS5_SB_,"axG",@progbits,_ZN2at6native12_GLOBAL__N_135GammaBetaBackwardCUDAKernelTemplateIN3c108BFloat16EfLj32ELj16ELj128ELb0ELb1ELb0EEEvllPKT_S7_PKT0_SA_PS5_SB_,comdat
.Lfunc_end112:
	.size	_ZN2at6native12_GLOBAL__N_135GammaBetaBackwardCUDAKernelTemplateIN3c108BFloat16EfLj32ELj16ELj128ELb0ELb1ELb0EEEvllPKT_S7_PKT0_SA_PS5_SB_, .Lfunc_end112-_ZN2at6native12_GLOBAL__N_135GammaBetaBackwardCUDAKernelTemplateIN3c108BFloat16EfLj32ELj16ELj128ELb0ELb1ELb0EEEvllPKT_S7_PKT0_SA_PS5_SB_
                                        ; -- End function
	.section	.AMDGPU.csdata,"",@progbits
; Kernel info:
; codeLenInByte = 1776
; NumSgprs: 36
; NumVgprs: 55
; NumAgprs: 0
; TotalNumVgprs: 55
; ScratchSize: 0
; MemoryBound: 0
; FloatMode: 240
; IeeeMode: 1
; LDSByteSize: 0 bytes/workgroup (compile time only)
; SGPRBlocks: 4
; VGPRBlocks: 6
; NumSGPRsForWavesPerEU: 36
; NumVGPRsForWavesPerEU: 55
; AccumOffset: 56
; Occupancy: 8
; WaveLimiterHint : 0
; COMPUTE_PGM_RSRC2:SCRATCH_EN: 0
; COMPUTE_PGM_RSRC2:USER_SGPR: 2
; COMPUTE_PGM_RSRC2:TRAP_HANDLER: 0
; COMPUTE_PGM_RSRC2:TGID_X_EN: 1
; COMPUTE_PGM_RSRC2:TGID_Y_EN: 1
; COMPUTE_PGM_RSRC2:TGID_Z_EN: 0
; COMPUTE_PGM_RSRC2:TIDIG_COMP_CNT: 1
; COMPUTE_PGM_RSRC3_GFX90A:ACCUM_OFFSET: 13
; COMPUTE_PGM_RSRC3_GFX90A:TG_SPLIT: 0
	.section	.text._ZN2at6native12_GLOBAL__N_135GammaBetaBackwardCUDAKernelTemplateIN3c108BFloat16EfLj32ELj16ELj128ELb0ELb0ELb0EEEvllPKT_S7_PKT0_SA_PS5_SB_,"axG",@progbits,_ZN2at6native12_GLOBAL__N_135GammaBetaBackwardCUDAKernelTemplateIN3c108BFloat16EfLj32ELj16ELj128ELb0ELb0ELb0EEEvllPKT_S7_PKT0_SA_PS5_SB_,comdat
	.globl	_ZN2at6native12_GLOBAL__N_135GammaBetaBackwardCUDAKernelTemplateIN3c108BFloat16EfLj32ELj16ELj128ELb0ELb0ELb0EEEvllPKT_S7_PKT0_SA_PS5_SB_ ; -- Begin function _ZN2at6native12_GLOBAL__N_135GammaBetaBackwardCUDAKernelTemplateIN3c108BFloat16EfLj32ELj16ELj128ELb0ELb0ELb0EEEvllPKT_S7_PKT0_SA_PS5_SB_
	.p2align	8
	.type	_ZN2at6native12_GLOBAL__N_135GammaBetaBackwardCUDAKernelTemplateIN3c108BFloat16EfLj32ELj16ELj128ELb0ELb0ELb0EEEvllPKT_S7_PKT0_SA_PS5_SB_,@function
_ZN2at6native12_GLOBAL__N_135GammaBetaBackwardCUDAKernelTemplateIN3c108BFloat16EfLj32ELj16ELj128ELb0ELb0ELb0EEEvllPKT_S7_PKT0_SA_PS5_SB_: ; @_ZN2at6native12_GLOBAL__N_135GammaBetaBackwardCUDAKernelTemplateIN3c108BFloat16EfLj32ELj16ELj128ELb0ELb0ELb0EEEvllPKT_S7_PKT0_SA_PS5_SB_
; %bb.0:
	s_load_dwordx8 s[8:15], s[0:1], 0x0
	s_load_dwordx4 s[24:27], s[0:1], 0x20
	s_lshl_b32 s33, s2, 5
	s_mov_b32 s16, 0
	s_or_b32 s4, s33, 31
	s_mov_b32 s5, s16
	s_waitcnt lgkmcnt(0)
	v_mov_b64_e32 v[2:3], s[10:11]
	v_cmp_ge_i64_e32 vcc, s[4:5], v[2:3]
	s_lshl_b32 s28, s3, 7
	s_mov_b32 s29, s16
	v_mov_b64_e32 v[2:3], s[8:9]
	v_cmp_lt_i64_e64 s[4:5], s[28:29], v[2:3]
	s_nop 1
	v_cndmask_b32_e64 v1, 0, 1, s[4:5]
	v_cmp_ne_u32_e64 s[4:5], 1, v1
	s_cbranch_vccz .LBB113_48
; %bb.1:
	v_mov_b32_e32 v43, 0
	s_and_b64 vcc, exec, s[4:5]
	v_mov_b32_e32 v42, v43
	s_cbranch_vccnz .LBB113_49
; %bb.2:
	v_mov_b32_e32 v3, 0
	v_bfe_u32 v66, v0, 10, 10
	s_load_dword s3, s[0:1], 0x44
	v_lshlrev_b32_e32 v26, 3, v66
	v_mov_b32_e32 v27, v3
	v_and_b32_e32 v1, 0x3ff, v0
	v_lshl_add_u64 v[4:5], v[26:27], 0, s[28:29]
	v_add_u32_e32 v2, s33, v1
	v_lshl_add_u64 v[6:7], v[4:5], 0, 7
	s_add_u32 s30, s0, 64
	v_cmp_gt_i64_e64 s[6:7], s[10:11], v[2:3]
	v_lshlrev_b64 v[28:29], 1, v[2:3]
	v_mul_lo_u32 v2, s11, v6
	v_mul_lo_u32 v8, s10, v7
	v_mad_u64_u32 v[6:7], s[18:19], s10, v6, 0
	s_addc_u32 s31, s1, 0
	s_waitcnt lgkmcnt(0)
	s_lshl_b32 s3, s3, 7
	v_add3_u32 v7, v7, v8, v2
	v_lshlrev_b64 v[6:7], 1, v[6:7]
	s_mul_i32 s17, s11, s3
	s_mul_hi_u32 s18, s10, s3
	v_lshl_add_u64 v[30:31], s[12:13], 0, v[6:7]
	s_add_i32 s19, s18, s17
	s_mul_i32 s18, s10, s3
	v_lshl_add_u64 v[32:33], s[14:15], 0, v[6:7]
	v_lshl_add_u64 v[6:7], v[4:5], 0, 6
	s_lshl_b64 s[34:35], s[18:19], 1
	v_mul_lo_u32 v2, s11, v6
	v_mul_lo_u32 v8, s10, v7
	v_mad_u64_u32 v[6:7], s[18:19], s10, v6, 0
	v_add3_u32 v7, v7, v8, v2
	v_lshlrev_b64 v[6:7], 1, v[6:7]
	v_lshl_add_u64 v[34:35], s[12:13], 0, v[6:7]
	v_lshl_add_u64 v[36:37], s[14:15], 0, v[6:7]
	v_lshl_add_u64 v[6:7], v[4:5], 0, 5
	v_mul_lo_u32 v2, s11, v6
	v_mul_lo_u32 v8, s10, v7
	v_mad_u64_u32 v[6:7], s[18:19], s10, v6, 0
	v_add3_u32 v7, v7, v8, v2
	v_lshlrev_b64 v[6:7], 1, v[6:7]
	v_lshl_add_u64 v[38:39], s[12:13], 0, v[6:7]
	v_lshl_add_u64 v[40:41], s[14:15], 0, v[6:7]
	v_lshl_add_u64 v[6:7], v[4:5], 0, 4
	;; [unrolled: 8-line block ×4, first 2 shown]
	v_mul_lo_u32 v2, s11, v6
	v_mul_lo_u32 v8, s10, v7
	v_mad_u64_u32 v[6:7], s[18:19], s10, v6, 0
	v_add3_u32 v7, v7, v8, v2
	v_lshlrev_b64 v[6:7], 1, v[6:7]
	v_lshl_add_u64 v[52:53], s[12:13], 0, v[6:7]
	v_lshl_add_u64 v[54:55], s[14:15], 0, v[6:7]
	v_mov_b64_e32 v[6:7], s[10:11]
	v_mad_u64_u32 v[6:7], s[18:19], s10, v4, v[6:7]
	v_mul_lo_u32 v2, s10, v5
	v_mul_lo_u32 v8, s11, v4
	v_mad_u64_u32 v[4:5], s[18:19], s10, v4, 0
	v_add3_u32 v7, v8, v7, v2
	v_add3_u32 v5, v5, v2, v8
	v_mbcnt_lo_u32_b32 v2, -1, 0
	v_mbcnt_hi_u32_b32 v2, -1, v2
	v_lshlrev_b64 v[6:7], 1, v[6:7]
	s_add_u32 s36, s28, 0x7f
	v_lshlrev_b64 v[4:5], 1, v[4:5]
	s_movk_i32 s38, 0xff81
	s_movk_i32 s40, 0xff82
	;; [unrolled: 1-line block ×8, first 2 shown]
	v_lshlrev_b32_e32 v2, 2, v2
	v_lshl_add_u64 v[56:57], s[12:13], 0, v[6:7]
	v_lshl_add_u64 v[58:59], s[14:15], 0, v[6:7]
	s_addc_u32 s37, 0, 0
	v_lshl_add_u64 v[60:61], s[12:13], 0, v[4:5]
	v_lshl_add_u64 v[62:63], s[14:15], 0, v[4:5]
	s_mov_b32 s39, -1
	s_mov_b32 s41, -1
	s_mov_b32 s43, -1
	s_mov_b32 s45, -1
	s_mov_b32 s47, -1
	s_mov_b32 s49, -1
	s_mov_b32 s51, -1
	s_mov_b32 s53, -1
	v_and_b32_e32 v67, 0x100, v2
	s_mov_b64 s[54:55], s[28:29]
	v_mov_b32_e32 v42, v3
	v_mov_b32_e32 v43, v3
	s_branch .LBB113_5
.LBB113_3:                              ;   in Loop: Header=BB113_5 Depth=1
	s_or_b64 exec, exec, s[18:19]
	s_waitcnt vmcnt(1)
	ds_bpermute_b32 v2, v67, v69
	ds_bpermute_b32 v4, v67, v69 offset:4
	s_waitcnt vmcnt(0)
	ds_bpermute_b32 v5, v67, v68
	ds_bpermute_b32 v6, v67, v68 offset:4
	ds_bpermute_b32 v8, v67, v68 offset:12
	s_waitcnt lgkmcnt(4)
	v_sub_f32_e32 v2, v10, v2
	v_mul_f32_e32 v2, v18, v2
	s_waitcnt lgkmcnt(3)
	v_sub_f32_e32 v4, v11, v4
	s_waitcnt lgkmcnt(2)
	v_mul_f32_e32 v5, v2, v5
	ds_bpermute_b32 v2, v67, v69 offset:8
	v_mul_f32_e32 v4, v19, v4
	s_waitcnt lgkmcnt(2)
	v_mul_f32_e32 v7, v4, v6
	ds_bpermute_b32 v4, v67, v68 offset:8
	ds_bpermute_b32 v6, v67, v69 offset:12
	s_waitcnt lgkmcnt(2)
	v_sub_f32_e32 v2, v12, v2
	v_mul_f32_e32 v2, v20, v2
	v_mov_b32_e32 v10, v21
	s_waitcnt lgkmcnt(1)
	v_mul_f32_e32 v9, v2, v4
	s_waitcnt lgkmcnt(0)
	v_sub_f32_e32 v2, v13, v6
	ds_bpermute_b32 v4, v67, v69 offset:16
	v_mul_f32_e32 v2, v21, v2
	v_mul_f32_e32 v11, v2, v8
	ds_bpermute_b32 v2, v67, v68 offset:16
	ds_bpermute_b32 v6, v67, v69 offset:20
	ds_bpermute_b32 v8, v67, v68 offset:20
	s_waitcnt lgkmcnt(3)
	v_sub_f32_e32 v4, v14, v4
	v_mul_f32_e32 v4, v22, v4
	s_waitcnt lgkmcnt(2)
	v_mul_f32_e32 v13, v4, v2
	s_waitcnt lgkmcnt(1)
	v_sub_f32_e32 v2, v15, v6
	v_mul_f32_e32 v2, v23, v2
	s_waitcnt lgkmcnt(0)
	v_mul_f32_e32 v15, v2, v8
	v_mov_b32_e32 v4, v18
	ds_bpermute_b32 v2, v67, v69 offset:24
	v_pk_add_f32 v[4:5], v[42:43], v[4:5]
	v_mov_b32_e32 v6, v19
	v_pk_add_f32 v[4:5], v[6:7], v[4:5]
	ds_bpermute_b32 v7, v67, v68 offset:24
	v_mov_b32_e32 v8, v20
	v_pk_add_f32 v[4:5], v[8:9], v[4:5]
	v_mov_b32_e32 v12, v22
	v_pk_add_f32 v[4:5], v[10:11], v[4:5]
	s_waitcnt lgkmcnt(1)
	v_sub_f32_e32 v8, v16, v2
	v_pk_add_f32 v[4:5], v[12:13], v[4:5]
	v_mov_b32_e32 v14, v23
	v_mul_f32_e32 v8, v24, v8
	v_pk_add_f32 v[4:5], v[14:15], v[4:5]
	s_waitcnt lgkmcnt(0)
	v_mul_f32_e32 v9, v8, v7
	v_mov_b32_e32 v8, v24
	ds_bpermute_b32 v2, v67, v68 offset:28
	ds_bpermute_b32 v6, v67, v69 offset:28
	v_pk_add_f32 v[4:5], v[8:9], v[4:5]
.LBB113_4:                              ;   in Loop: Header=BB113_5 Depth=1
	s_waitcnt lgkmcnt(0)
	v_sub_f32_e32 v6, v17, v6
	v_mul_f32_e32 v6, v25, v6
	v_mul_f32_e32 v7, v6, v2
	v_mov_b32_e32 v6, v25
	s_add_u32 s54, s54, s3
	v_pk_add_f32 v[42:43], v[4:5], v[6:7]
	s_addc_u32 s55, s55, 0
	v_mov_b64_e32 v[4:5], s[8:9]
	s_add_u32 s36, s36, s3
	v_cmp_lt_i64_e32 vcc, s[54:55], v[4:5]
	v_lshl_add_u64 v[30:31], v[30:31], 0, s[34:35]
	v_lshl_add_u64 v[32:33], v[32:33], 0, s[34:35]
	;; [unrolled: 1-line block ×14, first 2 shown]
	s_addc_u32 s37, s37, 0
	v_lshl_add_u64 v[60:61], v[60:61], 0, s[34:35]
	v_lshl_add_u64 v[62:63], v[62:63], 0, s[34:35]
	s_cbranch_vccz .LBB113_49
.LBB113_5:                              ; =>This Inner Loop Header: Depth=1
	v_mov_b64_e32 v[4:5], s[8:9]
	v_cmp_ge_i64_e32 vcc, s[36:37], v[4:5]
	v_lshl_add_u64 v[64:65], v[26:27], 0, s[36:37]
	s_cbranch_vccz .LBB113_27
; %bb.6:                                ;   in Loop: Header=BB113_5 Depth=1
	s_load_dword s17, s[30:31], 0xc
	v_mov_b32_e32 v68, 0
	v_mov_b32_e32 v69, 0
	s_waitcnt lgkmcnt(0)
	s_and_b32 s17, s17, 0xffff
	v_mad_u32_u24 v2, v66, s17, v1
	v_and_b32_e32 v2, 63, v2
	v_cmp_gt_u32_e32 vcc, 8, v2
	s_and_saveexec_b64 s[18:19], vcc
	s_cbranch_execz .LBB113_10
; %bb.7:                                ;   in Loop: Header=BB113_5 Depth=1
	v_lshl_add_u64 v[4:5], v[64:65], 0, v[2:3]
	v_lshl_add_u64 v[4:5], v[4:5], 0, s[38:39]
	v_cmp_gt_i64_e32 vcc, s[8:9], v[4:5]
	v_mov_b32_e32 v69, 0
	v_mov_b32_e32 v68, 0
	s_and_saveexec_b64 s[20:21], vcc
	s_cbranch_execz .LBB113_9
; %bb.8:                                ;   in Loop: Header=BB113_5 Depth=1
	v_lshlrev_b64 v[4:5], 2, v[4:5]
	v_lshl_add_u64 v[6:7], s[26:27], 0, v[4:5]
	v_lshl_add_u64 v[4:5], s[24:25], 0, v[4:5]
	global_load_dword v69, v[4:5], off
	global_load_dword v68, v[6:7], off
.LBB113_9:                              ;   in Loop: Header=BB113_5 Depth=1
	s_or_b64 exec, exec, s[20:21]
.LBB113_10:                             ;   in Loop: Header=BB113_5 Depth=1
	s_or_b64 exec, exec, s[18:19]
	s_mov_b32 s17, s16
	s_mov_b32 s18, s16
	;; [unrolled: 1-line block ×7, first 2 shown]
	v_mov_b64_e32 v[10:11], s[16:17]
	v_lshl_add_u64 v[4:5], v[64:65], 0, s[38:39]
	v_mov_b64_e32 v[16:17], s[22:23]
	v_cmp_gt_i64_e32 vcc, s[8:9], v[4:5]
	v_mov_b64_e32 v[12:13], s[18:19]
	v_mov_b64_e32 v[14:15], s[20:21]
	;; [unrolled: 1-line block ×3, first 2 shown]
	s_and_b64 s[56:57], s[6:7], vcc
	v_mov_b64_e32 v[22:23], v[14:15]
	v_mov_b64_e32 v[20:21], v[12:13]
	;; [unrolled: 1-line block ×3, first 2 shown]
	s_and_saveexec_b64 s[18:19], s[56:57]
	s_cbranch_execz .LBB113_12
; %bb.11:                               ;   in Loop: Header=BB113_5 Depth=1
	v_lshl_add_u64 v[4:5], v[60:61], 0, v[28:29]
	global_load_ushort v2, v[4:5], off
	v_lshl_add_u64 v[4:5], v[62:63], 0, v[28:29]
	global_load_ushort v10, v[4:5], off
	v_mov_b32_e32 v8, v3
	v_mov_b32_e32 v9, v3
	;; [unrolled: 1-line block ×13, first 2 shown]
	s_waitcnt vmcnt(1)
	v_lshlrev_b32_e32 v2, 16, v2
	v_mov_b64_e32 v[24:25], v[8:9]
	s_waitcnt vmcnt(0)
	v_lshlrev_b32_e32 v10, 16, v10
	v_mov_b64_e32 v[22:23], v[6:7]
	v_mov_b64_e32 v[20:21], v[4:5]
	;; [unrolled: 1-line block ×3, first 2 shown]
.LBB113_12:                             ;   in Loop: Header=BB113_5 Depth=1
	s_or_b64 exec, exec, s[18:19]
	v_lshl_add_u64 v[4:5], v[64:65], 0, s[40:41]
	v_cmp_gt_i64_e32 vcc, s[8:9], v[4:5]
	s_and_b64 s[20:21], s[6:7], vcc
	s_and_saveexec_b64 s[18:19], s[20:21]
	s_cbranch_execz .LBB113_14
; %bb.13:                               ;   in Loop: Header=BB113_5 Depth=1
	v_lshl_add_u64 v[4:5], v[56:57], 0, v[28:29]
	global_load_ushort v2, v[4:5], off
	v_lshl_add_u64 v[4:5], v[58:59], 0, v[28:29]
	global_load_ushort v4, v[4:5], off
	s_waitcnt vmcnt(1)
	v_lshlrev_b32_e32 v19, 16, v2
	s_waitcnt vmcnt(0)
	v_lshlrev_b32_e32 v11, 16, v4
.LBB113_14:                             ;   in Loop: Header=BB113_5 Depth=1
	s_or_b64 exec, exec, s[18:19]
	v_lshl_add_u64 v[4:5], v[64:65], 0, s[42:43]
	v_cmp_gt_i64_e32 vcc, s[8:9], v[4:5]
	s_and_b64 s[20:21], s[6:7], vcc
	s_and_saveexec_b64 s[18:19], s[20:21]
	s_cbranch_execz .LBB113_16
; %bb.15:                               ;   in Loop: Header=BB113_5 Depth=1
	v_lshl_add_u64 v[4:5], v[52:53], 0, v[28:29]
	global_load_ushort v2, v[4:5], off
	v_lshl_add_u64 v[4:5], v[54:55], 0, v[28:29]
	global_load_ushort v4, v[4:5], off
	s_waitcnt vmcnt(1)
	v_lshlrev_b32_e32 v20, 16, v2
	s_waitcnt vmcnt(0)
	v_lshlrev_b32_e32 v12, 16, v4
.LBB113_16:                             ;   in Loop: Header=BB113_5 Depth=1
	;; [unrolled: 16-line block ×7, first 2 shown]
	s_or_b64 exec, exec, s[18:19]
	s_waitcnt vmcnt(1)
	ds_bpermute_b32 v2, v67, v69
	ds_bpermute_b32 v4, v67, v69 offset:4
	s_waitcnt vmcnt(0)
	ds_bpermute_b32 v5, v67, v68
	ds_bpermute_b32 v6, v67, v68 offset:4
	ds_bpermute_b32 v8, v67, v68 offset:12
	s_waitcnt lgkmcnt(4)
	v_sub_f32_e32 v2, v10, v2
	v_mul_f32_e32 v2, v18, v2
	s_waitcnt lgkmcnt(3)
	v_sub_f32_e32 v4, v11, v4
	s_waitcnt lgkmcnt(2)
	v_mul_f32_e32 v5, v2, v5
	ds_bpermute_b32 v2, v67, v69 offset:8
	v_mul_f32_e32 v4, v19, v4
	s_waitcnt lgkmcnt(2)
	v_mul_f32_e32 v7, v4, v6
	ds_bpermute_b32 v4, v67, v68 offset:8
	ds_bpermute_b32 v6, v67, v69 offset:12
	s_waitcnt lgkmcnt(2)
	v_sub_f32_e32 v2, v12, v2
	v_mul_f32_e32 v2, v20, v2
	v_mov_b32_e32 v10, v21
	s_waitcnt lgkmcnt(1)
	v_mul_f32_e32 v9, v2, v4
	s_waitcnt lgkmcnt(0)
	v_sub_f32_e32 v2, v13, v6
	ds_bpermute_b32 v4, v67, v69 offset:16
	v_mul_f32_e32 v2, v21, v2
	v_mul_f32_e32 v11, v2, v8
	ds_bpermute_b32 v2, v67, v68 offset:16
	ds_bpermute_b32 v6, v67, v69 offset:20
	;; [unrolled: 1-line block ×3, first 2 shown]
	s_waitcnt lgkmcnt(3)
	v_sub_f32_e32 v4, v14, v4
	v_mul_f32_e32 v4, v22, v4
	s_waitcnt lgkmcnt(2)
	v_mul_f32_e32 v13, v4, v2
	s_waitcnt lgkmcnt(1)
	v_sub_f32_e32 v2, v15, v6
	v_mul_f32_e32 v2, v23, v2
	s_waitcnt lgkmcnt(0)
	v_mul_f32_e32 v15, v2, v8
	ds_bpermute_b32 v2, v67, v69 offset:24
	v_mov_b32_e32 v4, v18
	v_pk_add_f32 v[4:5], v[42:43], v[4:5]
	v_mov_b32_e32 v6, v19
	v_pk_add_f32 v[4:5], v[6:7], v[4:5]
	ds_bpermute_b32 v7, v67, v68 offset:24
	v_mov_b32_e32 v8, v20
	s_waitcnt lgkmcnt(1)
	v_sub_f32_e32 v2, v16, v2
	v_pk_add_f32 v[4:5], v[8:9], v[4:5]
	v_mul_f32_e32 v8, v24, v2
	ds_bpermute_b32 v2, v67, v68 offset:28
	ds_bpermute_b32 v6, v67, v69 offset:28
	v_pk_add_f32 v[4:5], v[10:11], v[4:5]
	v_mov_b32_e32 v12, v22
	v_pk_add_f32 v[4:5], v[12:13], v[4:5]
	v_mov_b32_e32 v14, v23
	v_pk_add_f32 v[4:5], v[14:15], v[4:5]
	s_waitcnt lgkmcnt(2)
	v_mul_f32_e32 v9, v8, v7
	v_mov_b32_e32 v8, v24
	v_pk_add_f32 v[4:5], v[8:9], v[4:5]
	s_branch .LBB113_4
.LBB113_27:                             ;   in Loop: Header=BB113_5 Depth=1
                                        ; implicit-def: $vgpr4_vgpr5
                                        ; implicit-def: $vgpr2
                                        ; implicit-def: $vgpr10_vgpr11_vgpr12_vgpr13_vgpr14_vgpr15_vgpr16_vgpr17
                                        ; implicit-def: $vgpr18_vgpr19_vgpr20_vgpr21_vgpr22_vgpr23_vgpr24_vgpr25
                                        ; implicit-def: $vgpr6
	s_cbranch_execz .LBB113_4
; %bb.28:                               ;   in Loop: Header=BB113_5 Depth=1
	s_load_dword s17, s[30:31], 0x0
	v_mov_b32_e32 v68, 0
	v_mov_b32_e32 v69, 0
	s_waitcnt lgkmcnt(0)
	s_cmp_lt_u32 s2, s17
	s_cselect_b32 s17, 12, 18
	s_add_u32 s18, s30, s17
	s_addc_u32 s19, s31, 0
	global_load_ushort v2, v3, s[18:19]
	s_waitcnt vmcnt(0)
	v_mad_u32_u24 v2, v66, v2, v1
	v_and_b32_e32 v2, 63, v2
	v_cmp_gt_u32_e32 vcc, 8, v2
	s_and_saveexec_b64 s[18:19], vcc
	s_cbranch_execz .LBB113_32
; %bb.29:                               ;   in Loop: Header=BB113_5 Depth=1
	v_lshl_add_u64 v[4:5], v[64:65], 0, v[2:3]
	v_lshl_add_u64 v[4:5], v[4:5], 0, s[38:39]
	v_cmp_gt_i64_e32 vcc, s[8:9], v[4:5]
	v_mov_b32_e32 v69, 0
	v_mov_b32_e32 v68, 0
	s_and_saveexec_b64 s[20:21], vcc
	s_cbranch_execz .LBB113_31
; %bb.30:                               ;   in Loop: Header=BB113_5 Depth=1
	v_lshlrev_b64 v[4:5], 2, v[4:5]
	v_lshl_add_u64 v[6:7], s[26:27], 0, v[4:5]
	v_lshl_add_u64 v[4:5], s[24:25], 0, v[4:5]
	global_load_dword v69, v[4:5], off
	global_load_dword v68, v[6:7], off
.LBB113_31:                             ;   in Loop: Header=BB113_5 Depth=1
	s_or_b64 exec, exec, s[20:21]
.LBB113_32:                             ;   in Loop: Header=BB113_5 Depth=1
	s_or_b64 exec, exec, s[18:19]
	s_mov_b32 s17, s16
	s_mov_b32 s18, s16
	;; [unrolled: 1-line block ×7, first 2 shown]
	v_mov_b64_e32 v[10:11], s[16:17]
	v_mov_b64_e32 v[16:17], s[22:23]
	;; [unrolled: 1-line block ×8, first 2 shown]
	s_and_saveexec_b64 s[18:19], s[6:7]
	s_cbranch_execnz .LBB113_40
; %bb.33:                               ;   in Loop: Header=BB113_5 Depth=1
	s_or_b64 exec, exec, s[18:19]
	s_and_saveexec_b64 s[18:19], s[6:7]
	s_cbranch_execnz .LBB113_41
.LBB113_34:                             ;   in Loop: Header=BB113_5 Depth=1
	s_or_b64 exec, exec, s[18:19]
	s_and_saveexec_b64 s[18:19], s[6:7]
	s_cbranch_execnz .LBB113_42
.LBB113_35:                             ;   in Loop: Header=BB113_5 Depth=1
	s_or_b64 exec, exec, s[18:19]
	s_and_saveexec_b64 s[18:19], s[6:7]
	s_cbranch_execnz .LBB113_43
.LBB113_36:                             ;   in Loop: Header=BB113_5 Depth=1
	s_or_b64 exec, exec, s[18:19]
	s_and_saveexec_b64 s[18:19], s[6:7]
	s_cbranch_execnz .LBB113_44
.LBB113_37:                             ;   in Loop: Header=BB113_5 Depth=1
	s_or_b64 exec, exec, s[18:19]
	s_and_saveexec_b64 s[18:19], s[6:7]
	s_cbranch_execnz .LBB113_45
.LBB113_38:                             ;   in Loop: Header=BB113_5 Depth=1
	s_or_b64 exec, exec, s[18:19]
	s_and_saveexec_b64 s[18:19], s[6:7]
	s_cbranch_execnz .LBB113_46
.LBB113_39:                             ;   in Loop: Header=BB113_5 Depth=1
	s_or_b64 exec, exec, s[18:19]
	s_and_saveexec_b64 s[18:19], s[6:7]
	s_cbranch_execz .LBB113_3
	s_branch .LBB113_47
.LBB113_40:                             ;   in Loop: Header=BB113_5 Depth=1
	v_lshl_add_u64 v[4:5], v[60:61], 0, v[28:29]
	global_load_ushort v2, v[4:5], off
	v_lshl_add_u64 v[4:5], v[62:63], 0, v[28:29]
	global_load_ushort v10, v[4:5], off
	v_mov_b32_e32 v8, v3
	v_mov_b32_e32 v9, v3
	;; [unrolled: 1-line block ×13, first 2 shown]
	s_waitcnt vmcnt(1)
	v_lshlrev_b32_e32 v2, 16, v2
	v_mov_b64_e32 v[24:25], v[8:9]
	s_waitcnt vmcnt(0)
	v_lshlrev_b32_e32 v10, 16, v10
	v_mov_b64_e32 v[22:23], v[6:7]
	v_mov_b64_e32 v[20:21], v[4:5]
	;; [unrolled: 1-line block ×3, first 2 shown]
	s_or_b64 exec, exec, s[18:19]
	s_and_saveexec_b64 s[18:19], s[6:7]
	s_cbranch_execz .LBB113_34
.LBB113_41:                             ;   in Loop: Header=BB113_5 Depth=1
	v_lshl_add_u64 v[4:5], v[56:57], 0, v[28:29]
	global_load_ushort v2, v[4:5], off
	v_lshl_add_u64 v[4:5], v[58:59], 0, v[28:29]
	global_load_ushort v4, v[4:5], off
	s_waitcnt vmcnt(1)
	v_lshlrev_b32_e32 v19, 16, v2
	s_waitcnt vmcnt(0)
	v_lshlrev_b32_e32 v11, 16, v4
	s_or_b64 exec, exec, s[18:19]
	s_and_saveexec_b64 s[18:19], s[6:7]
	s_cbranch_execz .LBB113_35
.LBB113_42:                             ;   in Loop: Header=BB113_5 Depth=1
	v_lshl_add_u64 v[4:5], v[52:53], 0, v[28:29]
	global_load_ushort v2, v[4:5], off
	v_lshl_add_u64 v[4:5], v[54:55], 0, v[28:29]
	global_load_ushort v4, v[4:5], off
	s_waitcnt vmcnt(1)
	v_lshlrev_b32_e32 v20, 16, v2
	s_waitcnt vmcnt(0)
	v_lshlrev_b32_e32 v12, 16, v4
	s_or_b64 exec, exec, s[18:19]
	s_and_saveexec_b64 s[18:19], s[6:7]
	s_cbranch_execz .LBB113_36
.LBB113_43:                             ;   in Loop: Header=BB113_5 Depth=1
	v_lshl_add_u64 v[4:5], v[48:49], 0, v[28:29]
	global_load_ushort v2, v[4:5], off
	v_lshl_add_u64 v[4:5], v[50:51], 0, v[28:29]
	global_load_ushort v4, v[4:5], off
	s_waitcnt vmcnt(1)
	v_lshlrev_b32_e32 v21, 16, v2
	s_waitcnt vmcnt(0)
	v_lshlrev_b32_e32 v13, 16, v4
	s_or_b64 exec, exec, s[18:19]
	s_and_saveexec_b64 s[18:19], s[6:7]
	s_cbranch_execz .LBB113_37
.LBB113_44:                             ;   in Loop: Header=BB113_5 Depth=1
	v_lshl_add_u64 v[4:5], v[44:45], 0, v[28:29]
	global_load_ushort v2, v[4:5], off
	v_lshl_add_u64 v[4:5], v[46:47], 0, v[28:29]
	global_load_ushort v4, v[4:5], off
	s_waitcnt vmcnt(1)
	v_lshlrev_b32_e32 v22, 16, v2
	s_waitcnt vmcnt(0)
	v_lshlrev_b32_e32 v14, 16, v4
	s_or_b64 exec, exec, s[18:19]
	s_and_saveexec_b64 s[18:19], s[6:7]
	s_cbranch_execz .LBB113_38
.LBB113_45:                             ;   in Loop: Header=BB113_5 Depth=1
	v_lshl_add_u64 v[4:5], v[38:39], 0, v[28:29]
	global_load_ushort v2, v[4:5], off
	v_lshl_add_u64 v[4:5], v[40:41], 0, v[28:29]
	global_load_ushort v4, v[4:5], off
	s_waitcnt vmcnt(1)
	v_lshlrev_b32_e32 v23, 16, v2
	s_waitcnt vmcnt(0)
	v_lshlrev_b32_e32 v15, 16, v4
	s_or_b64 exec, exec, s[18:19]
	s_and_saveexec_b64 s[18:19], s[6:7]
	s_cbranch_execz .LBB113_39
.LBB113_46:                             ;   in Loop: Header=BB113_5 Depth=1
	v_lshl_add_u64 v[4:5], v[34:35], 0, v[28:29]
	global_load_ushort v2, v[4:5], off
	v_lshl_add_u64 v[4:5], v[36:37], 0, v[28:29]
	global_load_ushort v4, v[4:5], off
	s_waitcnt vmcnt(1)
	v_lshlrev_b32_e32 v24, 16, v2
	s_waitcnt vmcnt(0)
	v_lshlrev_b32_e32 v16, 16, v4
	s_or_b64 exec, exec, s[18:19]
	s_and_saveexec_b64 s[18:19], s[6:7]
	s_cbranch_execz .LBB113_3
.LBB113_47:                             ;   in Loop: Header=BB113_5 Depth=1
	v_lshl_add_u64 v[4:5], v[30:31], 0, v[28:29]
	global_load_ushort v2, v[4:5], off
	v_lshl_add_u64 v[4:5], v[32:33], 0, v[28:29]
	global_load_ushort v4, v[4:5], off
	s_waitcnt vmcnt(1)
	v_lshlrev_b32_e32 v25, 16, v2
	s_waitcnt vmcnt(0)
	v_lshlrev_b32_e32 v17, 16, v4
	s_branch .LBB113_3
.LBB113_48:
                                        ; implicit-def: $vgpr43
	s_branch .LBB113_50
.LBB113_49:
	s_cbranch_execnz .LBB113_81
.LBB113_50:
	v_mov_b32_e32 v43, 0
	s_mov_b32 s16, 0
	s_and_b64 vcc, exec, s[4:5]
	v_mov_b32_e32 v42, v43
	s_cbranch_vccnz .LBB113_81
; %bb.51:
	v_and_b32_e32 v1, 0x3ff, v0
	v_add_u32_e32 v2, s33, v1
	v_mov_b32_e32 v3, 0
	v_bfe_u32 v96, v0, 10, 10
	v_lshlrev_b64 v[28:29], 1, v[2:3]
	v_lshlrev_b32_e32 v2, 4, v96
	v_lshl_add_u64 v[4:5], s[28:29], 1, v[2:3]
	v_lshl_add_u64 v[6:7], v[4:5], 0, 2
	v_mov_b64_e32 v[8:9], s[12:13]
	v_lshl_add_u64 v[10:11], v[4:5], 0, 4
	v_lshl_add_u64 v[12:13], v[4:5], 0, 6
	;; [unrolled: 1-line block ×6, first 2 shown]
	v_mad_u64_u32 v[30:31], s[4:5], s10, v6, v[8:9]
	v_mad_u64_u32 v[32:33], s[4:5], s10, v10, v[8:9]
	;; [unrolled: 1-line block ×7, first 2 shown]
	v_mov_b64_e32 v[8:9], s[14:15]
	v_lshlrev_b32_e32 v26, 3, v96
	v_mov_b32_e32 v27, v3
	v_mul_lo_u32 v2, s10, v7
	v_mul_lo_u32 v7, s11, v6
	v_mad_u64_u32 v[46:47], s[4:5], s10, v6, v[8:9]
	v_add3_u32 v31, v7, v31, v2
	v_mul_lo_u32 v5, s10, v5
	v_mul_lo_u32 v25, s11, v4
	v_add3_u32 v47, v7, v47, v2
	v_lshl_add_u64 v[6:7], v[26:27], 0, s[28:29]
	v_mad_u64_u32 v[58:59], s[4:5], s10, v4, v[8:9]
	v_add3_u32 v45, v25, v45, v5
	v_add3_u32 v59, v25, v59, v5
	v_lshl_add_u64 v[4:5], v[6:7], 0, 7
	v_mad_u64_u32 v[48:49], s[4:5], s10, v10, v[8:9]
	v_mad_u64_u32 v[50:51], s[4:5], s10, v12, v[8:9]
	;; [unrolled: 1-line block ×5, first 2 shown]
	v_mul_lo_u32 v8, s11, v4
	v_mul_lo_u32 v9, s10, v5
	v_mad_u64_u32 v[4:5], s[4:5], s10, v4, 0
	v_mul_lo_u32 v11, s10, v11
	v_mul_lo_u32 v20, s11, v10
	v_add3_u32 v5, v5, v9, v8
	v_lshl_add_u64 v[8:9], v[6:7], 0, 6
	v_add3_u32 v33, v20, v33, v11
	v_add3_u32 v49, v20, v49, v11
	v_mul_lo_u32 v10, s11, v8
	v_mul_lo_u32 v11, s10, v9
	v_mad_u64_u32 v[8:9], s[4:5], s10, v8, 0
	v_mul_lo_u32 v13, s10, v13
	v_mul_lo_u32 v21, s11, v12
	v_add3_u32 v9, v9, v11, v10
	v_lshl_add_u64 v[10:11], v[6:7], 0, 5
	v_add3_u32 v35, v21, v35, v13
	v_add3_u32 v51, v21, v51, v13
	;; [unrolled: 9-line block ×4, first 2 shown]
	v_mul_lo_u32 v16, s11, v14
	v_mul_lo_u32 v17, s10, v15
	v_mad_u64_u32 v[14:15], s[4:5], s10, v14, 0
	v_mul_lo_u32 v19, s10, v19
	v_mul_lo_u32 v24, s11, v18
	v_add3_u32 v15, v15, v17, v16
	v_lshl_add_u64 v[16:17], v[6:7], 0, 2
	s_load_dword s3, s[0:1], 0x44
	v_lshlrev_b64 v[4:5], 1, v[4:5]
	v_add3_u32 v41, v24, v41, v19
	v_add3_u32 v57, v24, v57, v19
	v_mul_lo_u32 v18, s11, v16
	v_mul_lo_u32 v19, s10, v17
	v_mad_u64_u32 v[16:17], s[4:5], s10, v16, 0
	v_lshl_add_u64 v[64:65], s[12:13], 0, v[4:5]
	v_lshl_add_u64 v[66:67], s[14:15], 0, v[4:5]
	v_lshlrev_b64 v[4:5], 1, v[8:9]
	v_add3_u32 v17, v17, v19, v18
	v_mov_b64_e32 v[18:19], s[10:11]
	v_lshl_add_u64 v[68:69], s[12:13], 0, v[4:5]
	v_lshl_add_u64 v[70:71], s[14:15], 0, v[4:5]
	v_lshlrev_b64 v[4:5], 1, v[10:11]
	v_mul_lo_u32 v2, s11, v6
	v_mad_u64_u32 v[18:19], s[4:5], s10, v6, v[18:19]
	v_mul_lo_u32 v20, s10, v7
	v_mad_u64_u32 v[6:7], s[4:5], s10, v6, 0
	v_lshl_add_u64 v[72:73], s[12:13], 0, v[4:5]
	v_lshl_add_u64 v[74:75], s[14:15], 0, v[4:5]
	v_lshlrev_b64 v[4:5], 1, v[12:13]
	s_add_u32 s4, s0, 64
	v_lshl_add_u64 v[76:77], s[12:13], 0, v[4:5]
	v_lshl_add_u64 v[78:79], s[14:15], 0, v[4:5]
	v_lshlrev_b64 v[4:5], 1, v[14:15]
	v_add3_u32 v7, v7, v20, v2
	v_add3_u32 v19, v2, v19, v20
	s_addc_u32 s5, s1, 0
	s_waitcnt lgkmcnt(0)
	s_lshl_b32 s3, s3, 7
	v_lshl_add_u64 v[80:81], s[12:13], 0, v[4:5]
	v_lshl_add_u64 v[82:83], s[14:15], 0, v[4:5]
	v_lshlrev_b64 v[4:5], 1, v[16:17]
	v_mbcnt_lo_u32_b32 v2, -1, 0
	s_add_u32 s6, s28, 0x7f
	s_mul_i32 s17, s11, s3
	s_mul_hi_u32 s18, s10, s3
	v_lshlrev_b64 v[6:7], 1, v[6:7]
	v_lshl_add_u64 v[84:85], s[12:13], 0, v[4:5]
	v_lshl_add_u64 v[86:87], s[14:15], 0, v[4:5]
	v_lshlrev_b64 v[4:5], 1, v[18:19]
	v_mbcnt_hi_u32_b32 v2, -1, v2
	s_addc_u32 s7, 0, 0
	s_add_i32 s19, s18, s17
	s_mul_i32 s18, s10, s3
	v_lshl_add_u64 v[60:61], s[12:13], 0, v[6:7]
	v_lshl_add_u64 v[62:63], s[14:15], 0, v[6:7]
	;; [unrolled: 1-line block ×4, first 2 shown]
	s_movk_i32 s12, 0xff81
	s_movk_i32 s14, 0xff82
	s_movk_i32 s34, 0xff83
	s_movk_i32 s36, 0xff84
	s_movk_i32 s38, 0xff85
	s_movk_i32 s40, 0xff86
	s_movk_i32 s42, 0xff87
	s_movk_i32 s44, 0xff88
	v_lshlrev_b32_e32 v2, 2, v2
	s_lshl_b64 s[30:31], s[18:19], 1
	s_mov_b32 s13, -1
	s_mov_b32 s15, -1
	;; [unrolled: 1-line block ×8, first 2 shown]
	v_and_b32_e32 v97, 0x100, v2
	v_mov_b32_e32 v42, v3
	v_mov_b32_e32 v43, v3
	s_branch .LBB113_55
.LBB113_52:                             ;   in Loop: Header=BB113_55 Depth=1
	s_or_b64 exec, exec, s[20:21]
.LBB113_53:                             ;   in Loop: Header=BB113_55 Depth=1
	s_or_b64 exec, exec, s[18:19]
	v_lshl_add_u64 v[4:5], v[60:61], 0, v[28:29]
	global_load_ushort v2, v[4:5], off
	v_lshl_add_u64 v[4:5], v[62:63], 0, v[28:29]
	global_load_ushort v8, v[4:5], off
	;; [unrolled: 2-line block ×16, first 2 shown]
	s_waitcnt vmcnt(17)
	ds_bpermute_b32 v23, v97, v7
	ds_bpermute_b32 v25, v97, v7 offset:4
	s_waitcnt vmcnt(16)
	ds_bpermute_b32 v22, v97, v6
	ds_bpermute_b32 v43, v97, v7 offset:8
	ds_bpermute_b32 v95, v97, v7 offset:12
	;; [unrolled: 1-line block ×13, first 2 shown]
	s_waitcnt vmcnt(15)
	v_lshlrev_b32_e32 v4, 16, v2
	s_waitcnt vmcnt(14)
	v_lshlrev_b32_e32 v2, 16, v8
	s_waitcnt lgkmcnt(14)
	v_sub_f32_e32 v2, v2, v23
	s_waitcnt vmcnt(13)
	v_lshlrev_b32_e32 v6, 16, v9
	v_mul_f32_e32 v2, v2, v4
	s_waitcnt vmcnt(12)
	v_lshlrev_b32_e32 v7, 16, v10
	s_waitcnt vmcnt(11)
	v_lshlrev_b32_e32 v8, 16, v11
	;; [unrolled: 2-line block ×13, first 2 shown]
	v_sub_f32_e32 v5, v7, v25
	s_waitcnt lgkmcnt(12)
	v_sub_f32_e32 v7, v9, v43
	s_waitcnt lgkmcnt(11)
	;; [unrolled: 2-line block ×5, first 2 shown]
	v_sub_f32_e32 v15, v17, v103
	v_mul_f32_e32 v17, v5, v6
	v_mul_f32_e32 v5, v2, v22
	;; [unrolled: 1-line block ×3, first 2 shown]
	s_waitcnt lgkmcnt(7)
	v_mul_f32_e32 v7, v17, v24
	v_pk_add_f32 v[4:5], v[92:93], v[4:5]
	v_mul_f32_e32 v21, v9, v10
	s_waitcnt lgkmcnt(6)
	v_mul_f32_e32 v9, v20, v42
	v_pk_add_f32 v[4:5], v[4:5], v[6:7]
	v_mul_f32_e32 v23, v11, v12
	;; [unrolled: 4-line block ×4, first 2 shown]
	s_waitcnt lgkmcnt(2)
	v_mul_f32_e32 v15, v25, v100
	v_pk_add_f32 v[4:5], v[4:5], v[12:13]
	v_sub_f32_e32 v2, v19, v105
	s_waitcnt lgkmcnt(1)
	v_mul_f32_e32 v17, v43, v102
	v_pk_add_f32 v[4:5], v[4:5], v[14:15]
	v_mul_f32_e32 v2, v2, v18
	v_pk_add_f32 v[4:5], v[4:5], v[16:17]
	s_waitcnt lgkmcnt(0)
	v_mul_f32_e32 v19, v2, v104
	v_pk_add_f32 v[42:43], v[4:5], v[18:19]
.LBB113_54:                             ;   in Loop: Header=BB113_55 Depth=1
	s_add_u32 s28, s28, s3
	s_addc_u32 s29, s29, 0
	v_mov_b64_e32 v[4:5], s[8:9]
	s_add_u32 s6, s6, s3
	v_cmp_ge_i64_e32 vcc, s[28:29], v[4:5]
	s_addc_u32 s7, s7, 0
	v_lshl_add_u64 v[30:31], v[30:31], 0, s[30:31]
	v_lshl_add_u64 v[32:33], v[32:33], 0, s[30:31]
	;; [unrolled: 1-line block ×30, first 2 shown]
	s_cbranch_vccnz .LBB113_81
.LBB113_55:                             ; =>This Inner Loop Header: Depth=1
	v_mov_b64_e32 v[4:5], s[8:9]
	v_cmp_ge_i64_e32 vcc, s[6:7], v[4:5]
	v_mov_b32_e32 v92, v42
	v_mov_b32_e32 v93, v43
	v_lshl_add_u64 v[94:95], v[26:27], 0, s[6:7]
	s_cbranch_vccz .LBB113_77
; %bb.56:                               ;   in Loop: Header=BB113_55 Depth=1
	s_load_dword s17, s[4:5], 0xc
	v_mov_b32_e32 v42, 0
	v_mov_b32_e32 v43, 0
	s_waitcnt lgkmcnt(0)
	s_and_b32 s17, s17, 0xffff
	v_mad_u32_u24 v2, v96, s17, v1
	v_and_b32_e32 v2, 63, v2
	v_cmp_gt_u32_e32 vcc, 8, v2
	s_and_saveexec_b64 s[18:19], vcc
	s_cbranch_execz .LBB113_60
; %bb.57:                               ;   in Loop: Header=BB113_55 Depth=1
	v_lshl_add_u64 v[4:5], v[94:95], 0, v[2:3]
	v_lshl_add_u64 v[4:5], v[4:5], 0, s[12:13]
	v_cmp_gt_i64_e32 vcc, s[8:9], v[4:5]
	v_mov_b32_e32 v43, 0
	v_mov_b32_e32 v42, 0
	s_and_saveexec_b64 s[20:21], vcc
	s_cbranch_execz .LBB113_59
; %bb.58:                               ;   in Loop: Header=BB113_55 Depth=1
	v_lshlrev_b64 v[4:5], 2, v[4:5]
	v_lshl_add_u64 v[6:7], s[26:27], 0, v[4:5]
	v_lshl_add_u64 v[4:5], s[24:25], 0, v[4:5]
	global_load_dword v43, v[4:5], off
	global_load_dword v42, v[6:7], off
.LBB113_59:                             ;   in Loop: Header=BB113_55 Depth=1
	s_or_b64 exec, exec, s[20:21]
.LBB113_60:                             ;   in Loop: Header=BB113_55 Depth=1
	s_or_b64 exec, exec, s[18:19]
	s_mov_b32 s17, s16
	s_mov_b32 s18, s16
	;; [unrolled: 1-line block ×7, first 2 shown]
	v_mov_b64_e32 v[10:11], s[16:17]
	v_mov_b64_e32 v[16:17], s[22:23]
	v_lshl_add_u64 v[4:5], v[94:95], 0, s[12:13]
	v_mov_b64_e32 v[12:13], s[18:19]
	v_mov_b64_e32 v[14:15], s[20:21]
	;; [unrolled: 1-line block ×3, first 2 shown]
	v_cmp_gt_i64_e32 vcc, s[8:9], v[4:5]
	v_mov_b64_e32 v[22:23], v[14:15]
	v_mov_b64_e32 v[20:21], v[12:13]
	;; [unrolled: 1-line block ×3, first 2 shown]
	s_and_saveexec_b64 s[18:19], vcc
	s_cbranch_execz .LBB113_62
; %bb.61:                               ;   in Loop: Header=BB113_55 Depth=1
	v_lshl_add_u64 v[4:5], v[60:61], 0, v[28:29]
	global_load_ushort v2, v[4:5], off
	v_lshl_add_u64 v[4:5], v[62:63], 0, v[28:29]
	global_load_ushort v10, v[4:5], off
	v_mov_b32_e32 v8, v3
	v_mov_b32_e32 v9, v3
	;; [unrolled: 1-line block ×13, first 2 shown]
	s_waitcnt vmcnt(1)
	v_lshlrev_b32_e32 v2, 16, v2
	v_mov_b64_e32 v[24:25], v[8:9]
	s_waitcnt vmcnt(0)
	v_lshlrev_b32_e32 v10, 16, v10
	v_mov_b64_e32 v[22:23], v[6:7]
	v_mov_b64_e32 v[20:21], v[4:5]
	;; [unrolled: 1-line block ×3, first 2 shown]
.LBB113_62:                             ;   in Loop: Header=BB113_55 Depth=1
	s_or_b64 exec, exec, s[18:19]
	v_lshl_add_u64 v[4:5], v[94:95], 0, s[14:15]
	v_cmp_gt_i64_e32 vcc, s[8:9], v[4:5]
	s_and_saveexec_b64 s[18:19], vcc
	s_cbranch_execz .LBB113_64
; %bb.63:                               ;   in Loop: Header=BB113_55 Depth=1
	v_lshl_add_u64 v[4:5], v[88:89], 0, v[28:29]
	global_load_ushort v2, v[4:5], off
	v_lshl_add_u64 v[4:5], v[90:91], 0, v[28:29]
	global_load_ushort v4, v[4:5], off
	s_waitcnt vmcnt(1)
	v_lshlrev_b32_e32 v19, 16, v2
	s_waitcnt vmcnt(0)
	v_lshlrev_b32_e32 v11, 16, v4
.LBB113_64:                             ;   in Loop: Header=BB113_55 Depth=1
	s_or_b64 exec, exec, s[18:19]
	v_lshl_add_u64 v[4:5], v[94:95], 0, s[34:35]
	v_cmp_gt_i64_e32 vcc, s[8:9], v[4:5]
	s_and_saveexec_b64 s[18:19], vcc
	s_cbranch_execz .LBB113_66
; %bb.65:                               ;   in Loop: Header=BB113_55 Depth=1
	v_lshl_add_u64 v[4:5], v[84:85], 0, v[28:29]
	global_load_ushort v2, v[4:5], off
	v_lshl_add_u64 v[4:5], v[86:87], 0, v[28:29]
	global_load_ushort v4, v[4:5], off
	s_waitcnt vmcnt(1)
	v_lshlrev_b32_e32 v20, 16, v2
	s_waitcnt vmcnt(0)
	v_lshlrev_b32_e32 v12, 16, v4
.LBB113_66:                             ;   in Loop: Header=BB113_55 Depth=1
	;; [unrolled: 15-line block ×7, first 2 shown]
	s_or_b64 exec, exec, s[18:19]
	s_waitcnt vmcnt(1)
	ds_bpermute_b32 v2, v97, v43
	s_waitcnt vmcnt(0)
	ds_bpermute_b32 v4, v97, v42
	ds_bpermute_b32 v7, v97, v43 offset:4
	ds_bpermute_b32 v6, v97, v42 offset:4
	;; [unrolled: 1-line block ×3, first 2 shown]
	s_waitcnt lgkmcnt(4)
	v_sub_f32_e32 v2, v10, v2
	v_mul_f32_e32 v2, v18, v2
	s_waitcnt lgkmcnt(3)
	v_mul_f32_e32 v5, v2, v4
	ds_bpermute_b32 v4, v97, v42 offset:8
	s_waitcnt lgkmcnt(3)
	v_sub_f32_e32 v2, v11, v7
	v_mul_f32_e32 v2, v19, v2
	s_waitcnt lgkmcnt(2)
	v_mul_f32_e32 v7, v2, v6
	s_waitcnt lgkmcnt(1)
	v_sub_f32_e32 v2, v12, v8
	ds_bpermute_b32 v6, v97, v43 offset:12
	v_mul_f32_e32 v2, v20, v2
	s_waitcnt lgkmcnt(1)
	v_mul_f32_e32 v9, v2, v4
	ds_bpermute_b32 v2, v97, v42 offset:12
	ds_bpermute_b32 v4, v97, v43 offset:16
	ds_bpermute_b32 v8, v97, v42 offset:16
	s_waitcnt lgkmcnt(3)
	v_sub_f32_e32 v6, v13, v6
	v_mul_f32_e32 v6, v21, v6
	s_waitcnt lgkmcnt(2)
	v_mul_f32_e32 v11, v6, v2
	s_waitcnt lgkmcnt(1)
	v_sub_f32_e32 v2, v14, v4
	ds_bpermute_b32 v4, v97, v43 offset:20
	v_mul_f32_e32 v2, v22, v2
	s_waitcnt lgkmcnt(1)
	v_mul_f32_e32 v13, v2, v8
	ds_bpermute_b32 v2, v97, v42 offset:20
	ds_bpermute_b32 v6, v97, v43 offset:24
	;; [unrolled: 1-line block ×3, first 2 shown]
	s_waitcnt lgkmcnt(3)
	v_sub_f32_e32 v4, v15, v4
	v_mul_f32_e32 v4, v23, v4
	s_waitcnt lgkmcnt(2)
	v_mul_f32_e32 v15, v4, v2
	s_waitcnt lgkmcnt(1)
	v_sub_f32_e32 v2, v16, v6
	v_mul_f32_e32 v2, v24, v2
	s_waitcnt lgkmcnt(0)
	v_mul_f32_e32 v99, v2, v8
	v_mov_b32_e32 v4, v18
	ds_bpermute_b32 v2, v97, v43 offset:28
	v_pk_add_f32 v[4:5], v[92:93], v[4:5]
	v_mov_b32_e32 v6, v19
	v_pk_add_f32 v[4:5], v[6:7], v[4:5]
	v_mov_b32_e32 v8, v20
	ds_bpermute_b32 v6, v97, v42 offset:28
	v_pk_add_f32 v[4:5], v[8:9], v[4:5]
	v_mov_b32_e32 v10, v21
	v_pk_add_f32 v[4:5], v[10:11], v[4:5]
	v_mov_b32_e32 v12, v22
	;; [unrolled: 2-line block ×3, first 2 shown]
	s_waitcnt lgkmcnt(1)
	v_sub_f32_e32 v2, v17, v2
	v_pk_add_f32 v[4:5], v[14:15], v[4:5]
	v_mov_b32_e32 v98, v24
	v_mul_f32_e32 v2, v25, v2
	v_pk_add_f32 v[4:5], v[98:99], v[4:5]
	s_waitcnt lgkmcnt(0)
	v_mul_f32_e32 v7, v2, v6
	v_mov_b32_e32 v6, v25
	v_pk_add_f32 v[42:43], v[6:7], v[4:5]
	s_branch .LBB113_54
.LBB113_77:                             ;   in Loop: Header=BB113_55 Depth=1
                                        ; implicit-def: $vgpr43
	s_cbranch_execz .LBB113_54
; %bb.78:                               ;   in Loop: Header=BB113_55 Depth=1
	s_load_dword s17, s[4:5], 0x0
	v_mov_b32_e32 v6, 0
	v_mov_b32_e32 v7, 0
	s_waitcnt lgkmcnt(0)
	s_cmp_lt_u32 s2, s17
	s_cselect_b32 s17, 12, 18
	s_add_u32 s18, s4, s17
	s_addc_u32 s19, s5, 0
	global_load_ushort v2, v3, s[18:19]
	s_waitcnt vmcnt(0)
	v_mad_u32_u24 v2, v96, v2, v1
	v_and_b32_e32 v2, 63, v2
	v_cmp_gt_u32_e32 vcc, 8, v2
	s_and_saveexec_b64 s[18:19], vcc
	s_cbranch_execz .LBB113_53
; %bb.79:                               ;   in Loop: Header=BB113_55 Depth=1
	v_lshl_add_u64 v[4:5], v[94:95], 0, v[2:3]
	v_lshl_add_u64 v[4:5], v[4:5], 0, s[12:13]
	v_cmp_gt_i64_e32 vcc, s[8:9], v[4:5]
	v_mov_b32_e32 v7, 0
	v_mov_b32_e32 v6, 0
	s_and_saveexec_b64 s[20:21], vcc
	s_cbranch_execz .LBB113_52
; %bb.80:                               ;   in Loop: Header=BB113_55 Depth=1
	v_lshlrev_b64 v[4:5], 2, v[4:5]
	v_lshl_add_u64 v[8:9], s[26:27], 0, v[4:5]
	v_lshl_add_u64 v[4:5], s[24:25], 0, v[4:5]
	global_load_dword v7, v[4:5], off
	global_load_dword v6, v[8:9], off
	s_branch .LBB113_52
.LBB113_81:
	v_and_b32_e32 v2, 0x3ff, v0
	v_bfe_u32 v0, v0, 10, 10
	v_mad_u32_u24 v1, v0, 33, v2
	v_lshl_add_u32 v3, v1, 2, 0
	v_sub_u32_e32 v1, v1, v0
	s_movk_i32 s4, 0x800
	s_mov_b32 s3, 0
	v_cmp_gt_u32_e32 vcc, s4, v1
	ds_write_b32 v3, v43
	ds_write_b32 v3, v42 offset:2112
	s_waitcnt lgkmcnt(0)
	s_barrier
	s_and_saveexec_b64 s[4:5], vcc
	s_cbranch_execz .LBB113_91
; %bb.82:
	v_mbcnt_lo_u32_b32 v3, -1, 0
	v_mbcnt_hi_u32_b32 v3, -1, v3
	v_and_b32_e32 v4, 64, v3
	v_add_u32_e32 v4, 64, v4
	v_cmp_eq_u32_e64 s[4:5], 0, v2
	v_xor_b32_e32 v2, 8, v3
	v_cmp_lt_i32_e32 vcc, v2, v4
	s_load_dwordx4 s[16:19], s[0:1], 0x30
	s_lshl_b64 s[8:9], s[2:3], 5
	v_cndmask_b32_e32 v2, v3, v2, vcc
	v_lshlrev_b32_e32 v8, 2, v2
	v_xor_b32_e32 v2, 4, v3
	v_cmp_lt_i32_e32 vcc, v2, v4
	v_lshrrev_b32_e32 v0, 6, v1
	v_and_b32_e32 v6, 63, v1
	v_cndmask_b32_e32 v2, v3, v2, vcc
	v_lshlrev_b32_e32 v9, 2, v2
	v_xor_b32_e32 v2, 2, v3
	v_cmp_lt_i32_e32 vcc, v2, v4
	s_waitcnt lgkmcnt(0)
	s_cmp_lg_u64 s[16:17], 0
	v_cmp_gt_u32_e64 s[0:1], 16, v6
	v_cndmask_b32_e32 v2, v3, v2, vcc
	v_lshlrev_b32_e32 v10, 2, v2
	v_xor_b32_e32 v2, 1, v3
	v_cmp_lt_i32_e32 vcc, v2, v4
	v_mov_b32_e32 v1, 0
	s_cselect_b64 s[6:7], -1, 0
	s_cmp_lg_u64 s[18:19], 0
	v_cndmask_b32_e32 v2, v3, v2, vcc
	v_mad_u32_u24 v6, v6, 33, v0
	s_cselect_b64 s[14:15], -1, 0
	v_lshlrev_b32_e32 v11, 2, v2
	s_lshl_b64 s[2:3], s[2:3], 6
	v_lshlrev_b32_e32 v2, 1, v0
	v_mov_b32_e32 v3, v1
	v_lshl_add_u32 v12, v6, 2, 0
	v_cndmask_b32_e64 v6, 0, 1, s[6:7]
	v_lshl_add_u64 v[4:5], s[2:3], 0, v[2:3]
	v_cmp_ne_u32_e64 s[2:3], 1, v6
	v_cndmask_b32_e64 v6, 0, 1, s[14:15]
	s_mov_b64 s[12:13], 0
	v_lshl_add_u64 v[2:3], s[18:19], 0, v[4:5]
	v_lshl_add_u64 v[4:5], s[16:17], 0, v[4:5]
	s_movk_i32 s16, 0x7fff
	v_cmp_ne_u32_e64 s[6:7], 1, v6
	v_mov_b32_e32 v13, 0x7fc0
                                        ; implicit-def: $vgpr6
	s_branch .LBB113_84
.LBB113_83:                             ;   in Loop: Header=BB113_84 Depth=1
	s_or_b64 exec, exec, s[14:15]
	v_lshl_add_u64 v[0:1], v[0:1], 0, 8
	v_add_u32_e32 v14, -8, v0
	v_cmp_lt_u32_e32 vcc, 23, v14
	v_lshl_add_u64 v[2:3], v[2:3], 0, 16
	v_lshl_add_u64 v[4:5], v[4:5], 0, 16
	s_or_b64 s[12:13], vcc, s[12:13]
	v_add_u32_e32 v12, 32, v12
	s_andn2_b64 exec, exec, s[12:13]
	s_cbranch_execz .LBB113_91
.LBB113_84:                             ; =>This Inner Loop Header: Depth=1
	s_and_saveexec_b64 s[14:15], s[0:1]
	s_cbranch_execz .LBB113_86
; %bb.85:                               ;   in Loop: Header=BB113_84 Depth=1
	ds_read_b32 v7, v12
	ds_read_b32 v6, v12 offset:2112
.LBB113_86:                             ;   in Loop: Header=BB113_84 Depth=1
	s_or_b64 exec, exec, s[14:15]
	s_waitcnt lgkmcnt(1)
	ds_bpermute_b32 v15, v8, v7
	s_waitcnt lgkmcnt(1)
	ds_bpermute_b32 v14, v8, v6
	v_lshl_add_u64 v[16:17], s[8:9], 0, v[0:1]
	v_cmp_gt_i64_e32 vcc, s[10:11], v[16:17]
	s_and_b64 s[18:19], s[4:5], vcc
	s_waitcnt lgkmcnt(0)
	v_pk_add_f32 v[6:7], v[6:7], v[14:15]
	ds_bpermute_b32 v15, v9, v7
	ds_bpermute_b32 v14, v9, v6
	s_waitcnt lgkmcnt(0)
	v_pk_add_f32 v[6:7], v[6:7], v[14:15]
	ds_bpermute_b32 v15, v10, v7
	ds_bpermute_b32 v14, v10, v6
	;; [unrolled: 4-line block ×3, first 2 shown]
	s_waitcnt lgkmcnt(0)
	v_pk_add_f32 v[6:7], v[6:7], v[14:15]
	s_and_saveexec_b64 s[14:15], s[18:19]
	s_cbranch_execz .LBB113_83
; %bb.87:                               ;   in Loop: Header=BB113_84 Depth=1
	s_and_b64 vcc, exec, s[2:3]
	s_cbranch_vccnz .LBB113_89
; %bb.88:                               ;   in Loop: Header=BB113_84 Depth=1
	v_bfe_u32 v14, v7, 16, 1
	v_add3_u32 v14, v7, v14, s16
	v_lshrrev_b32_e32 v14, 16, v14
	v_cmp_o_f32_e32 vcc, v7, v7
	s_nop 1
	v_cndmask_b32_e32 v14, v13, v14, vcc
	global_store_short v[4:5], v14, off
.LBB113_89:                             ;   in Loop: Header=BB113_84 Depth=1
	s_and_b64 vcc, exec, s[6:7]
	s_cbranch_vccnz .LBB113_83
; %bb.90:                               ;   in Loop: Header=BB113_84 Depth=1
	v_bfe_u32 v14, v6, 16, 1
	v_add3_u32 v14, v6, v14, s16
	v_lshrrev_b32_e32 v14, 16, v14
	v_cmp_o_f32_e32 vcc, v6, v6
	s_nop 1
	v_cndmask_b32_e32 v14, v13, v14, vcc
	global_store_short v[2:3], v14, off
	s_branch .LBB113_83
.LBB113_91:
	s_endpgm
	.section	.rodata,"a",@progbits
	.p2align	6, 0x0
	.amdhsa_kernel _ZN2at6native12_GLOBAL__N_135GammaBetaBackwardCUDAKernelTemplateIN3c108BFloat16EfLj32ELj16ELj128ELb0ELb0ELb0EEEvllPKT_S7_PKT0_SA_PS5_SB_
		.amdhsa_group_segment_fixed_size 0
		.amdhsa_private_segment_fixed_size 0
		.amdhsa_kernarg_size 320
		.amdhsa_user_sgpr_count 2
		.amdhsa_user_sgpr_dispatch_ptr 0
		.amdhsa_user_sgpr_queue_ptr 0
		.amdhsa_user_sgpr_kernarg_segment_ptr 1
		.amdhsa_user_sgpr_dispatch_id 0
		.amdhsa_user_sgpr_kernarg_preload_length 0
		.amdhsa_user_sgpr_kernarg_preload_offset 0
		.amdhsa_user_sgpr_private_segment_size 0
		.amdhsa_uses_dynamic_stack 0
		.amdhsa_enable_private_segment 0
		.amdhsa_system_sgpr_workgroup_id_x 1
		.amdhsa_system_sgpr_workgroup_id_y 1
		.amdhsa_system_sgpr_workgroup_id_z 0
		.amdhsa_system_sgpr_workgroup_info 0
		.amdhsa_system_vgpr_workitem_id 1
		.amdhsa_next_free_vgpr 106
		.amdhsa_next_free_sgpr 58
		.amdhsa_accum_offset 108
		.amdhsa_reserve_vcc 1
		.amdhsa_float_round_mode_32 0
		.amdhsa_float_round_mode_16_64 0
		.amdhsa_float_denorm_mode_32 3
		.amdhsa_float_denorm_mode_16_64 3
		.amdhsa_dx10_clamp 1
		.amdhsa_ieee_mode 1
		.amdhsa_fp16_overflow 0
		.amdhsa_tg_split 0
		.amdhsa_exception_fp_ieee_invalid_op 0
		.amdhsa_exception_fp_denorm_src 0
		.amdhsa_exception_fp_ieee_div_zero 0
		.amdhsa_exception_fp_ieee_overflow 0
		.amdhsa_exception_fp_ieee_underflow 0
		.amdhsa_exception_fp_ieee_inexact 0
		.amdhsa_exception_int_div_zero 0
	.end_amdhsa_kernel
	.section	.text._ZN2at6native12_GLOBAL__N_135GammaBetaBackwardCUDAKernelTemplateIN3c108BFloat16EfLj32ELj16ELj128ELb0ELb0ELb0EEEvllPKT_S7_PKT0_SA_PS5_SB_,"axG",@progbits,_ZN2at6native12_GLOBAL__N_135GammaBetaBackwardCUDAKernelTemplateIN3c108BFloat16EfLj32ELj16ELj128ELb0ELb0ELb0EEEvllPKT_S7_PKT0_SA_PS5_SB_,comdat
.Lfunc_end113:
	.size	_ZN2at6native12_GLOBAL__N_135GammaBetaBackwardCUDAKernelTemplateIN3c108BFloat16EfLj32ELj16ELj128ELb0ELb0ELb0EEEvllPKT_S7_PKT0_SA_PS5_SB_, .Lfunc_end113-_ZN2at6native12_GLOBAL__N_135GammaBetaBackwardCUDAKernelTemplateIN3c108BFloat16EfLj32ELj16ELj128ELb0ELb0ELb0EEEvllPKT_S7_PKT0_SA_PS5_SB_
                                        ; -- End function
	.section	.AMDGPU.csdata,"",@progbits
; Kernel info:
; codeLenInByte = 7680
; NumSgprs: 64
; NumVgprs: 106
; NumAgprs: 0
; TotalNumVgprs: 106
; ScratchSize: 0
; MemoryBound: 0
; FloatMode: 240
; IeeeMode: 1
; LDSByteSize: 0 bytes/workgroup (compile time only)
; SGPRBlocks: 7
; VGPRBlocks: 13
; NumSGPRsForWavesPerEU: 64
; NumVGPRsForWavesPerEU: 106
; AccumOffset: 108
; Occupancy: 4
; WaveLimiterHint : 0
; COMPUTE_PGM_RSRC2:SCRATCH_EN: 0
; COMPUTE_PGM_RSRC2:USER_SGPR: 2
; COMPUTE_PGM_RSRC2:TRAP_HANDLER: 0
; COMPUTE_PGM_RSRC2:TGID_X_EN: 1
; COMPUTE_PGM_RSRC2:TGID_Y_EN: 1
; COMPUTE_PGM_RSRC2:TGID_Z_EN: 0
; COMPUTE_PGM_RSRC2:TIDIG_COMP_CNT: 1
; COMPUTE_PGM_RSRC3_GFX90A:ACCUM_OFFSET: 26
; COMPUTE_PGM_RSRC3_GFX90A:TG_SPLIT: 0
	.section	.text._ZN2at6native12_GLOBAL__N_135GammaBetaBackwardCUDAKernelTemplateIN3c108BFloat16EfLj32ELj32ELj256ELb0ELb1ELb0EEEvllPKT_S7_PKT0_SA_PS5_SB_,"axG",@progbits,_ZN2at6native12_GLOBAL__N_135GammaBetaBackwardCUDAKernelTemplateIN3c108BFloat16EfLj32ELj32ELj256ELb0ELb1ELb0EEEvllPKT_S7_PKT0_SA_PS5_SB_,comdat
	.globl	_ZN2at6native12_GLOBAL__N_135GammaBetaBackwardCUDAKernelTemplateIN3c108BFloat16EfLj32ELj32ELj256ELb0ELb1ELb0EEEvllPKT_S7_PKT0_SA_PS5_SB_ ; -- Begin function _ZN2at6native12_GLOBAL__N_135GammaBetaBackwardCUDAKernelTemplateIN3c108BFloat16EfLj32ELj32ELj256ELb0ELb1ELb0EEEvllPKT_S7_PKT0_SA_PS5_SB_
	.p2align	8
	.type	_ZN2at6native12_GLOBAL__N_135GammaBetaBackwardCUDAKernelTemplateIN3c108BFloat16EfLj32ELj32ELj256ELb0ELb1ELb0EEEvllPKT_S7_PKT0_SA_PS5_SB_,@function
_ZN2at6native12_GLOBAL__N_135GammaBetaBackwardCUDAKernelTemplateIN3c108BFloat16EfLj32ELj32ELj256ELb0ELb1ELb0EEEvllPKT_S7_PKT0_SA_PS5_SB_: ; @_ZN2at6native12_GLOBAL__N_135GammaBetaBackwardCUDAKernelTemplateIN3c108BFloat16EfLj32ELj32ELj256ELb0ELb1ELb0EEEvllPKT_S7_PKT0_SA_PS5_SB_
; %bb.0:
	s_load_dwordx4 s[16:19], s[0:1], 0x0
	s_lshl_b32 s6, s3, 8
	s_mov_b32 s7, 0
	v_bfe_u32 v12, v0, 10, 10
	s_waitcnt lgkmcnt(0)
	v_mov_b64_e32 v[2:3], s[16:17]
	v_cmp_lt_i64_e32 vcc, s[6:7], v[2:3]
	s_cbranch_vccnz .LBB114_2
; %bb.1:
	s_mov_b64 s[4:5], 0
	v_bfe_u32 v2, v0, 10, 10
	s_branch .LBB114_3
.LBB114_2:
	s_mov_b64 s[4:5], -1
                                        ; implicit-def: $vgpr2
.LBB114_3:
	v_and_b32_e32 v10, 0x3ff, v0
	s_andn2_b64 vcc, exec, s[4:5]
	v_mov_b32_e32 v1, s7
	v_mbcnt_lo_u32_b32 v11, -1, 0
	v_mov_b32_e32 v0, s7
	s_cbranch_vccnz .LBB114_11
; %bb.4:
	s_load_dword s3, s[0:1], 0x4c
	s_load_dword s20, s[0:1], 0x44
	s_load_dwordx8 s[8:15], s[0:1], 0x10
	v_lshlrev_b32_e32 v0, 3, v12
	v_mbcnt_hi_u32_b32 v4, -1, v11
	s_waitcnt lgkmcnt(0)
	s_and_b32 s3, s3, 0xffff
	v_mad_u32_u24 v1, v12, s3, v10
	v_and_b32_e32 v2, 63, v1
	v_mov_b32_e32 v1, 0
	v_mov_b32_e32 v3, v1
	v_lshl_add_u64 v[8:9], v[0:1], 0, s[6:7]
	v_cmp_gt_u32_e64 s[4:5], 8, v2
	s_lshl_b32 s20, s20, 8
	v_lshl_add_u64 v[2:3], v[8:9], 0, v[2:3]
	v_mul_lo_u32 v0, s19, v8
	v_mul_lo_u32 v21, s18, v9
	v_mad_u64_u32 v[8:9], s[24:25], s18, v8, 0
	v_lshl_add_u32 v6, s2, 5, v10
	v_mov_b32_e32 v7, v1
	v_lshlrev_b32_e32 v4, 2, v4
	s_mul_i32 s3, s19, s20
	s_mul_hi_u32 s24, s18, s20
	s_mov_b32 s21, 0
	v_and_b32_e32 v13, 0x100, v4
	v_add3_u32 v9, v9, v21, v0
	v_lshlrev_b64 v[6:7], 1, v[6:7]
	s_add_i32 s25, s24, s3
	s_mul_i32 s24, s18, s20
	v_or_b32_e32 v14, 4, v13
	v_or_b32_e32 v15, 8, v13
	;; [unrolled: 1-line block ×7, first 2 shown]
	v_lshlrev_b64 v[4:5], 2, v[2:3]
	s_lshl_b64 s[22:23], s[20:21], 2
	v_lshl_add_u64 v[6:7], v[8:9], 1, v[6:7]
	s_lshl_b64 s[24:25], s[24:25], 1
	s_lshl_b64 s[18:19], s[18:19], 1
	v_mov_b64_e32 v[8:9], s[16:17]
	v_mov_b32_e32 v0, v1
	s_branch .LBB114_7
.LBB114_5:                              ;   in Loop: Header=BB114_7 Depth=1
	s_or_b64 exec, exec, s[28:29]
.LBB114_6:                              ;   in Loop: Header=BB114_7 Depth=1
	s_or_b64 exec, exec, s[26:27]
	v_lshl_add_u64 v[24:25], s[8:9], 0, v[6:7]
	v_lshl_add_u64 v[26:27], s[10:11], 0, v[6:7]
	global_load_ushort v23, v[24:25], off
	global_load_ushort v28, v[26:27], off
	v_lshl_add_u64 v[24:25], v[24:25], 0, s[18:19]
	v_lshl_add_u64 v[26:27], v[26:27], 0, s[18:19]
	global_load_ushort v29, v[24:25], off
	global_load_ushort v30, v[26:27], off
	;; [unrolled: 4-line block ×8, first 2 shown]
	s_waitcnt vmcnt(17)
	ds_bpermute_b32 v26, v13, v21
	ds_bpermute_b32 v43, v14, v21
	s_waitcnt vmcnt(16)
	ds_bpermute_b32 v25, v13, v22
	ds_bpermute_b32 v45, v15, v21
	ds_bpermute_b32 v27, v14, v22
	ds_bpermute_b32 v47, v16, v21
	ds_bpermute_b32 v44, v15, v22
	ds_bpermute_b32 v46, v16, v22
	ds_bpermute_b32 v48, v17, v22
	ds_bpermute_b32 v49, v17, v21
	ds_bpermute_b32 v50, v18, v22
	ds_bpermute_b32 v52, v19, v22
	ds_bpermute_b32 v54, v20, v22
	ds_bpermute_b32 v51, v18, v21
	ds_bpermute_b32 v53, v19, v21
	ds_bpermute_b32 v21, v20, v21
	s_add_u32 s6, s6, s20
	s_addc_u32 s7, s7, 0
	v_cmp_lt_i64_e32 vcc, s[6:7], v[8:9]
	v_lshl_add_u64 v[4:5], v[4:5], 0, s[22:23]
	v_lshl_add_u64 v[2:3], v[2:3], 0, s[20:21]
	v_lshl_add_u64 v[6:7], v[6:7], 0, s[24:25]
	s_and_b64 vcc, exec, vcc
	s_waitcnt vmcnt(15)
	v_lshlrev_b32_e32 v22, 16, v23
	s_waitcnt vmcnt(14)
	v_lshlrev_b32_e32 v23, 16, v28
	s_waitcnt lgkmcnt(14)
	v_sub_f32_e32 v23, v23, v26
	v_mul_f32_e32 v23, v23, v22
	s_waitcnt vmcnt(13)
	v_lshlrev_b32_e32 v24, 16, v29
	s_waitcnt vmcnt(12)
	v_lshlrev_b32_e32 v28, 16, v30
	v_sub_f32_e32 v30, v28, v43
	s_waitcnt lgkmcnt(13)
	v_mul_f32_e32 v23, v23, v25
	s_waitcnt vmcnt(11)
	v_lshlrev_b32_e32 v26, 16, v31
	s_waitcnt vmcnt(10)
	v_lshlrev_b32_e32 v29, 16, v32
	v_mul_f32_e32 v25, v30, v24
	s_waitcnt lgkmcnt(12)
	v_sub_f32_e32 v29, v29, v45
	s_waitcnt vmcnt(9)
	v_lshlrev_b32_e32 v28, 16, v33
	s_waitcnt vmcnt(8)
	v_lshlrev_b32_e32 v31, 16, v34
	s_waitcnt lgkmcnt(11)
	v_mul_f32_e32 v25, v25, v27
	v_mul_f32_e32 v27, v29, v26
	s_waitcnt lgkmcnt(10)
	v_sub_f32_e32 v29, v31, v47
	s_waitcnt vmcnt(6)
	v_lshlrev_b32_e32 v32, 16, v36
	v_pk_add_f32 v[0:1], v[0:1], v[22:23]
	v_lshlrev_b32_e32 v30, 16, v35
	s_waitcnt lgkmcnt(9)
	v_mul_f32_e32 v27, v27, v44
	s_waitcnt vmcnt(4)
	v_lshlrev_b32_e32 v23, 16, v38
	v_mul_f32_e32 v29, v29, v28
	s_waitcnt lgkmcnt(6)
	v_sub_f32_e32 v31, v32, v49
	v_pk_add_f32 v[0:1], v[0:1], v[24:25]
	v_lshlrev_b32_e32 v22, 16, v37
	s_waitcnt vmcnt(2)
	v_lshlrev_b32_e32 v25, 16, v40
	v_mul_f32_e32 v29, v29, v46
	v_mul_f32_e32 v31, v31, v30
	s_waitcnt lgkmcnt(2)
	v_sub_f32_e32 v23, v23, v51
	v_pk_add_f32 v[0:1], v[0:1], v[26:27]
	v_lshlrev_b32_e32 v24, 16, v39
	s_waitcnt vmcnt(0)
	v_lshlrev_b32_e32 v27, 16, v42
	v_mul_f32_e32 v31, v31, v48
	v_mul_f32_e32 v23, v23, v22
	s_waitcnt lgkmcnt(1)
	v_sub_f32_e32 v25, v25, v53
	v_pk_add_f32 v[0:1], v[0:1], v[28:29]
	v_lshlrev_b32_e32 v26, 16, v41
	v_mul_f32_e32 v23, v23, v50
	v_mul_f32_e32 v25, v25, v24
	v_pk_add_f32 v[0:1], v[0:1], v[30:31]
	s_waitcnt lgkmcnt(0)
	v_sub_f32_e32 v21, v27, v21
	v_mul_f32_e32 v25, v25, v52
	v_pk_add_f32 v[0:1], v[0:1], v[22:23]
	v_mul_f32_e32 v21, v21, v26
	v_pk_add_f32 v[0:1], v[0:1], v[24:25]
	;; [unrolled: 2-line block ×3, first 2 shown]
	s_cbranch_vccz .LBB114_10
.LBB114_7:                              ; =>This Inner Loop Header: Depth=1
	v_mov_b32_e32 v22, 0
	v_mov_b32_e32 v21, 0
	s_and_saveexec_b64 s[26:27], s[4:5]
	s_cbranch_execz .LBB114_6
; %bb.8:                                ;   in Loop: Header=BB114_7 Depth=1
	v_cmp_gt_i64_e32 vcc, s[16:17], v[2:3]
	v_mov_b32_e32 v21, 0
	v_mov_b32_e32 v22, 0
	s_and_saveexec_b64 s[28:29], vcc
	s_cbranch_execz .LBB114_5
; %bb.9:                                ;   in Loop: Header=BB114_7 Depth=1
	v_lshl_add_u64 v[26:27], s[12:13], 0, v[4:5]
	v_lshl_add_u64 v[24:25], s[14:15], 0, v[4:5]
	global_load_dword v21, v[26:27], off
	global_load_dword v22, v[24:25], off
	s_branch .LBB114_5
.LBB114_10:
	v_mov_b32_e32 v2, v12
.LBB114_11:
	s_load_dwordx4 s[8:11], s[0:1], 0x30
	v_mad_u32_u24 v3, v2, 33, v10
	v_lshl_add_u32 v4, v3, 2, 0
	ds_write_b32 v4, v1
	ds_write_b32 v4, v0 offset:4224
	v_sub_u32_e32 v0, v3, v2
	s_movk_i32 s0, 0x800
	s_mov_b32 s3, 0
	v_cmp_gt_u32_e32 vcc, s0, v0
	s_waitcnt lgkmcnt(0)
	s_barrier
	s_and_saveexec_b64 s[0:1], vcc
	s_cbranch_execz .LBB114_21
; %bb.12:
	v_lshrrev_b32_e32 v4, 6, v0
	v_and_b32_e32 v5, 63, v0
	v_mbcnt_hi_u32_b32 v0, -1, v11
	v_and_b32_e32 v2, 64, v0
	v_add_u32_e32 v2, 64, v2
	v_xor_b32_e32 v3, 16, v0
	v_cmp_lt_i32_e32 vcc, v3, v2
	s_cmp_lg_u64 s[8:9], 0
	v_cmp_eq_u32_e64 s[4:5], 0, v10
	v_cndmask_b32_e32 v3, v0, v3, vcc
	v_lshlrev_b32_e32 v6, 2, v3
	v_xor_b32_e32 v3, 8, v0
	v_cmp_lt_i32_e32 vcc, v3, v2
	s_cselect_b64 s[6:7], -1, 0
	s_cmp_lg_u64 s[10:11], 0
	v_cndmask_b32_e32 v3, v0, v3, vcc
	v_lshlrev_b32_e32 v7, 2, v3
	v_xor_b32_e32 v3, 4, v0
	v_cmp_lt_i32_e32 vcc, v3, v2
	v_add_u32_e32 v11, -16, v4
	v_mov_b32_e32 v1, 0
	v_cndmask_b32_e32 v3, v0, v3, vcc
	v_lshlrev_b32_e32 v8, 2, v3
	v_xor_b32_e32 v3, 2, v0
	v_cmp_lt_i32_e32 vcc, v3, v2
	s_cselect_b64 s[14:15], -1, 0
	s_lshl_b64 s[2:3], s[2:3], 6
	v_cndmask_b32_e32 v3, v0, v3, vcc
	v_lshlrev_b32_e32 v9, 2, v3
	v_xor_b32_e32 v3, 1, v0
	v_cmp_lt_i32_e32 vcc, v3, v2
	v_cmp_gt_u32_e64 s[0:1], 32, v5
	s_mov_b64 s[12:13], 0
	v_cndmask_b32_e32 v0, v0, v3, vcc
	v_lshlrev_b32_e32 v10, 2, v0
	v_lshlrev_b32_e32 v0, 1, v4
	v_mad_u32_u24 v4, v5, 33, v4
	v_lshl_add_u32 v12, v4, 2, 0
	v_cndmask_b32_e64 v4, 0, 1, s[6:7]
	v_lshl_add_u64 v[2:3], s[2:3], 0, v[0:1]
	v_cmp_ne_u32_e64 s[2:3], 1, v4
	v_cndmask_b32_e64 v4, 0, 1, s[14:15]
	v_lshl_add_u64 v[0:1], s[10:11], 0, v[2:3]
	v_lshl_add_u64 v[2:3], s[8:9], 0, v[2:3]
	s_movk_i32 s10, 0x7fff
	v_cmp_ne_u32_e64 s[6:7], 1, v4
	v_mov_b32_e32 v13, 0x7fc0
                                        ; implicit-def: $vgpr4
	s_branch .LBB114_14
.LBB114_13:                             ;   in Loop: Header=BB114_14 Depth=1
	s_or_b64 exec, exec, s[8:9]
	v_add_co_u32_e32 v11, vcc, 16, v11
	s_xor_b64 s[8:9], vcc, -1
	s_and_b64 s[8:9], exec, s[8:9]
	v_lshl_add_u64 v[0:1], v[0:1], 0, 32
	v_lshl_add_u64 v[2:3], v[2:3], 0, 32
	s_or_b64 s[12:13], s[8:9], s[12:13]
	v_add_u32_e32 v12, 64, v12
	s_andn2_b64 exec, exec, s[12:13]
	s_cbranch_execz .LBB114_21
.LBB114_14:                             ; =>This Inner Loop Header: Depth=1
	s_and_saveexec_b64 s[8:9], s[0:1]
	s_cbranch_execz .LBB114_16
; %bb.15:                               ;   in Loop: Header=BB114_14 Depth=1
	ds_read_b32 v5, v12
	ds_read_b32 v4, v12 offset:4224
.LBB114_16:                             ;   in Loop: Header=BB114_14 Depth=1
	s_or_b64 exec, exec, s[8:9]
	s_waitcnt lgkmcnt(1)
	ds_bpermute_b32 v15, v6, v5
	s_waitcnt lgkmcnt(1)
	ds_bpermute_b32 v14, v6, v4
	s_waitcnt lgkmcnt(0)
	v_pk_add_f32 v[4:5], v[4:5], v[14:15]
	ds_bpermute_b32 v15, v7, v5
	ds_bpermute_b32 v14, v7, v4
	s_waitcnt lgkmcnt(0)
	v_pk_add_f32 v[4:5], v[4:5], v[14:15]
	ds_bpermute_b32 v15, v8, v5
	;; [unrolled: 4-line block ×4, first 2 shown]
	ds_bpermute_b32 v14, v10, v4
	s_waitcnt lgkmcnt(0)
	v_pk_add_f32 v[4:5], v[4:5], v[14:15]
	s_and_saveexec_b64 s[8:9], s[4:5]
	s_cbranch_execz .LBB114_13
; %bb.17:                               ;   in Loop: Header=BB114_14 Depth=1
	s_and_b64 vcc, exec, s[2:3]
	s_cbranch_vccnz .LBB114_19
; %bb.18:                               ;   in Loop: Header=BB114_14 Depth=1
	v_bfe_u32 v14, v5, 16, 1
	v_add3_u32 v14, v5, v14, s10
	v_lshrrev_b32_e32 v14, 16, v14
	v_cmp_o_f32_e32 vcc, v5, v5
	s_nop 1
	v_cndmask_b32_e32 v14, v13, v14, vcc
	global_store_short v[2:3], v14, off
.LBB114_19:                             ;   in Loop: Header=BB114_14 Depth=1
	s_and_b64 vcc, exec, s[6:7]
	s_cbranch_vccnz .LBB114_13
; %bb.20:                               ;   in Loop: Header=BB114_14 Depth=1
	v_bfe_u32 v14, v4, 16, 1
	v_add3_u32 v14, v4, v14, s10
	v_lshrrev_b32_e32 v14, 16, v14
	v_cmp_o_f32_e32 vcc, v4, v4
	s_nop 1
	v_cndmask_b32_e32 v14, v13, v14, vcc
	global_store_short v[0:1], v14, off
	s_branch .LBB114_13
.LBB114_21:
	s_endpgm
	.section	.rodata,"a",@progbits
	.p2align	6, 0x0
	.amdhsa_kernel _ZN2at6native12_GLOBAL__N_135GammaBetaBackwardCUDAKernelTemplateIN3c108BFloat16EfLj32ELj32ELj256ELb0ELb1ELb0EEEvllPKT_S7_PKT0_SA_PS5_SB_
		.amdhsa_group_segment_fixed_size 0
		.amdhsa_private_segment_fixed_size 0
		.amdhsa_kernarg_size 320
		.amdhsa_user_sgpr_count 2
		.amdhsa_user_sgpr_dispatch_ptr 0
		.amdhsa_user_sgpr_queue_ptr 0
		.amdhsa_user_sgpr_kernarg_segment_ptr 1
		.amdhsa_user_sgpr_dispatch_id 0
		.amdhsa_user_sgpr_kernarg_preload_length 0
		.amdhsa_user_sgpr_kernarg_preload_offset 0
		.amdhsa_user_sgpr_private_segment_size 0
		.amdhsa_uses_dynamic_stack 0
		.amdhsa_enable_private_segment 0
		.amdhsa_system_sgpr_workgroup_id_x 1
		.amdhsa_system_sgpr_workgroup_id_y 1
		.amdhsa_system_sgpr_workgroup_id_z 0
		.amdhsa_system_sgpr_workgroup_info 0
		.amdhsa_system_vgpr_workitem_id 1
		.amdhsa_next_free_vgpr 55
		.amdhsa_next_free_sgpr 30
		.amdhsa_accum_offset 56
		.amdhsa_reserve_vcc 1
		.amdhsa_float_round_mode_32 0
		.amdhsa_float_round_mode_16_64 0
		.amdhsa_float_denorm_mode_32 3
		.amdhsa_float_denorm_mode_16_64 3
		.amdhsa_dx10_clamp 1
		.amdhsa_ieee_mode 1
		.amdhsa_fp16_overflow 0
		.amdhsa_tg_split 0
		.amdhsa_exception_fp_ieee_invalid_op 0
		.amdhsa_exception_fp_denorm_src 0
		.amdhsa_exception_fp_ieee_div_zero 0
		.amdhsa_exception_fp_ieee_overflow 0
		.amdhsa_exception_fp_ieee_underflow 0
		.amdhsa_exception_fp_ieee_inexact 0
		.amdhsa_exception_int_div_zero 0
	.end_amdhsa_kernel
	.section	.text._ZN2at6native12_GLOBAL__N_135GammaBetaBackwardCUDAKernelTemplateIN3c108BFloat16EfLj32ELj32ELj256ELb0ELb1ELb0EEEvllPKT_S7_PKT0_SA_PS5_SB_,"axG",@progbits,_ZN2at6native12_GLOBAL__N_135GammaBetaBackwardCUDAKernelTemplateIN3c108BFloat16EfLj32ELj32ELj256ELb0ELb1ELb0EEEvllPKT_S7_PKT0_SA_PS5_SB_,comdat
.Lfunc_end114:
	.size	_ZN2at6native12_GLOBAL__N_135GammaBetaBackwardCUDAKernelTemplateIN3c108BFloat16EfLj32ELj32ELj256ELb0ELb1ELb0EEEvllPKT_S7_PKT0_SA_PS5_SB_, .Lfunc_end114-_ZN2at6native12_GLOBAL__N_135GammaBetaBackwardCUDAKernelTemplateIN3c108BFloat16EfLj32ELj32ELj256ELb0ELb1ELb0EEEvllPKT_S7_PKT0_SA_PS5_SB_
                                        ; -- End function
	.section	.AMDGPU.csdata,"",@progbits
; Kernel info:
; codeLenInByte = 1824
; NumSgprs: 36
; NumVgprs: 55
; NumAgprs: 0
; TotalNumVgprs: 55
; ScratchSize: 0
; MemoryBound: 0
; FloatMode: 240
; IeeeMode: 1
; LDSByteSize: 0 bytes/workgroup (compile time only)
; SGPRBlocks: 4
; VGPRBlocks: 6
; NumSGPRsForWavesPerEU: 36
; NumVGPRsForWavesPerEU: 55
; AccumOffset: 56
; Occupancy: 8
; WaveLimiterHint : 0
; COMPUTE_PGM_RSRC2:SCRATCH_EN: 0
; COMPUTE_PGM_RSRC2:USER_SGPR: 2
; COMPUTE_PGM_RSRC2:TRAP_HANDLER: 0
; COMPUTE_PGM_RSRC2:TGID_X_EN: 1
; COMPUTE_PGM_RSRC2:TGID_Y_EN: 1
; COMPUTE_PGM_RSRC2:TGID_Z_EN: 0
; COMPUTE_PGM_RSRC2:TIDIG_COMP_CNT: 1
; COMPUTE_PGM_RSRC3_GFX90A:ACCUM_OFFSET: 13
; COMPUTE_PGM_RSRC3_GFX90A:TG_SPLIT: 0
	.section	.text._ZN2at6native12_GLOBAL__N_135GammaBetaBackwardCUDAKernelTemplateIN3c108BFloat16EfLj32ELj32ELj256ELb0ELb0ELb0EEEvllPKT_S7_PKT0_SA_PS5_SB_,"axG",@progbits,_ZN2at6native12_GLOBAL__N_135GammaBetaBackwardCUDAKernelTemplateIN3c108BFloat16EfLj32ELj32ELj256ELb0ELb0ELb0EEEvllPKT_S7_PKT0_SA_PS5_SB_,comdat
	.globl	_ZN2at6native12_GLOBAL__N_135GammaBetaBackwardCUDAKernelTemplateIN3c108BFloat16EfLj32ELj32ELj256ELb0ELb0ELb0EEEvllPKT_S7_PKT0_SA_PS5_SB_ ; -- Begin function _ZN2at6native12_GLOBAL__N_135GammaBetaBackwardCUDAKernelTemplateIN3c108BFloat16EfLj32ELj32ELj256ELb0ELb0ELb0EEEvllPKT_S7_PKT0_SA_PS5_SB_
	.p2align	8
	.type	_ZN2at6native12_GLOBAL__N_135GammaBetaBackwardCUDAKernelTemplateIN3c108BFloat16EfLj32ELj32ELj256ELb0ELb0ELb0EEEvllPKT_S7_PKT0_SA_PS5_SB_,@function
_ZN2at6native12_GLOBAL__N_135GammaBetaBackwardCUDAKernelTemplateIN3c108BFloat16EfLj32ELj32ELj256ELb0ELb0ELb0EEEvllPKT_S7_PKT0_SA_PS5_SB_: ; @_ZN2at6native12_GLOBAL__N_135GammaBetaBackwardCUDAKernelTemplateIN3c108BFloat16EfLj32ELj32ELj256ELb0ELb0ELb0EEEvllPKT_S7_PKT0_SA_PS5_SB_
; %bb.0:
	s_load_dwordx8 s[8:15], s[0:1], 0x0
	s_load_dwordx4 s[24:27], s[0:1], 0x20
	s_lshl_b32 s33, s2, 5
	s_mov_b32 s16, 0
	s_or_b32 s4, s33, 31
	s_mov_b32 s5, s16
	s_waitcnt lgkmcnt(0)
	v_mov_b64_e32 v[2:3], s[10:11]
	v_cmp_ge_i64_e32 vcc, s[4:5], v[2:3]
	s_lshl_b32 s28, s3, 8
	s_mov_b32 s29, s16
	v_mov_b64_e32 v[2:3], s[8:9]
	v_cmp_lt_i64_e64 s[4:5], s[28:29], v[2:3]
	s_nop 1
	v_cndmask_b32_e64 v1, 0, 1, s[4:5]
	v_cmp_ne_u32_e64 s[4:5], 1, v1
	s_cbranch_vccz .LBB115_48
; %bb.1:
	v_mov_b32_e32 v43, 0
	s_and_b64 vcc, exec, s[4:5]
	v_mov_b32_e32 v42, v43
	s_cbranch_vccnz .LBB115_49
; %bb.2:
	v_mov_b32_e32 v3, 0
	v_bfe_u32 v66, v0, 10, 10
	s_load_dword s3, s[0:1], 0x44
	v_lshlrev_b32_e32 v26, 3, v66
	v_mov_b32_e32 v27, v3
	v_and_b32_e32 v1, 0x3ff, v0
	v_lshl_add_u64 v[4:5], v[26:27], 0, s[28:29]
	v_add_u32_e32 v2, s33, v1
	v_lshl_add_u64 v[6:7], v[4:5], 0, 7
	s_add_u32 s30, s0, 64
	v_cmp_gt_i64_e64 s[6:7], s[10:11], v[2:3]
	v_lshlrev_b64 v[28:29], 1, v[2:3]
	v_mul_lo_u32 v2, s11, v6
	v_mul_lo_u32 v8, s10, v7
	v_mad_u64_u32 v[6:7], s[18:19], s10, v6, 0
	s_addc_u32 s31, s1, 0
	s_waitcnt lgkmcnt(0)
	s_lshl_b32 s3, s3, 8
	v_add3_u32 v7, v7, v8, v2
	v_lshlrev_b64 v[6:7], 1, v[6:7]
	s_mul_i32 s17, s11, s3
	s_mul_hi_u32 s18, s10, s3
	v_lshl_add_u64 v[30:31], s[12:13], 0, v[6:7]
	s_add_i32 s19, s18, s17
	s_mul_i32 s18, s10, s3
	v_lshl_add_u64 v[32:33], s[14:15], 0, v[6:7]
	v_lshl_add_u64 v[6:7], v[4:5], 0, 6
	s_lshl_b64 s[34:35], s[18:19], 1
	v_mul_lo_u32 v2, s11, v6
	v_mul_lo_u32 v8, s10, v7
	v_mad_u64_u32 v[6:7], s[18:19], s10, v6, 0
	v_add3_u32 v7, v7, v8, v2
	v_lshlrev_b64 v[6:7], 1, v[6:7]
	v_lshl_add_u64 v[34:35], s[12:13], 0, v[6:7]
	v_lshl_add_u64 v[36:37], s[14:15], 0, v[6:7]
	v_lshl_add_u64 v[6:7], v[4:5], 0, 5
	v_mul_lo_u32 v2, s11, v6
	v_mul_lo_u32 v8, s10, v7
	v_mad_u64_u32 v[6:7], s[18:19], s10, v6, 0
	v_add3_u32 v7, v7, v8, v2
	v_lshlrev_b64 v[6:7], 1, v[6:7]
	v_lshl_add_u64 v[38:39], s[12:13], 0, v[6:7]
	v_lshl_add_u64 v[40:41], s[14:15], 0, v[6:7]
	v_lshl_add_u64 v[6:7], v[4:5], 0, 4
	;; [unrolled: 8-line block ×4, first 2 shown]
	v_mul_lo_u32 v2, s11, v6
	v_mul_lo_u32 v8, s10, v7
	v_mad_u64_u32 v[6:7], s[18:19], s10, v6, 0
	v_add3_u32 v7, v7, v8, v2
	v_lshlrev_b64 v[6:7], 1, v[6:7]
	v_lshl_add_u64 v[52:53], s[12:13], 0, v[6:7]
	v_lshl_add_u64 v[54:55], s[14:15], 0, v[6:7]
	v_mov_b64_e32 v[6:7], s[10:11]
	v_mad_u64_u32 v[6:7], s[18:19], s10, v4, v[6:7]
	v_mul_lo_u32 v2, s10, v5
	v_mul_lo_u32 v8, s11, v4
	v_mad_u64_u32 v[4:5], s[18:19], s10, v4, 0
	v_add3_u32 v7, v8, v7, v2
	v_add3_u32 v5, v5, v2, v8
	v_mbcnt_lo_u32_b32 v2, -1, 0
	v_mbcnt_hi_u32_b32 v2, -1, v2
	v_lshlrev_b64 v[6:7], 1, v[6:7]
	s_add_u32 s36, s28, 0xff
	v_lshlrev_b64 v[4:5], 1, v[4:5]
	s_movk_i32 s38, 0xff01
	s_movk_i32 s40, 0xff02
	;; [unrolled: 1-line block ×8, first 2 shown]
	v_lshlrev_b32_e32 v2, 2, v2
	v_lshl_add_u64 v[56:57], s[12:13], 0, v[6:7]
	v_lshl_add_u64 v[58:59], s[14:15], 0, v[6:7]
	s_addc_u32 s37, 0, 0
	v_lshl_add_u64 v[60:61], s[12:13], 0, v[4:5]
	v_lshl_add_u64 v[62:63], s[14:15], 0, v[4:5]
	s_mov_b32 s39, -1
	s_mov_b32 s41, -1
	;; [unrolled: 1-line block ×8, first 2 shown]
	v_and_b32_e32 v67, 0x100, v2
	s_mov_b64 s[54:55], s[28:29]
	v_mov_b32_e32 v42, v3
	v_mov_b32_e32 v43, v3
	s_branch .LBB115_5
.LBB115_3:                              ;   in Loop: Header=BB115_5 Depth=1
	s_or_b64 exec, exec, s[18:19]
	s_waitcnt vmcnt(1)
	ds_bpermute_b32 v2, v67, v69
	ds_bpermute_b32 v4, v67, v69 offset:4
	s_waitcnt vmcnt(0)
	ds_bpermute_b32 v5, v67, v68
	ds_bpermute_b32 v6, v67, v68 offset:4
	ds_bpermute_b32 v8, v67, v68 offset:12
	s_waitcnt lgkmcnt(4)
	v_sub_f32_e32 v2, v10, v2
	v_mul_f32_e32 v2, v18, v2
	s_waitcnt lgkmcnt(3)
	v_sub_f32_e32 v4, v11, v4
	s_waitcnt lgkmcnt(2)
	v_mul_f32_e32 v5, v2, v5
	ds_bpermute_b32 v2, v67, v69 offset:8
	v_mul_f32_e32 v4, v19, v4
	s_waitcnt lgkmcnt(2)
	v_mul_f32_e32 v7, v4, v6
	ds_bpermute_b32 v4, v67, v68 offset:8
	ds_bpermute_b32 v6, v67, v69 offset:12
	s_waitcnt lgkmcnt(2)
	v_sub_f32_e32 v2, v12, v2
	v_mul_f32_e32 v2, v20, v2
	v_mov_b32_e32 v10, v21
	s_waitcnt lgkmcnt(1)
	v_mul_f32_e32 v9, v2, v4
	s_waitcnt lgkmcnt(0)
	v_sub_f32_e32 v2, v13, v6
	ds_bpermute_b32 v4, v67, v69 offset:16
	v_mul_f32_e32 v2, v21, v2
	v_mul_f32_e32 v11, v2, v8
	ds_bpermute_b32 v2, v67, v68 offset:16
	ds_bpermute_b32 v6, v67, v69 offset:20
	;; [unrolled: 1-line block ×3, first 2 shown]
	s_waitcnt lgkmcnt(3)
	v_sub_f32_e32 v4, v14, v4
	v_mul_f32_e32 v4, v22, v4
	s_waitcnt lgkmcnt(2)
	v_mul_f32_e32 v13, v4, v2
	s_waitcnt lgkmcnt(1)
	v_sub_f32_e32 v2, v15, v6
	v_mul_f32_e32 v2, v23, v2
	s_waitcnt lgkmcnt(0)
	v_mul_f32_e32 v15, v2, v8
	v_mov_b32_e32 v4, v18
	ds_bpermute_b32 v2, v67, v69 offset:24
	v_pk_add_f32 v[4:5], v[42:43], v[4:5]
	v_mov_b32_e32 v6, v19
	v_pk_add_f32 v[4:5], v[6:7], v[4:5]
	ds_bpermute_b32 v7, v67, v68 offset:24
	v_mov_b32_e32 v8, v20
	v_pk_add_f32 v[4:5], v[8:9], v[4:5]
	v_mov_b32_e32 v12, v22
	v_pk_add_f32 v[4:5], v[10:11], v[4:5]
	s_waitcnt lgkmcnt(1)
	v_sub_f32_e32 v8, v16, v2
	v_pk_add_f32 v[4:5], v[12:13], v[4:5]
	v_mov_b32_e32 v14, v23
	v_mul_f32_e32 v8, v24, v8
	v_pk_add_f32 v[4:5], v[14:15], v[4:5]
	s_waitcnt lgkmcnt(0)
	v_mul_f32_e32 v9, v8, v7
	v_mov_b32_e32 v8, v24
	ds_bpermute_b32 v2, v67, v68 offset:28
	ds_bpermute_b32 v6, v67, v69 offset:28
	v_pk_add_f32 v[4:5], v[8:9], v[4:5]
.LBB115_4:                              ;   in Loop: Header=BB115_5 Depth=1
	s_waitcnt lgkmcnt(0)
	v_sub_f32_e32 v6, v17, v6
	v_mul_f32_e32 v6, v25, v6
	v_mul_f32_e32 v7, v6, v2
	v_mov_b32_e32 v6, v25
	s_add_u32 s54, s54, s3
	v_pk_add_f32 v[42:43], v[4:5], v[6:7]
	s_addc_u32 s55, s55, 0
	v_mov_b64_e32 v[4:5], s[8:9]
	s_add_u32 s36, s36, s3
	v_cmp_lt_i64_e32 vcc, s[54:55], v[4:5]
	v_lshl_add_u64 v[30:31], v[30:31], 0, s[34:35]
	v_lshl_add_u64 v[32:33], v[32:33], 0, s[34:35]
	;; [unrolled: 1-line block ×14, first 2 shown]
	s_addc_u32 s37, s37, 0
	v_lshl_add_u64 v[60:61], v[60:61], 0, s[34:35]
	v_lshl_add_u64 v[62:63], v[62:63], 0, s[34:35]
	s_cbranch_vccz .LBB115_49
.LBB115_5:                              ; =>This Inner Loop Header: Depth=1
	v_mov_b64_e32 v[4:5], s[8:9]
	v_cmp_ge_i64_e32 vcc, s[36:37], v[4:5]
	v_lshl_add_u64 v[64:65], v[26:27], 0, s[36:37]
	s_cbranch_vccz .LBB115_27
; %bb.6:                                ;   in Loop: Header=BB115_5 Depth=1
	s_load_dword s17, s[30:31], 0xc
	v_mov_b32_e32 v68, 0
	v_mov_b32_e32 v69, 0
	s_waitcnt lgkmcnt(0)
	s_and_b32 s17, s17, 0xffff
	v_mad_u32_u24 v2, v66, s17, v1
	v_and_b32_e32 v2, 63, v2
	v_cmp_gt_u32_e32 vcc, 8, v2
	s_and_saveexec_b64 s[18:19], vcc
	s_cbranch_execz .LBB115_10
; %bb.7:                                ;   in Loop: Header=BB115_5 Depth=1
	v_lshl_add_u64 v[4:5], v[64:65], 0, v[2:3]
	v_lshl_add_u64 v[4:5], v[4:5], 0, s[38:39]
	v_cmp_gt_i64_e32 vcc, s[8:9], v[4:5]
	v_mov_b32_e32 v69, 0
	v_mov_b32_e32 v68, 0
	s_and_saveexec_b64 s[20:21], vcc
	s_cbranch_execz .LBB115_9
; %bb.8:                                ;   in Loop: Header=BB115_5 Depth=1
	v_lshlrev_b64 v[4:5], 2, v[4:5]
	v_lshl_add_u64 v[6:7], s[26:27], 0, v[4:5]
	v_lshl_add_u64 v[4:5], s[24:25], 0, v[4:5]
	global_load_dword v69, v[4:5], off
	global_load_dword v68, v[6:7], off
.LBB115_9:                              ;   in Loop: Header=BB115_5 Depth=1
	s_or_b64 exec, exec, s[20:21]
.LBB115_10:                             ;   in Loop: Header=BB115_5 Depth=1
	s_or_b64 exec, exec, s[18:19]
	s_mov_b32 s17, s16
	s_mov_b32 s18, s16
	;; [unrolled: 1-line block ×7, first 2 shown]
	v_mov_b64_e32 v[10:11], s[16:17]
	v_lshl_add_u64 v[4:5], v[64:65], 0, s[38:39]
	v_mov_b64_e32 v[16:17], s[22:23]
	v_cmp_gt_i64_e32 vcc, s[8:9], v[4:5]
	v_mov_b64_e32 v[12:13], s[18:19]
	v_mov_b64_e32 v[14:15], s[20:21]
	;; [unrolled: 1-line block ×3, first 2 shown]
	s_and_b64 s[56:57], s[6:7], vcc
	v_mov_b64_e32 v[22:23], v[14:15]
	v_mov_b64_e32 v[20:21], v[12:13]
	v_mov_b64_e32 v[18:19], v[10:11]
	s_and_saveexec_b64 s[18:19], s[56:57]
	s_cbranch_execz .LBB115_12
; %bb.11:                               ;   in Loop: Header=BB115_5 Depth=1
	v_lshl_add_u64 v[4:5], v[60:61], 0, v[28:29]
	global_load_ushort v2, v[4:5], off
	v_lshl_add_u64 v[4:5], v[62:63], 0, v[28:29]
	global_load_ushort v10, v[4:5], off
	v_mov_b32_e32 v8, v3
	v_mov_b32_e32 v9, v3
	;; [unrolled: 1-line block ×13, first 2 shown]
	s_waitcnt vmcnt(1)
	v_lshlrev_b32_e32 v2, 16, v2
	v_mov_b64_e32 v[24:25], v[8:9]
	s_waitcnt vmcnt(0)
	v_lshlrev_b32_e32 v10, 16, v10
	v_mov_b64_e32 v[22:23], v[6:7]
	v_mov_b64_e32 v[20:21], v[4:5]
	;; [unrolled: 1-line block ×3, first 2 shown]
.LBB115_12:                             ;   in Loop: Header=BB115_5 Depth=1
	s_or_b64 exec, exec, s[18:19]
	v_lshl_add_u64 v[4:5], v[64:65], 0, s[40:41]
	v_cmp_gt_i64_e32 vcc, s[8:9], v[4:5]
	s_and_b64 s[20:21], s[6:7], vcc
	s_and_saveexec_b64 s[18:19], s[20:21]
	s_cbranch_execz .LBB115_14
; %bb.13:                               ;   in Loop: Header=BB115_5 Depth=1
	v_lshl_add_u64 v[4:5], v[56:57], 0, v[28:29]
	global_load_ushort v2, v[4:5], off
	v_lshl_add_u64 v[4:5], v[58:59], 0, v[28:29]
	global_load_ushort v4, v[4:5], off
	s_waitcnt vmcnt(1)
	v_lshlrev_b32_e32 v19, 16, v2
	s_waitcnt vmcnt(0)
	v_lshlrev_b32_e32 v11, 16, v4
.LBB115_14:                             ;   in Loop: Header=BB115_5 Depth=1
	s_or_b64 exec, exec, s[18:19]
	v_lshl_add_u64 v[4:5], v[64:65], 0, s[42:43]
	v_cmp_gt_i64_e32 vcc, s[8:9], v[4:5]
	s_and_b64 s[20:21], s[6:7], vcc
	s_and_saveexec_b64 s[18:19], s[20:21]
	s_cbranch_execz .LBB115_16
; %bb.15:                               ;   in Loop: Header=BB115_5 Depth=1
	v_lshl_add_u64 v[4:5], v[52:53], 0, v[28:29]
	global_load_ushort v2, v[4:5], off
	v_lshl_add_u64 v[4:5], v[54:55], 0, v[28:29]
	global_load_ushort v4, v[4:5], off
	s_waitcnt vmcnt(1)
	v_lshlrev_b32_e32 v20, 16, v2
	s_waitcnt vmcnt(0)
	v_lshlrev_b32_e32 v12, 16, v4
.LBB115_16:                             ;   in Loop: Header=BB115_5 Depth=1
	;; [unrolled: 16-line block ×7, first 2 shown]
	s_or_b64 exec, exec, s[18:19]
	s_waitcnt vmcnt(1)
	ds_bpermute_b32 v2, v67, v69
	ds_bpermute_b32 v4, v67, v69 offset:4
	s_waitcnt vmcnt(0)
	ds_bpermute_b32 v5, v67, v68
	ds_bpermute_b32 v6, v67, v68 offset:4
	ds_bpermute_b32 v8, v67, v68 offset:12
	s_waitcnt lgkmcnt(4)
	v_sub_f32_e32 v2, v10, v2
	v_mul_f32_e32 v2, v18, v2
	s_waitcnt lgkmcnt(3)
	v_sub_f32_e32 v4, v11, v4
	s_waitcnt lgkmcnt(2)
	v_mul_f32_e32 v5, v2, v5
	ds_bpermute_b32 v2, v67, v69 offset:8
	v_mul_f32_e32 v4, v19, v4
	s_waitcnt lgkmcnt(2)
	v_mul_f32_e32 v7, v4, v6
	ds_bpermute_b32 v4, v67, v68 offset:8
	ds_bpermute_b32 v6, v67, v69 offset:12
	s_waitcnt lgkmcnt(2)
	v_sub_f32_e32 v2, v12, v2
	v_mul_f32_e32 v2, v20, v2
	v_mov_b32_e32 v10, v21
	s_waitcnt lgkmcnt(1)
	v_mul_f32_e32 v9, v2, v4
	s_waitcnt lgkmcnt(0)
	v_sub_f32_e32 v2, v13, v6
	ds_bpermute_b32 v4, v67, v69 offset:16
	v_mul_f32_e32 v2, v21, v2
	v_mul_f32_e32 v11, v2, v8
	ds_bpermute_b32 v2, v67, v68 offset:16
	ds_bpermute_b32 v6, v67, v69 offset:20
	;; [unrolled: 1-line block ×3, first 2 shown]
	s_waitcnt lgkmcnt(3)
	v_sub_f32_e32 v4, v14, v4
	v_mul_f32_e32 v4, v22, v4
	s_waitcnt lgkmcnt(2)
	v_mul_f32_e32 v13, v4, v2
	s_waitcnt lgkmcnt(1)
	v_sub_f32_e32 v2, v15, v6
	v_mul_f32_e32 v2, v23, v2
	s_waitcnt lgkmcnt(0)
	v_mul_f32_e32 v15, v2, v8
	ds_bpermute_b32 v2, v67, v69 offset:24
	v_mov_b32_e32 v4, v18
	v_pk_add_f32 v[4:5], v[42:43], v[4:5]
	v_mov_b32_e32 v6, v19
	v_pk_add_f32 v[4:5], v[6:7], v[4:5]
	ds_bpermute_b32 v7, v67, v68 offset:24
	v_mov_b32_e32 v8, v20
	s_waitcnt lgkmcnt(1)
	v_sub_f32_e32 v2, v16, v2
	v_pk_add_f32 v[4:5], v[8:9], v[4:5]
	v_mul_f32_e32 v8, v24, v2
	ds_bpermute_b32 v2, v67, v68 offset:28
	ds_bpermute_b32 v6, v67, v69 offset:28
	v_pk_add_f32 v[4:5], v[10:11], v[4:5]
	v_mov_b32_e32 v12, v22
	v_pk_add_f32 v[4:5], v[12:13], v[4:5]
	v_mov_b32_e32 v14, v23
	v_pk_add_f32 v[4:5], v[14:15], v[4:5]
	s_waitcnt lgkmcnt(2)
	v_mul_f32_e32 v9, v8, v7
	v_mov_b32_e32 v8, v24
	v_pk_add_f32 v[4:5], v[8:9], v[4:5]
	s_branch .LBB115_4
.LBB115_27:                             ;   in Loop: Header=BB115_5 Depth=1
                                        ; implicit-def: $vgpr4_vgpr5
                                        ; implicit-def: $vgpr2
                                        ; implicit-def: $vgpr10_vgpr11_vgpr12_vgpr13_vgpr14_vgpr15_vgpr16_vgpr17
                                        ; implicit-def: $vgpr18_vgpr19_vgpr20_vgpr21_vgpr22_vgpr23_vgpr24_vgpr25
                                        ; implicit-def: $vgpr6
	s_cbranch_execz .LBB115_4
; %bb.28:                               ;   in Loop: Header=BB115_5 Depth=1
	s_load_dword s17, s[30:31], 0x0
	v_mov_b32_e32 v68, 0
	v_mov_b32_e32 v69, 0
	s_waitcnt lgkmcnt(0)
	s_cmp_lt_u32 s2, s17
	s_cselect_b32 s17, 12, 18
	s_add_u32 s18, s30, s17
	s_addc_u32 s19, s31, 0
	global_load_ushort v2, v3, s[18:19]
	s_waitcnt vmcnt(0)
	v_mad_u32_u24 v2, v66, v2, v1
	v_and_b32_e32 v2, 63, v2
	v_cmp_gt_u32_e32 vcc, 8, v2
	s_and_saveexec_b64 s[18:19], vcc
	s_cbranch_execz .LBB115_32
; %bb.29:                               ;   in Loop: Header=BB115_5 Depth=1
	v_lshl_add_u64 v[4:5], v[64:65], 0, v[2:3]
	v_lshl_add_u64 v[4:5], v[4:5], 0, s[38:39]
	v_cmp_gt_i64_e32 vcc, s[8:9], v[4:5]
	v_mov_b32_e32 v69, 0
	v_mov_b32_e32 v68, 0
	s_and_saveexec_b64 s[20:21], vcc
	s_cbranch_execz .LBB115_31
; %bb.30:                               ;   in Loop: Header=BB115_5 Depth=1
	v_lshlrev_b64 v[4:5], 2, v[4:5]
	v_lshl_add_u64 v[6:7], s[26:27], 0, v[4:5]
	v_lshl_add_u64 v[4:5], s[24:25], 0, v[4:5]
	global_load_dword v69, v[4:5], off
	global_load_dword v68, v[6:7], off
.LBB115_31:                             ;   in Loop: Header=BB115_5 Depth=1
	s_or_b64 exec, exec, s[20:21]
.LBB115_32:                             ;   in Loop: Header=BB115_5 Depth=1
	s_or_b64 exec, exec, s[18:19]
	s_mov_b32 s17, s16
	s_mov_b32 s18, s16
	s_mov_b32 s19, s16
	s_mov_b32 s20, s16
	s_mov_b32 s21, s16
	s_mov_b32 s22, s16
	s_mov_b32 s23, s16
	v_mov_b64_e32 v[10:11], s[16:17]
	v_mov_b64_e32 v[16:17], s[22:23]
	;; [unrolled: 1-line block ×8, first 2 shown]
	s_and_saveexec_b64 s[18:19], s[6:7]
	s_cbranch_execnz .LBB115_40
; %bb.33:                               ;   in Loop: Header=BB115_5 Depth=1
	s_or_b64 exec, exec, s[18:19]
	s_and_saveexec_b64 s[18:19], s[6:7]
	s_cbranch_execnz .LBB115_41
.LBB115_34:                             ;   in Loop: Header=BB115_5 Depth=1
	s_or_b64 exec, exec, s[18:19]
	s_and_saveexec_b64 s[18:19], s[6:7]
	s_cbranch_execnz .LBB115_42
.LBB115_35:                             ;   in Loop: Header=BB115_5 Depth=1
	s_or_b64 exec, exec, s[18:19]
	s_and_saveexec_b64 s[18:19], s[6:7]
	s_cbranch_execnz .LBB115_43
.LBB115_36:                             ;   in Loop: Header=BB115_5 Depth=1
	s_or_b64 exec, exec, s[18:19]
	s_and_saveexec_b64 s[18:19], s[6:7]
	s_cbranch_execnz .LBB115_44
.LBB115_37:                             ;   in Loop: Header=BB115_5 Depth=1
	s_or_b64 exec, exec, s[18:19]
	s_and_saveexec_b64 s[18:19], s[6:7]
	s_cbranch_execnz .LBB115_45
.LBB115_38:                             ;   in Loop: Header=BB115_5 Depth=1
	s_or_b64 exec, exec, s[18:19]
	s_and_saveexec_b64 s[18:19], s[6:7]
	s_cbranch_execnz .LBB115_46
.LBB115_39:                             ;   in Loop: Header=BB115_5 Depth=1
	s_or_b64 exec, exec, s[18:19]
	s_and_saveexec_b64 s[18:19], s[6:7]
	s_cbranch_execz .LBB115_3
	s_branch .LBB115_47
.LBB115_40:                             ;   in Loop: Header=BB115_5 Depth=1
	v_lshl_add_u64 v[4:5], v[60:61], 0, v[28:29]
	global_load_ushort v2, v[4:5], off
	v_lshl_add_u64 v[4:5], v[62:63], 0, v[28:29]
	global_load_ushort v10, v[4:5], off
	v_mov_b32_e32 v8, v3
	v_mov_b32_e32 v9, v3
	;; [unrolled: 1-line block ×13, first 2 shown]
	s_waitcnt vmcnt(1)
	v_lshlrev_b32_e32 v2, 16, v2
	v_mov_b64_e32 v[24:25], v[8:9]
	s_waitcnt vmcnt(0)
	v_lshlrev_b32_e32 v10, 16, v10
	v_mov_b64_e32 v[22:23], v[6:7]
	v_mov_b64_e32 v[20:21], v[4:5]
	;; [unrolled: 1-line block ×3, first 2 shown]
	s_or_b64 exec, exec, s[18:19]
	s_and_saveexec_b64 s[18:19], s[6:7]
	s_cbranch_execz .LBB115_34
.LBB115_41:                             ;   in Loop: Header=BB115_5 Depth=1
	v_lshl_add_u64 v[4:5], v[56:57], 0, v[28:29]
	global_load_ushort v2, v[4:5], off
	v_lshl_add_u64 v[4:5], v[58:59], 0, v[28:29]
	global_load_ushort v4, v[4:5], off
	s_waitcnt vmcnt(1)
	v_lshlrev_b32_e32 v19, 16, v2
	s_waitcnt vmcnt(0)
	v_lshlrev_b32_e32 v11, 16, v4
	s_or_b64 exec, exec, s[18:19]
	s_and_saveexec_b64 s[18:19], s[6:7]
	s_cbranch_execz .LBB115_35
.LBB115_42:                             ;   in Loop: Header=BB115_5 Depth=1
	v_lshl_add_u64 v[4:5], v[52:53], 0, v[28:29]
	global_load_ushort v2, v[4:5], off
	v_lshl_add_u64 v[4:5], v[54:55], 0, v[28:29]
	global_load_ushort v4, v[4:5], off
	s_waitcnt vmcnt(1)
	v_lshlrev_b32_e32 v20, 16, v2
	s_waitcnt vmcnt(0)
	v_lshlrev_b32_e32 v12, 16, v4
	s_or_b64 exec, exec, s[18:19]
	s_and_saveexec_b64 s[18:19], s[6:7]
	s_cbranch_execz .LBB115_36
.LBB115_43:                             ;   in Loop: Header=BB115_5 Depth=1
	v_lshl_add_u64 v[4:5], v[48:49], 0, v[28:29]
	global_load_ushort v2, v[4:5], off
	v_lshl_add_u64 v[4:5], v[50:51], 0, v[28:29]
	global_load_ushort v4, v[4:5], off
	s_waitcnt vmcnt(1)
	v_lshlrev_b32_e32 v21, 16, v2
	s_waitcnt vmcnt(0)
	v_lshlrev_b32_e32 v13, 16, v4
	s_or_b64 exec, exec, s[18:19]
	s_and_saveexec_b64 s[18:19], s[6:7]
	s_cbranch_execz .LBB115_37
.LBB115_44:                             ;   in Loop: Header=BB115_5 Depth=1
	v_lshl_add_u64 v[4:5], v[44:45], 0, v[28:29]
	global_load_ushort v2, v[4:5], off
	v_lshl_add_u64 v[4:5], v[46:47], 0, v[28:29]
	global_load_ushort v4, v[4:5], off
	s_waitcnt vmcnt(1)
	v_lshlrev_b32_e32 v22, 16, v2
	s_waitcnt vmcnt(0)
	v_lshlrev_b32_e32 v14, 16, v4
	s_or_b64 exec, exec, s[18:19]
	s_and_saveexec_b64 s[18:19], s[6:7]
	s_cbranch_execz .LBB115_38
.LBB115_45:                             ;   in Loop: Header=BB115_5 Depth=1
	v_lshl_add_u64 v[4:5], v[38:39], 0, v[28:29]
	global_load_ushort v2, v[4:5], off
	v_lshl_add_u64 v[4:5], v[40:41], 0, v[28:29]
	global_load_ushort v4, v[4:5], off
	s_waitcnt vmcnt(1)
	v_lshlrev_b32_e32 v23, 16, v2
	s_waitcnt vmcnt(0)
	v_lshlrev_b32_e32 v15, 16, v4
	s_or_b64 exec, exec, s[18:19]
	s_and_saveexec_b64 s[18:19], s[6:7]
	s_cbranch_execz .LBB115_39
.LBB115_46:                             ;   in Loop: Header=BB115_5 Depth=1
	v_lshl_add_u64 v[4:5], v[34:35], 0, v[28:29]
	global_load_ushort v2, v[4:5], off
	v_lshl_add_u64 v[4:5], v[36:37], 0, v[28:29]
	global_load_ushort v4, v[4:5], off
	s_waitcnt vmcnt(1)
	v_lshlrev_b32_e32 v24, 16, v2
	s_waitcnt vmcnt(0)
	v_lshlrev_b32_e32 v16, 16, v4
	s_or_b64 exec, exec, s[18:19]
	s_and_saveexec_b64 s[18:19], s[6:7]
	s_cbranch_execz .LBB115_3
.LBB115_47:                             ;   in Loop: Header=BB115_5 Depth=1
	v_lshl_add_u64 v[4:5], v[30:31], 0, v[28:29]
	global_load_ushort v2, v[4:5], off
	v_lshl_add_u64 v[4:5], v[32:33], 0, v[28:29]
	global_load_ushort v4, v[4:5], off
	s_waitcnt vmcnt(1)
	v_lshlrev_b32_e32 v25, 16, v2
	s_waitcnt vmcnt(0)
	v_lshlrev_b32_e32 v17, 16, v4
	s_branch .LBB115_3
.LBB115_48:
                                        ; implicit-def: $vgpr43
	s_branch .LBB115_50
.LBB115_49:
	s_cbranch_execnz .LBB115_81
.LBB115_50:
	v_mov_b32_e32 v43, 0
	s_mov_b32 s16, 0
	s_and_b64 vcc, exec, s[4:5]
	v_mov_b32_e32 v42, v43
	s_cbranch_vccnz .LBB115_81
; %bb.51:
	v_and_b32_e32 v1, 0x3ff, v0
	v_add_u32_e32 v2, s33, v1
	v_mov_b32_e32 v3, 0
	v_bfe_u32 v96, v0, 10, 10
	v_lshlrev_b64 v[28:29], 1, v[2:3]
	v_lshlrev_b32_e32 v2, 4, v96
	v_lshl_add_u64 v[4:5], s[28:29], 1, v[2:3]
	v_lshl_add_u64 v[6:7], v[4:5], 0, 2
	v_mov_b64_e32 v[8:9], s[12:13]
	v_lshl_add_u64 v[10:11], v[4:5], 0, 4
	v_lshl_add_u64 v[12:13], v[4:5], 0, 6
	;; [unrolled: 1-line block ×6, first 2 shown]
	v_mad_u64_u32 v[30:31], s[4:5], s10, v6, v[8:9]
	v_mad_u64_u32 v[32:33], s[4:5], s10, v10, v[8:9]
	;; [unrolled: 1-line block ×7, first 2 shown]
	v_mov_b64_e32 v[8:9], s[14:15]
	v_lshlrev_b32_e32 v26, 3, v96
	v_mov_b32_e32 v27, v3
	v_mul_lo_u32 v2, s10, v7
	v_mul_lo_u32 v7, s11, v6
	v_mad_u64_u32 v[46:47], s[4:5], s10, v6, v[8:9]
	v_add3_u32 v31, v7, v31, v2
	v_mul_lo_u32 v5, s10, v5
	v_mul_lo_u32 v25, s11, v4
	v_add3_u32 v47, v7, v47, v2
	v_lshl_add_u64 v[6:7], v[26:27], 0, s[28:29]
	v_mad_u64_u32 v[58:59], s[4:5], s10, v4, v[8:9]
	v_add3_u32 v45, v25, v45, v5
	v_add3_u32 v59, v25, v59, v5
	v_lshl_add_u64 v[4:5], v[6:7], 0, 7
	v_mad_u64_u32 v[48:49], s[4:5], s10, v10, v[8:9]
	v_mad_u64_u32 v[50:51], s[4:5], s10, v12, v[8:9]
	;; [unrolled: 1-line block ×5, first 2 shown]
	v_mul_lo_u32 v8, s11, v4
	v_mul_lo_u32 v9, s10, v5
	v_mad_u64_u32 v[4:5], s[4:5], s10, v4, 0
	v_mul_lo_u32 v11, s10, v11
	v_mul_lo_u32 v20, s11, v10
	v_add3_u32 v5, v5, v9, v8
	v_lshl_add_u64 v[8:9], v[6:7], 0, 6
	v_add3_u32 v33, v20, v33, v11
	v_add3_u32 v49, v20, v49, v11
	v_mul_lo_u32 v10, s11, v8
	v_mul_lo_u32 v11, s10, v9
	v_mad_u64_u32 v[8:9], s[4:5], s10, v8, 0
	v_mul_lo_u32 v13, s10, v13
	v_mul_lo_u32 v21, s11, v12
	v_add3_u32 v9, v9, v11, v10
	v_lshl_add_u64 v[10:11], v[6:7], 0, 5
	v_add3_u32 v35, v21, v35, v13
	v_add3_u32 v51, v21, v51, v13
	;; [unrolled: 9-line block ×4, first 2 shown]
	v_mul_lo_u32 v16, s11, v14
	v_mul_lo_u32 v17, s10, v15
	v_mad_u64_u32 v[14:15], s[4:5], s10, v14, 0
	v_mul_lo_u32 v19, s10, v19
	v_mul_lo_u32 v24, s11, v18
	v_add3_u32 v15, v15, v17, v16
	v_lshl_add_u64 v[16:17], v[6:7], 0, 2
	s_load_dword s3, s[0:1], 0x44
	v_lshlrev_b64 v[4:5], 1, v[4:5]
	v_add3_u32 v41, v24, v41, v19
	v_add3_u32 v57, v24, v57, v19
	v_mul_lo_u32 v18, s11, v16
	v_mul_lo_u32 v19, s10, v17
	v_mad_u64_u32 v[16:17], s[4:5], s10, v16, 0
	v_lshl_add_u64 v[64:65], s[12:13], 0, v[4:5]
	v_lshl_add_u64 v[66:67], s[14:15], 0, v[4:5]
	v_lshlrev_b64 v[4:5], 1, v[8:9]
	v_add3_u32 v17, v17, v19, v18
	v_mov_b64_e32 v[18:19], s[10:11]
	v_lshl_add_u64 v[68:69], s[12:13], 0, v[4:5]
	v_lshl_add_u64 v[70:71], s[14:15], 0, v[4:5]
	v_lshlrev_b64 v[4:5], 1, v[10:11]
	v_mul_lo_u32 v2, s11, v6
	v_mad_u64_u32 v[18:19], s[4:5], s10, v6, v[18:19]
	v_mul_lo_u32 v20, s10, v7
	v_mad_u64_u32 v[6:7], s[4:5], s10, v6, 0
	v_lshl_add_u64 v[72:73], s[12:13], 0, v[4:5]
	v_lshl_add_u64 v[74:75], s[14:15], 0, v[4:5]
	v_lshlrev_b64 v[4:5], 1, v[12:13]
	s_add_u32 s4, s0, 64
	v_lshl_add_u64 v[76:77], s[12:13], 0, v[4:5]
	v_lshl_add_u64 v[78:79], s[14:15], 0, v[4:5]
	v_lshlrev_b64 v[4:5], 1, v[14:15]
	v_add3_u32 v7, v7, v20, v2
	v_add3_u32 v19, v2, v19, v20
	s_addc_u32 s5, s1, 0
	s_waitcnt lgkmcnt(0)
	s_lshl_b32 s3, s3, 8
	v_lshl_add_u64 v[80:81], s[12:13], 0, v[4:5]
	v_lshl_add_u64 v[82:83], s[14:15], 0, v[4:5]
	v_lshlrev_b64 v[4:5], 1, v[16:17]
	v_mbcnt_lo_u32_b32 v2, -1, 0
	s_add_u32 s6, s28, 0xff
	s_mul_i32 s17, s11, s3
	s_mul_hi_u32 s18, s10, s3
	v_lshlrev_b64 v[6:7], 1, v[6:7]
	v_lshl_add_u64 v[84:85], s[12:13], 0, v[4:5]
	v_lshl_add_u64 v[86:87], s[14:15], 0, v[4:5]
	v_lshlrev_b64 v[4:5], 1, v[18:19]
	v_mbcnt_hi_u32_b32 v2, -1, v2
	s_addc_u32 s7, 0, 0
	s_add_i32 s19, s18, s17
	s_mul_i32 s18, s10, s3
	v_lshl_add_u64 v[60:61], s[12:13], 0, v[6:7]
	v_lshl_add_u64 v[62:63], s[14:15], 0, v[6:7]
	;; [unrolled: 1-line block ×4, first 2 shown]
	s_movk_i32 s12, 0xff01
	s_movk_i32 s14, 0xff02
	;; [unrolled: 1-line block ×8, first 2 shown]
	v_lshlrev_b32_e32 v2, 2, v2
	s_lshl_b64 s[30:31], s[18:19], 1
	s_mov_b32 s13, -1
	s_mov_b32 s15, -1
	;; [unrolled: 1-line block ×8, first 2 shown]
	v_and_b32_e32 v97, 0x100, v2
	v_mov_b32_e32 v42, v3
	v_mov_b32_e32 v43, v3
	s_branch .LBB115_55
.LBB115_52:                             ;   in Loop: Header=BB115_55 Depth=1
	s_or_b64 exec, exec, s[20:21]
.LBB115_53:                             ;   in Loop: Header=BB115_55 Depth=1
	s_or_b64 exec, exec, s[18:19]
	v_lshl_add_u64 v[4:5], v[60:61], 0, v[28:29]
	global_load_ushort v2, v[4:5], off
	v_lshl_add_u64 v[4:5], v[62:63], 0, v[28:29]
	global_load_ushort v8, v[4:5], off
	;; [unrolled: 2-line block ×16, first 2 shown]
	s_waitcnt vmcnt(17)
	ds_bpermute_b32 v23, v97, v7
	ds_bpermute_b32 v25, v97, v7 offset:4
	s_waitcnt vmcnt(16)
	ds_bpermute_b32 v22, v97, v6
	ds_bpermute_b32 v43, v97, v7 offset:8
	ds_bpermute_b32 v95, v97, v7 offset:12
	;; [unrolled: 1-line block ×13, first 2 shown]
	s_waitcnt vmcnt(15)
	v_lshlrev_b32_e32 v4, 16, v2
	s_waitcnt vmcnt(14)
	v_lshlrev_b32_e32 v2, 16, v8
	s_waitcnt lgkmcnt(14)
	v_sub_f32_e32 v2, v2, v23
	s_waitcnt vmcnt(13)
	v_lshlrev_b32_e32 v6, 16, v9
	v_mul_f32_e32 v2, v2, v4
	s_waitcnt vmcnt(12)
	v_lshlrev_b32_e32 v7, 16, v10
	s_waitcnt vmcnt(11)
	v_lshlrev_b32_e32 v8, 16, v11
	s_waitcnt vmcnt(10)
	v_lshlrev_b32_e32 v9, 16, v12
	s_waitcnt vmcnt(9)
	v_lshlrev_b32_e32 v10, 16, v13
	s_waitcnt vmcnt(8)
	v_lshlrev_b32_e32 v11, 16, v14
	s_waitcnt vmcnt(7)
	v_lshlrev_b32_e32 v12, 16, v15
	s_waitcnt vmcnt(6)
	v_lshlrev_b32_e32 v13, 16, v16
	s_waitcnt vmcnt(5)
	v_lshlrev_b32_e32 v14, 16, v17
	s_waitcnt vmcnt(4)
	v_lshlrev_b32_e32 v15, 16, v18
	s_waitcnt vmcnt(3)
	v_lshlrev_b32_e32 v16, 16, v19
	s_waitcnt vmcnt(2)
	v_lshlrev_b32_e32 v17, 16, v20
	s_waitcnt vmcnt(1)
	v_lshlrev_b32_e32 v18, 16, v21
	s_waitcnt vmcnt(0)
	v_lshlrev_b32_e32 v19, 16, v5
	v_sub_f32_e32 v5, v7, v25
	s_waitcnt lgkmcnt(12)
	v_sub_f32_e32 v7, v9, v43
	s_waitcnt lgkmcnt(11)
	;; [unrolled: 2-line block ×5, first 2 shown]
	v_sub_f32_e32 v15, v17, v103
	v_mul_f32_e32 v17, v5, v6
	v_mul_f32_e32 v5, v2, v22
	;; [unrolled: 1-line block ×3, first 2 shown]
	s_waitcnt lgkmcnt(7)
	v_mul_f32_e32 v7, v17, v24
	v_pk_add_f32 v[4:5], v[92:93], v[4:5]
	v_mul_f32_e32 v21, v9, v10
	s_waitcnt lgkmcnt(6)
	v_mul_f32_e32 v9, v20, v42
	v_pk_add_f32 v[4:5], v[4:5], v[6:7]
	v_mul_f32_e32 v23, v11, v12
	;; [unrolled: 4-line block ×4, first 2 shown]
	s_waitcnt lgkmcnt(2)
	v_mul_f32_e32 v15, v25, v100
	v_pk_add_f32 v[4:5], v[4:5], v[12:13]
	v_sub_f32_e32 v2, v19, v105
	s_waitcnt lgkmcnt(1)
	v_mul_f32_e32 v17, v43, v102
	v_pk_add_f32 v[4:5], v[4:5], v[14:15]
	v_mul_f32_e32 v2, v2, v18
	v_pk_add_f32 v[4:5], v[4:5], v[16:17]
	s_waitcnt lgkmcnt(0)
	v_mul_f32_e32 v19, v2, v104
	v_pk_add_f32 v[42:43], v[4:5], v[18:19]
.LBB115_54:                             ;   in Loop: Header=BB115_55 Depth=1
	s_add_u32 s28, s28, s3
	s_addc_u32 s29, s29, 0
	v_mov_b64_e32 v[4:5], s[8:9]
	s_add_u32 s6, s6, s3
	v_cmp_ge_i64_e32 vcc, s[28:29], v[4:5]
	s_addc_u32 s7, s7, 0
	v_lshl_add_u64 v[30:31], v[30:31], 0, s[30:31]
	v_lshl_add_u64 v[32:33], v[32:33], 0, s[30:31]
	;; [unrolled: 1-line block ×30, first 2 shown]
	s_cbranch_vccnz .LBB115_81
.LBB115_55:                             ; =>This Inner Loop Header: Depth=1
	v_mov_b64_e32 v[4:5], s[8:9]
	v_cmp_ge_i64_e32 vcc, s[6:7], v[4:5]
	v_mov_b32_e32 v92, v42
	v_mov_b32_e32 v93, v43
	v_lshl_add_u64 v[94:95], v[26:27], 0, s[6:7]
	s_cbranch_vccz .LBB115_77
; %bb.56:                               ;   in Loop: Header=BB115_55 Depth=1
	s_load_dword s17, s[4:5], 0xc
	v_mov_b32_e32 v42, 0
	v_mov_b32_e32 v43, 0
	s_waitcnt lgkmcnt(0)
	s_and_b32 s17, s17, 0xffff
	v_mad_u32_u24 v2, v96, s17, v1
	v_and_b32_e32 v2, 63, v2
	v_cmp_gt_u32_e32 vcc, 8, v2
	s_and_saveexec_b64 s[18:19], vcc
	s_cbranch_execz .LBB115_60
; %bb.57:                               ;   in Loop: Header=BB115_55 Depth=1
	v_lshl_add_u64 v[4:5], v[94:95], 0, v[2:3]
	v_lshl_add_u64 v[4:5], v[4:5], 0, s[12:13]
	v_cmp_gt_i64_e32 vcc, s[8:9], v[4:5]
	v_mov_b32_e32 v43, 0
	v_mov_b32_e32 v42, 0
	s_and_saveexec_b64 s[20:21], vcc
	s_cbranch_execz .LBB115_59
; %bb.58:                               ;   in Loop: Header=BB115_55 Depth=1
	v_lshlrev_b64 v[4:5], 2, v[4:5]
	v_lshl_add_u64 v[6:7], s[26:27], 0, v[4:5]
	v_lshl_add_u64 v[4:5], s[24:25], 0, v[4:5]
	global_load_dword v43, v[4:5], off
	global_load_dword v42, v[6:7], off
.LBB115_59:                             ;   in Loop: Header=BB115_55 Depth=1
	s_or_b64 exec, exec, s[20:21]
.LBB115_60:                             ;   in Loop: Header=BB115_55 Depth=1
	s_or_b64 exec, exec, s[18:19]
	s_mov_b32 s17, s16
	s_mov_b32 s18, s16
	s_mov_b32 s19, s16
	s_mov_b32 s20, s16
	s_mov_b32 s21, s16
	s_mov_b32 s22, s16
	s_mov_b32 s23, s16
	v_mov_b64_e32 v[10:11], s[16:17]
	v_mov_b64_e32 v[16:17], s[22:23]
	v_lshl_add_u64 v[4:5], v[94:95], 0, s[12:13]
	v_mov_b64_e32 v[12:13], s[18:19]
	v_mov_b64_e32 v[14:15], s[20:21]
	;; [unrolled: 1-line block ×3, first 2 shown]
	v_cmp_gt_i64_e32 vcc, s[8:9], v[4:5]
	v_mov_b64_e32 v[22:23], v[14:15]
	v_mov_b64_e32 v[20:21], v[12:13]
	;; [unrolled: 1-line block ×3, first 2 shown]
	s_and_saveexec_b64 s[18:19], vcc
	s_cbranch_execz .LBB115_62
; %bb.61:                               ;   in Loop: Header=BB115_55 Depth=1
	v_lshl_add_u64 v[4:5], v[60:61], 0, v[28:29]
	global_load_ushort v2, v[4:5], off
	v_lshl_add_u64 v[4:5], v[62:63], 0, v[28:29]
	global_load_ushort v10, v[4:5], off
	v_mov_b32_e32 v8, v3
	v_mov_b32_e32 v9, v3
	;; [unrolled: 1-line block ×13, first 2 shown]
	s_waitcnt vmcnt(1)
	v_lshlrev_b32_e32 v2, 16, v2
	v_mov_b64_e32 v[24:25], v[8:9]
	s_waitcnt vmcnt(0)
	v_lshlrev_b32_e32 v10, 16, v10
	v_mov_b64_e32 v[22:23], v[6:7]
	v_mov_b64_e32 v[20:21], v[4:5]
	;; [unrolled: 1-line block ×3, first 2 shown]
.LBB115_62:                             ;   in Loop: Header=BB115_55 Depth=1
	s_or_b64 exec, exec, s[18:19]
	v_lshl_add_u64 v[4:5], v[94:95], 0, s[14:15]
	v_cmp_gt_i64_e32 vcc, s[8:9], v[4:5]
	s_and_saveexec_b64 s[18:19], vcc
	s_cbranch_execz .LBB115_64
; %bb.63:                               ;   in Loop: Header=BB115_55 Depth=1
	v_lshl_add_u64 v[4:5], v[88:89], 0, v[28:29]
	global_load_ushort v2, v[4:5], off
	v_lshl_add_u64 v[4:5], v[90:91], 0, v[28:29]
	global_load_ushort v4, v[4:5], off
	s_waitcnt vmcnt(1)
	v_lshlrev_b32_e32 v19, 16, v2
	s_waitcnt vmcnt(0)
	v_lshlrev_b32_e32 v11, 16, v4
.LBB115_64:                             ;   in Loop: Header=BB115_55 Depth=1
	s_or_b64 exec, exec, s[18:19]
	v_lshl_add_u64 v[4:5], v[94:95], 0, s[34:35]
	v_cmp_gt_i64_e32 vcc, s[8:9], v[4:5]
	s_and_saveexec_b64 s[18:19], vcc
	s_cbranch_execz .LBB115_66
; %bb.65:                               ;   in Loop: Header=BB115_55 Depth=1
	v_lshl_add_u64 v[4:5], v[84:85], 0, v[28:29]
	global_load_ushort v2, v[4:5], off
	v_lshl_add_u64 v[4:5], v[86:87], 0, v[28:29]
	global_load_ushort v4, v[4:5], off
	s_waitcnt vmcnt(1)
	v_lshlrev_b32_e32 v20, 16, v2
	s_waitcnt vmcnt(0)
	v_lshlrev_b32_e32 v12, 16, v4
.LBB115_66:                             ;   in Loop: Header=BB115_55 Depth=1
	;; [unrolled: 15-line block ×7, first 2 shown]
	s_or_b64 exec, exec, s[18:19]
	s_waitcnt vmcnt(1)
	ds_bpermute_b32 v2, v97, v43
	s_waitcnt vmcnt(0)
	ds_bpermute_b32 v4, v97, v42
	ds_bpermute_b32 v7, v97, v43 offset:4
	ds_bpermute_b32 v6, v97, v42 offset:4
	;; [unrolled: 1-line block ×3, first 2 shown]
	s_waitcnt lgkmcnt(4)
	v_sub_f32_e32 v2, v10, v2
	v_mul_f32_e32 v2, v18, v2
	s_waitcnt lgkmcnt(3)
	v_mul_f32_e32 v5, v2, v4
	ds_bpermute_b32 v4, v97, v42 offset:8
	s_waitcnt lgkmcnt(3)
	v_sub_f32_e32 v2, v11, v7
	v_mul_f32_e32 v2, v19, v2
	s_waitcnt lgkmcnt(2)
	v_mul_f32_e32 v7, v2, v6
	s_waitcnt lgkmcnt(1)
	v_sub_f32_e32 v2, v12, v8
	ds_bpermute_b32 v6, v97, v43 offset:12
	v_mul_f32_e32 v2, v20, v2
	s_waitcnt lgkmcnt(1)
	v_mul_f32_e32 v9, v2, v4
	ds_bpermute_b32 v2, v97, v42 offset:12
	ds_bpermute_b32 v4, v97, v43 offset:16
	;; [unrolled: 1-line block ×3, first 2 shown]
	s_waitcnt lgkmcnt(3)
	v_sub_f32_e32 v6, v13, v6
	v_mul_f32_e32 v6, v21, v6
	s_waitcnt lgkmcnt(2)
	v_mul_f32_e32 v11, v6, v2
	s_waitcnt lgkmcnt(1)
	v_sub_f32_e32 v2, v14, v4
	ds_bpermute_b32 v4, v97, v43 offset:20
	v_mul_f32_e32 v2, v22, v2
	s_waitcnt lgkmcnt(1)
	v_mul_f32_e32 v13, v2, v8
	ds_bpermute_b32 v2, v97, v42 offset:20
	ds_bpermute_b32 v6, v97, v43 offset:24
	;; [unrolled: 1-line block ×3, first 2 shown]
	s_waitcnt lgkmcnt(3)
	v_sub_f32_e32 v4, v15, v4
	v_mul_f32_e32 v4, v23, v4
	s_waitcnt lgkmcnt(2)
	v_mul_f32_e32 v15, v4, v2
	s_waitcnt lgkmcnt(1)
	v_sub_f32_e32 v2, v16, v6
	v_mul_f32_e32 v2, v24, v2
	s_waitcnt lgkmcnt(0)
	v_mul_f32_e32 v99, v2, v8
	v_mov_b32_e32 v4, v18
	ds_bpermute_b32 v2, v97, v43 offset:28
	v_pk_add_f32 v[4:5], v[92:93], v[4:5]
	v_mov_b32_e32 v6, v19
	v_pk_add_f32 v[4:5], v[6:7], v[4:5]
	v_mov_b32_e32 v8, v20
	ds_bpermute_b32 v6, v97, v42 offset:28
	v_pk_add_f32 v[4:5], v[8:9], v[4:5]
	v_mov_b32_e32 v10, v21
	v_pk_add_f32 v[4:5], v[10:11], v[4:5]
	v_mov_b32_e32 v12, v22
	;; [unrolled: 2-line block ×3, first 2 shown]
	s_waitcnt lgkmcnt(1)
	v_sub_f32_e32 v2, v17, v2
	v_pk_add_f32 v[4:5], v[14:15], v[4:5]
	v_mov_b32_e32 v98, v24
	v_mul_f32_e32 v2, v25, v2
	v_pk_add_f32 v[4:5], v[98:99], v[4:5]
	s_waitcnt lgkmcnt(0)
	v_mul_f32_e32 v7, v2, v6
	v_mov_b32_e32 v6, v25
	v_pk_add_f32 v[42:43], v[6:7], v[4:5]
	s_branch .LBB115_54
.LBB115_77:                             ;   in Loop: Header=BB115_55 Depth=1
                                        ; implicit-def: $vgpr43
	s_cbranch_execz .LBB115_54
; %bb.78:                               ;   in Loop: Header=BB115_55 Depth=1
	s_load_dword s17, s[4:5], 0x0
	v_mov_b32_e32 v6, 0
	v_mov_b32_e32 v7, 0
	s_waitcnt lgkmcnt(0)
	s_cmp_lt_u32 s2, s17
	s_cselect_b32 s17, 12, 18
	s_add_u32 s18, s4, s17
	s_addc_u32 s19, s5, 0
	global_load_ushort v2, v3, s[18:19]
	s_waitcnt vmcnt(0)
	v_mad_u32_u24 v2, v96, v2, v1
	v_and_b32_e32 v2, 63, v2
	v_cmp_gt_u32_e32 vcc, 8, v2
	s_and_saveexec_b64 s[18:19], vcc
	s_cbranch_execz .LBB115_53
; %bb.79:                               ;   in Loop: Header=BB115_55 Depth=1
	v_lshl_add_u64 v[4:5], v[94:95], 0, v[2:3]
	v_lshl_add_u64 v[4:5], v[4:5], 0, s[12:13]
	v_cmp_gt_i64_e32 vcc, s[8:9], v[4:5]
	v_mov_b32_e32 v7, 0
	v_mov_b32_e32 v6, 0
	s_and_saveexec_b64 s[20:21], vcc
	s_cbranch_execz .LBB115_52
; %bb.80:                               ;   in Loop: Header=BB115_55 Depth=1
	v_lshlrev_b64 v[4:5], 2, v[4:5]
	v_lshl_add_u64 v[8:9], s[26:27], 0, v[4:5]
	v_lshl_add_u64 v[4:5], s[24:25], 0, v[4:5]
	global_load_dword v7, v[4:5], off
	global_load_dword v6, v[8:9], off
	s_branch .LBB115_52
.LBB115_81:
	v_and_b32_e32 v2, 0x3ff, v0
	v_bfe_u32 v0, v0, 10, 10
	v_mad_u32_u24 v1, v0, 33, v2
	v_lshl_add_u32 v3, v1, 2, 0
	v_sub_u32_e32 v1, v1, v0
	s_movk_i32 s4, 0x800
	s_mov_b32 s3, 0
	v_cmp_gt_u32_e32 vcc, s4, v1
	ds_write_b32 v3, v43
	ds_write_b32 v3, v42 offset:4224
	s_waitcnt lgkmcnt(0)
	s_barrier
	s_and_saveexec_b64 s[4:5], vcc
	s_cbranch_execz .LBB115_91
; %bb.82:
	v_mbcnt_lo_u32_b32 v3, -1, 0
	v_mbcnt_hi_u32_b32 v3, -1, v3
	v_and_b32_e32 v4, 64, v3
	v_add_u32_e32 v4, 64, v4
	v_cmp_eq_u32_e64 s[4:5], 0, v2
	v_xor_b32_e32 v2, 16, v3
	v_cmp_lt_i32_e32 vcc, v2, v4
	s_load_dwordx4 s[16:19], s[0:1], 0x30
	s_lshl_b64 s[8:9], s[2:3], 5
	v_cndmask_b32_e32 v2, v3, v2, vcc
	v_lshlrev_b32_e32 v8, 2, v2
	v_xor_b32_e32 v2, 8, v3
	v_cmp_lt_i32_e32 vcc, v2, v4
	v_lshrrev_b32_e32 v0, 6, v1
	v_and_b32_e32 v6, 63, v1
	v_cndmask_b32_e32 v2, v3, v2, vcc
	v_lshlrev_b32_e32 v9, 2, v2
	v_xor_b32_e32 v2, 4, v3
	v_cmp_lt_i32_e32 vcc, v2, v4
	s_waitcnt lgkmcnt(0)
	s_cmp_lg_u64 s[16:17], 0
	v_cmp_gt_u32_e64 s[0:1], 32, v6
	v_cndmask_b32_e32 v2, v3, v2, vcc
	v_lshlrev_b32_e32 v10, 2, v2
	v_xor_b32_e32 v2, 2, v3
	v_cmp_lt_i32_e32 vcc, v2, v4
	v_mov_b32_e32 v1, 0
	s_cselect_b64 s[6:7], -1, 0
	v_cndmask_b32_e32 v2, v3, v2, vcc
	v_lshlrev_b32_e32 v11, 2, v2
	v_xor_b32_e32 v2, 1, v3
	v_cmp_lt_i32_e32 vcc, v2, v4
	s_cmp_lg_u64 s[18:19], 0
	v_mad_u32_u24 v6, v6, 33, v0
	v_cndmask_b32_e32 v2, v3, v2, vcc
	s_cselect_b64 s[14:15], -1, 0
	v_lshlrev_b32_e32 v12, 2, v2
	s_lshl_b64 s[2:3], s[2:3], 6
	v_lshlrev_b32_e32 v2, 1, v0
	v_mov_b32_e32 v3, v1
	v_lshl_add_u32 v13, v6, 2, 0
	v_cndmask_b32_e64 v6, 0, 1, s[6:7]
	v_lshl_add_u64 v[4:5], s[2:3], 0, v[2:3]
	v_cmp_ne_u32_e64 s[2:3], 1, v6
	v_cndmask_b32_e64 v6, 0, 1, s[14:15]
	s_mov_b64 s[12:13], 0
	v_lshl_add_u64 v[2:3], s[18:19], 0, v[4:5]
	v_lshl_add_u64 v[4:5], s[16:17], 0, v[4:5]
	s_movk_i32 s16, 0x7fff
	v_mov_b32_e32 v14, 0x7fc0
	v_cmp_ne_u32_e64 s[6:7], 1, v6
                                        ; implicit-def: $vgpr6
	s_branch .LBB115_84
.LBB115_83:                             ;   in Loop: Header=BB115_84 Depth=1
	s_or_b64 exec, exec, s[14:15]
	v_lshl_add_u64 v[0:1], v[0:1], 0, 16
	v_add_u32_e32 v15, -16, v0
	v_cmp_lt_u32_e32 vcc, 15, v15
	v_lshl_add_u64 v[2:3], v[2:3], 0, 32
	v_lshl_add_u64 v[4:5], v[4:5], 0, 32
	s_or_b64 s[12:13], vcc, s[12:13]
	v_add_u32_e32 v13, 64, v13
	s_andn2_b64 exec, exec, s[12:13]
	s_cbranch_execz .LBB115_91
.LBB115_84:                             ; =>This Inner Loop Header: Depth=1
	s_and_saveexec_b64 s[14:15], s[0:1]
	s_cbranch_execz .LBB115_86
; %bb.85:                               ;   in Loop: Header=BB115_84 Depth=1
	ds_read_b32 v7, v13
	ds_read_b32 v6, v13 offset:4224
.LBB115_86:                             ;   in Loop: Header=BB115_84 Depth=1
	s_or_b64 exec, exec, s[14:15]
	s_waitcnt lgkmcnt(1)
	ds_bpermute_b32 v17, v8, v7
	s_waitcnt lgkmcnt(1)
	ds_bpermute_b32 v16, v8, v6
	v_lshl_add_u64 v[18:19], s[8:9], 0, v[0:1]
	v_cmp_gt_i64_e32 vcc, s[10:11], v[18:19]
	s_and_b64 s[18:19], s[4:5], vcc
	s_waitcnt lgkmcnt(0)
	v_pk_add_f32 v[6:7], v[6:7], v[16:17]
	ds_bpermute_b32 v17, v9, v7
	ds_bpermute_b32 v16, v9, v6
	s_waitcnt lgkmcnt(0)
	v_pk_add_f32 v[6:7], v[6:7], v[16:17]
	ds_bpermute_b32 v17, v10, v7
	ds_bpermute_b32 v16, v10, v6
	s_waitcnt lgkmcnt(0)
	v_pk_add_f32 v[6:7], v[6:7], v[16:17]
	ds_bpermute_b32 v17, v11, v7
	ds_bpermute_b32 v16, v11, v6
	s_waitcnt lgkmcnt(0)
	v_pk_add_f32 v[6:7], v[6:7], v[16:17]
	ds_bpermute_b32 v17, v12, v7
	ds_bpermute_b32 v16, v12, v6
	s_waitcnt lgkmcnt(0)
	v_pk_add_f32 v[6:7], v[6:7], v[16:17]
	s_and_saveexec_b64 s[14:15], s[18:19]
	s_cbranch_execz .LBB115_83
; %bb.87:                               ;   in Loop: Header=BB115_84 Depth=1
	s_and_b64 vcc, exec, s[2:3]
	s_cbranch_vccnz .LBB115_89
; %bb.88:                               ;   in Loop: Header=BB115_84 Depth=1
	v_bfe_u32 v15, v7, 16, 1
	v_add3_u32 v15, v7, v15, s16
	v_lshrrev_b32_e32 v15, 16, v15
	v_cmp_o_f32_e32 vcc, v7, v7
	s_nop 1
	v_cndmask_b32_e32 v15, v14, v15, vcc
	global_store_short v[4:5], v15, off
.LBB115_89:                             ;   in Loop: Header=BB115_84 Depth=1
	s_and_b64 vcc, exec, s[6:7]
	s_cbranch_vccnz .LBB115_83
; %bb.90:                               ;   in Loop: Header=BB115_84 Depth=1
	v_bfe_u32 v15, v6, 16, 1
	v_add3_u32 v15, v6, v15, s16
	v_lshrrev_b32_e32 v15, 16, v15
	v_cmp_o_f32_e32 vcc, v6, v6
	s_nop 1
	v_cndmask_b32_e32 v15, v14, v15, vcc
	global_store_short v[2:3], v15, off
	s_branch .LBB115_83
.LBB115_91:
	s_endpgm
	.section	.rodata,"a",@progbits
	.p2align	6, 0x0
	.amdhsa_kernel _ZN2at6native12_GLOBAL__N_135GammaBetaBackwardCUDAKernelTemplateIN3c108BFloat16EfLj32ELj32ELj256ELb0ELb0ELb0EEEvllPKT_S7_PKT0_SA_PS5_SB_
		.amdhsa_group_segment_fixed_size 0
		.amdhsa_private_segment_fixed_size 0
		.amdhsa_kernarg_size 320
		.amdhsa_user_sgpr_count 2
		.amdhsa_user_sgpr_dispatch_ptr 0
		.amdhsa_user_sgpr_queue_ptr 0
		.amdhsa_user_sgpr_kernarg_segment_ptr 1
		.amdhsa_user_sgpr_dispatch_id 0
		.amdhsa_user_sgpr_kernarg_preload_length 0
		.amdhsa_user_sgpr_kernarg_preload_offset 0
		.amdhsa_user_sgpr_private_segment_size 0
		.amdhsa_uses_dynamic_stack 0
		.amdhsa_enable_private_segment 0
		.amdhsa_system_sgpr_workgroup_id_x 1
		.amdhsa_system_sgpr_workgroup_id_y 1
		.amdhsa_system_sgpr_workgroup_id_z 0
		.amdhsa_system_sgpr_workgroup_info 0
		.amdhsa_system_vgpr_workitem_id 1
		.amdhsa_next_free_vgpr 106
		.amdhsa_next_free_sgpr 58
		.amdhsa_accum_offset 108
		.amdhsa_reserve_vcc 1
		.amdhsa_float_round_mode_32 0
		.amdhsa_float_round_mode_16_64 0
		.amdhsa_float_denorm_mode_32 3
		.amdhsa_float_denorm_mode_16_64 3
		.amdhsa_dx10_clamp 1
		.amdhsa_ieee_mode 1
		.amdhsa_fp16_overflow 0
		.amdhsa_tg_split 0
		.amdhsa_exception_fp_ieee_invalid_op 0
		.amdhsa_exception_fp_denorm_src 0
		.amdhsa_exception_fp_ieee_div_zero 0
		.amdhsa_exception_fp_ieee_overflow 0
		.amdhsa_exception_fp_ieee_underflow 0
		.amdhsa_exception_fp_ieee_inexact 0
		.amdhsa_exception_int_div_zero 0
	.end_amdhsa_kernel
	.section	.text._ZN2at6native12_GLOBAL__N_135GammaBetaBackwardCUDAKernelTemplateIN3c108BFloat16EfLj32ELj32ELj256ELb0ELb0ELb0EEEvllPKT_S7_PKT0_SA_PS5_SB_,"axG",@progbits,_ZN2at6native12_GLOBAL__N_135GammaBetaBackwardCUDAKernelTemplateIN3c108BFloat16EfLj32ELj32ELj256ELb0ELb0ELb0EEEvllPKT_S7_PKT0_SA_PS5_SB_,comdat
.Lfunc_end115:
	.size	_ZN2at6native12_GLOBAL__N_135GammaBetaBackwardCUDAKernelTemplateIN3c108BFloat16EfLj32ELj32ELj256ELb0ELb0ELb0EEEvllPKT_S7_PKT0_SA_PS5_SB_, .Lfunc_end115-_ZN2at6native12_GLOBAL__N_135GammaBetaBackwardCUDAKernelTemplateIN3c108BFloat16EfLj32ELj32ELj256ELb0ELb0ELb0EEEvllPKT_S7_PKT0_SA_PS5_SB_
                                        ; -- End function
	.section	.AMDGPU.csdata,"",@progbits
; Kernel info:
; codeLenInByte = 7724
; NumSgprs: 64
; NumVgprs: 106
; NumAgprs: 0
; TotalNumVgprs: 106
; ScratchSize: 0
; MemoryBound: 0
; FloatMode: 240
; IeeeMode: 1
; LDSByteSize: 0 bytes/workgroup (compile time only)
; SGPRBlocks: 7
; VGPRBlocks: 13
; NumSGPRsForWavesPerEU: 64
; NumVGPRsForWavesPerEU: 106
; AccumOffset: 108
; Occupancy: 4
; WaveLimiterHint : 0
; COMPUTE_PGM_RSRC2:SCRATCH_EN: 0
; COMPUTE_PGM_RSRC2:USER_SGPR: 2
; COMPUTE_PGM_RSRC2:TRAP_HANDLER: 0
; COMPUTE_PGM_RSRC2:TGID_X_EN: 1
; COMPUTE_PGM_RSRC2:TGID_Y_EN: 1
; COMPUTE_PGM_RSRC2:TGID_Z_EN: 0
; COMPUTE_PGM_RSRC2:TIDIG_COMP_CNT: 1
; COMPUTE_PGM_RSRC3_GFX90A:ACCUM_OFFSET: 26
; COMPUTE_PGM_RSRC3_GFX90A:TG_SPLIT: 0
	.section	.text._ZN2at6native12_GLOBAL__N_118cuComputeGradInputIddLb1EEEvPKT_S5_llPKT0_S8_S5_PS3_,"axG",@progbits,_ZN2at6native12_GLOBAL__N_118cuComputeGradInputIddLb1EEEvPKT_S5_llPKT0_S8_S5_PS3_,comdat
	.globl	_ZN2at6native12_GLOBAL__N_118cuComputeGradInputIddLb1EEEvPKT_S5_llPKT0_S8_S5_PS3_ ; -- Begin function _ZN2at6native12_GLOBAL__N_118cuComputeGradInputIddLb1EEEvPKT_S5_llPKT0_S8_S5_PS3_
	.p2align	8
	.type	_ZN2at6native12_GLOBAL__N_118cuComputeGradInputIddLb1EEEvPKT_S5_llPKT0_S8_S5_PS3_,@function
_ZN2at6native12_GLOBAL__N_118cuComputeGradInputIddLb1EEEvPKT_S5_llPKT0_S8_S5_PS3_: ; @_ZN2at6native12_GLOBAL__N_118cuComputeGradInputIddLb1EEEvPKT_S5_llPKT0_S8_S5_PS3_
; %bb.0:
	s_load_dwordx4 s[12:15], s[0:1], 0x10
	s_mov_b32 s24, s3
	s_ashr_i32 s25, s3, 31
	s_waitcnt lgkmcnt(0)
	v_mov_b64_e32 v[2:3], s[12:13]
	v_cmp_ge_i64_e32 vcc, s[24:25], v[2:3]
	s_cbranch_vccnz .LBB116_49
; %bb.1:
	v_cvt_f64_i32_e32 v[2:3], s15
	v_ldexp_f64 v[2:3], v[2:3], 32
	v_cvt_f64_u32_e32 v[4:5], s14
	v_add_f64 v[2:3], v[2:3], v[4:5]
	s_load_dword s2, s[0:1], 0x4c
	s_load_dwordx4 s[16:19], s[0:1], 0x30
	s_load_dword s33, s[0:1], 0x44
	s_load_dwordx4 s[20:23], s[0:1], 0x0
	s_load_dwordx2 s[26:27], s[0:1], 0x28
	v_div_scale_f64 v[4:5], s[0:1], v[2:3], v[2:3], 1.0
	v_rcp_f64_e32 v[6:7], v[4:5]
	s_waitcnt lgkmcnt(0)
	s_lshr_b32 s46, s2, 16
	s_and_b32 s47, s2, 0xffff
	v_and_b32_e32 v22, 0x3ff, v0
	v_fma_f64 v[8:9], -v[4:5], v[6:7], 1.0
	v_fmac_f64_e32 v[6:7], v[6:7], v[8:9]
	v_fma_f64 v[8:9], -v[4:5], v[6:7], 1.0
	v_fmac_f64_e32 v[6:7], v[6:7], v[8:9]
	v_div_scale_f64 v[8:9], vcc, 1.0, v[2:3], 1.0
	v_bfe_u32 v23, v0, 10, 10
	v_mul_f64 v[10:11], v[8:9], v[6:7]
	s_mul_i32 s28, s46, s47
	v_mad_u32_u24 v0, v23, s47, v22
	s_cmp_lg_u64 s[16:17], 0
	v_fma_f64 v[4:5], -v[4:5], v[10:11], v[8:9]
	s_cselect_b64 s[6:7], -1, 0
	v_div_fmas_f64 v[4:5], v[4:5], v[6:7], v[10:11]
	v_add_u32_e32 v6, s28, v0
	s_ashr_i32 s29, s28, 31
	v_ashrrev_i32_e32 v7, 31, v6
	v_mov_b32_e32 v8, s29
	v_subrev_co_u32_e32 v6, vcc, s28, v6
	v_mov_b32_e32 v1, 0
	s_nop 0
	v_subb_co_u32_e32 v7, vcc, v7, v8, vcc
	v_cndmask_b32_e64 v8, 0, 1, s[6:7]
	v_cmp_gt_i64_e64 s[6:7], s[14:15], 0
	v_mbcnt_lo_u32_b32 v10, -1, 0
	v_cmp_gt_u16_e64 s[30:31], s2, 1
	v_cmp_gt_u16_e64 s[34:35], s46, 1
	v_lshl_add_u32 v24, v0, 4, 0
	v_cmp_eq_u32_e64 s[0:1], 0, v23
	v_cmp_ne_u32_e64 s[2:3], 0, v23
	v_lshl_add_u32 v25, v22, 4, 0
	v_div_fixup_f64 v[4:5], v[4:5], v[2:3], 1.0
	v_cmp_gt_i64_e64 s[4:5], s[14:15], v[0:1]
	v_cndmask_b32_e64 v26, 0, 1, s[6:7]
	v_cmp_ne_u32_e64 s[6:7], 1, v8
	v_mov_b64_e32 v[8:9], s[14:15]
	v_mbcnt_hi_u32_b32 v27, -1, v10
	s_branch .LBB116_4
.LBB116_2:                              ;   in Loop: Header=BB116_4 Depth=1
	s_or_b64 exec, exec, s[10:11]
.LBB116_3:                              ;   in Loop: Header=BB116_4 Depth=1
	s_add_i32 s24, s33, s24
	s_ashr_i32 s25, s24, 31
	v_mov_b64_e32 v[10:11], s[12:13]
	v_cmp_ge_i64_e32 vcc, s[24:25], v[10:11]
	s_barrier
	s_cbranch_vccnz .LBB116_49
.LBB116_4:                              ; =>This Loop Header: Depth=1
                                        ;     Child Loop BB116_8 Depth 2
                                        ;     Child Loop BB116_20 Depth 2
                                        ;     Child Loop BB116_27 Depth 2
                                        ;     Child Loop BB116_29 Depth 2
                                        ;     Child Loop BB116_43 Depth 2
                                        ;     Child Loop BB116_48 Depth 2
	s_mul_i32 s8, s24, s15
	s_mul_hi_u32 s9, s24, s14
	s_add_i32 s8, s9, s8
	s_mul_i32 s9, s25, s14
	s_add_i32 s9, s8, s9
	s_lshl_b64 s[10:11], s[24:25], 3
	s_add_u32 s10, s26, s10
	s_mul_i32 s8, s24, s14
	s_addc_u32 s11, s27, s11
	s_load_dwordx2 s[36:37], s[10:11], 0x0
	s_lshl_b64 s[42:43], s[8:9], 3
	s_add_u32 s38, s22, s42
	s_addc_u32 s39, s23, s43
	s_add_u32 s40, s20, s42
	s_addc_u32 s41, s21, s43
	s_and_b64 vcc, exec, s[6:7]
	v_cmp_ne_u32_e64 s[8:9], 1, v26
	s_cbranch_vccnz .LBB116_14
; %bb.5:                                ;   in Loop: Header=BB116_4 Depth=1
	s_and_b64 vcc, exec, s[8:9]
	s_cbranch_vccnz .LBB116_15
; %bb.6:                                ;   in Loop: Header=BB116_4 Depth=1
	v_mov_b64_e32 v[12:13], 0
	s_mov_b32 s10, 0
	v_mov_b64_e32 v[10:11], v[12:13]
	s_branch .LBB116_8
.LBB116_7:                              ;   in Loop: Header=BB116_8 Depth=2
	s_or_b64 exec, exec, s[44:45]
	s_add_i32 s10, s10, s28
	s_waitcnt vmcnt(0)
	v_mul_f64 v[14:15], v[16:17], v[20:21]
	s_ashr_i32 s11, s10, 31
	v_mul_f64 v[14:15], v[18:19], v[14:15]
	v_cmp_ge_i64_e32 vcc, s[10:11], v[8:9]
	s_waitcnt lgkmcnt(0)
	v_fmac_f64_e32 v[10:11], s[36:37], v[14:15]
	s_cbranch_vccnz .LBB116_16
.LBB116_8:                              ;   Parent Loop BB116_4 Depth=1
                                        ; =>  This Inner Loop Header: Depth=2
	v_add_u32_e32 v14, s10, v0
	v_ashrrev_i32_e32 v15, 31, v14
	v_cmp_gt_i64_e32 vcc, s[14:15], v[14:15]
	v_mov_b64_e32 v[16:17], v[12:13]
	s_and_saveexec_b64 s[44:45], vcc
	s_cbranch_execz .LBB116_10
; %bb.9:                                ;   in Loop: Header=BB116_8 Depth=2
	v_lshl_add_u64 v[16:17], v[14:15], 3, s[16:17]
	global_load_dwordx2 v[16:17], v[16:17], off
.LBB116_10:                             ;   in Loop: Header=BB116_8 Depth=2
	s_or_b64 exec, exec, s[44:45]
	v_mov_b64_e32 v[20:21], 0
	v_mov_b64_e32 v[18:19], v[20:21]
	s_and_saveexec_b64 s[44:45], vcc
	s_cbranch_execz .LBB116_12
; %bb.11:                               ;   in Loop: Header=BB116_8 Depth=2
	v_lshl_add_u64 v[18:19], v[14:15], 3, s[38:39]
	global_load_dwordx2 v[18:19], v[18:19], off
.LBB116_12:                             ;   in Loop: Header=BB116_8 Depth=2
	s_or_b64 exec, exec, s[44:45]
	s_and_saveexec_b64 s[44:45], vcc
	s_cbranch_execz .LBB116_7
; %bb.13:                               ;   in Loop: Header=BB116_8 Depth=2
	v_lshl_add_u64 v[14:15], v[14:15], 3, s[40:41]
	global_load_dwordx2 v[20:21], v[14:15], off
	s_branch .LBB116_7
.LBB116_14:                             ;   in Loop: Header=BB116_4 Depth=1
                                        ; implicit-def: $vgpr10_vgpr11
	s_branch .LBB116_17
.LBB116_15:                             ;   in Loop: Header=BB116_4 Depth=1
	v_mov_b64_e32 v[10:11], 0
.LBB116_16:                             ;   in Loop: Header=BB116_4 Depth=1
	s_cbranch_execnz .LBB116_25
.LBB116_17:                             ;   in Loop: Header=BB116_4 Depth=1
	s_and_b64 vcc, exec, s[8:9]
	s_cbranch_vccnz .LBB116_24
; %bb.18:                               ;   in Loop: Header=BB116_4 Depth=1
	v_mov_b64_e32 v[12:13], 0
	s_mov_b32 s8, 0
	v_mov_b64_e32 v[10:11], v[12:13]
	s_branch .LBB116_20
.LBB116_19:                             ;   in Loop: Header=BB116_20 Depth=2
	s_or_b64 exec, exec, s[10:11]
	s_waitcnt vmcnt(0)
	v_mul_f64 v[14:15], v[16:17], v[18:19]
	s_add_i32 s8, s8, s28
	s_waitcnt lgkmcnt(0)
	v_fmac_f64_e32 v[10:11], s[36:37], v[14:15]
	s_ashr_i32 s9, s8, 31
	v_mov_b64_e32 v[14:15], s[14:15]
	v_cmp_ge_i64_e32 vcc, s[8:9], v[14:15]
	s_cbranch_vccnz .LBB116_25
.LBB116_20:                             ;   Parent Loop BB116_4 Depth=1
                                        ; =>  This Inner Loop Header: Depth=2
	v_add_u32_e32 v14, s8, v0
	v_ashrrev_i32_e32 v15, 31, v14
	v_cmp_gt_i64_e32 vcc, s[14:15], v[14:15]
	v_mov_b64_e32 v[16:17], v[12:13]
	s_and_saveexec_b64 s[10:11], vcc
	s_cbranch_execz .LBB116_22
; %bb.21:                               ;   in Loop: Header=BB116_20 Depth=2
	v_lshl_add_u64 v[16:17], v[14:15], 3, s[38:39]
	global_load_dwordx2 v[16:17], v[16:17], off
.LBB116_22:                             ;   in Loop: Header=BB116_20 Depth=2
	s_or_b64 exec, exec, s[10:11]
	v_mov_b64_e32 v[18:19], 0
	s_and_saveexec_b64 s[10:11], vcc
	s_cbranch_execz .LBB116_19
; %bb.23:                               ;   in Loop: Header=BB116_20 Depth=2
	v_lshl_add_u64 v[14:15], v[14:15], 3, s[40:41]
	global_load_dwordx2 v[18:19], v[14:15], off
	s_branch .LBB116_19
.LBB116_24:                             ;   in Loop: Header=BB116_4 Depth=1
	v_mov_b64_e32 v[10:11], 0
.LBB116_25:                             ;   in Loop: Header=BB116_4 Depth=1
	s_andn2_b64 vcc, exec, s[30:31]
	s_cbranch_vccnz .LBB116_28
; %bb.26:                               ;   in Loop: Header=BB116_4 Depth=1
	v_and_b32_e32 v12, 64, v27
	v_add_u32_e32 v12, 64, v12
	s_mov_b32 s8, s47
.LBB116_27:                             ;   Parent Loop BB116_4 Depth=1
                                        ; =>  This Inner Loop Header: Depth=2
	s_lshr_b32 s9, s8, 1
	v_xor_b32_e32 v13, s9, v27
	v_cmp_lt_i32_e32 vcc, v13, v12
	s_cmp_lt_u32 s8, 4
	s_mov_b32 s8, s9
	v_cndmask_b32_e32 v13, v27, v13, vcc
	v_lshlrev_b32_e32 v13, 2, v13
	ds_bpermute_b32 v14, v13, v10
	ds_bpermute_b32 v15, v13, v11
	s_waitcnt lgkmcnt(0)
	v_add_f64 v[10:11], v[10:11], v[14:15]
	s_cbranch_scc0 .LBB116_27
.LBB116_28:                             ;   in Loop: Header=BB116_4 Depth=1
	s_andn2_b64 vcc, exec, s[34:35]
	s_mov_b32 s25, s46
	s_cbranch_vccnz .LBB116_40
.LBB116_29:                             ;   Parent Loop BB116_4 Depth=1
                                        ; =>  This Inner Loop Header: Depth=2
	s_lshr_b32 s44, s25, 1
	s_and_b32 s10, s25, 0xfffe
	v_cmp_le_u32_e64 s[8:9], s44, v23
	v_cmp_gt_u32_e64 s[10:11], s10, v23
	v_cmp_gt_u32_e32 vcc, s44, v23
	s_and_b64 s[10:11], s[8:9], s[10:11]
	s_and_saveexec_b64 s[8:9], s[10:11]
	s_cbranch_execz .LBB116_31
; %bb.30:                               ;   in Loop: Header=BB116_29 Depth=2
	v_subrev_u32_e32 v12, s44, v23
	v_mad_i32_i24 v12, v12, s47, v22
	v_lshl_add_u32 v12, v12, 4, 0
	ds_write_b64 v12, v[10:11] offset:8
.LBB116_31:                             ;   in Loop: Header=BB116_29 Depth=2
	s_or_b64 exec, exec, s[8:9]
	s_waitcnt lgkmcnt(0)
	s_barrier
	s_and_saveexec_b64 s[8:9], vcc
	s_cbranch_execz .LBB116_33
; %bb.32:                               ;   in Loop: Header=BB116_29 Depth=2
	ds_read_b64 v[12:13], v24 offset:8
	s_waitcnt lgkmcnt(0)
	v_add_f64 v[10:11], v[10:11], v[12:13]
.LBB116_33:                             ;   in Loop: Header=BB116_29 Depth=2
	s_or_b64 exec, exec, s[8:9]
	s_cmp_lt_u32 s25, 4
	s_barrier
	s_cbranch_scc1 .LBB116_35
; %bb.34:                               ;   in Loop: Header=BB116_29 Depth=2
	s_mov_b32 s25, s44
	s_branch .LBB116_29
.LBB116_35:                             ;   in Loop: Header=BB116_4 Depth=1
	s_and_saveexec_b64 s[8:9], s[0:1]
	s_cbranch_execz .LBB116_37
; %bb.36:                               ;   in Loop: Header=BB116_4 Depth=1
	ds_write_b64 v25, v[10:11] offset:8
.LBB116_37:                             ;   in Loop: Header=BB116_4 Depth=1
	s_or_b64 exec, exec, s[8:9]
	s_waitcnt lgkmcnt(0)
	s_barrier
	s_and_saveexec_b64 s[8:9], s[2:3]
	s_cbranch_execz .LBB116_39
; %bb.38:                               ;   in Loop: Header=BB116_4 Depth=1
	ds_read_b64 v[10:11], v25 offset:8
.LBB116_39:                             ;   in Loop: Header=BB116_4 Depth=1
	s_or_b64 exec, exec, s[8:9]
.LBB116_40:                             ;   in Loop: Header=BB116_4 Depth=1
	s_add_u32 s8, s18, s42
	s_addc_u32 s9, s19, s43
	s_and_b64 vcc, exec, s[6:7]
	s_waitcnt lgkmcnt(0)
	v_mul_f64 v[12:13], v[4:5], s[36:37]
	s_cbranch_vccnz .LBB116_45
; %bb.41:                               ;   in Loop: Header=BB116_4 Depth=1
	s_and_saveexec_b64 s[10:11], s[4:5]
	s_cbranch_execz .LBB116_44
; %bb.42:                               ;   in Loop: Header=BB116_4 Depth=1
	s_mov_b64 s[42:43], 0
	v_mov_b64_e32 v[14:15], v[6:7]
	v_mov_b64_e32 v[16:17], v[0:1]
.LBB116_43:                             ;   Parent Loop BB116_4 Depth=1
                                        ; =>  This Inner Loop Header: Depth=2
	v_lshlrev_b64 v[16:17], 3, v[16:17]
	v_lshl_add_u64 v[18:19], s[38:39], 0, v[16:17]
	v_lshl_add_u64 v[20:21], s[40:41], 0, v[16:17]
	;; [unrolled: 1-line block ×3, first 2 shown]
	global_load_dwordx2 v[30:31], v[18:19], off
	global_load_dwordx2 v[32:33], v[20:21], off
	;; [unrolled: 1-line block ×3, first 2 shown]
	v_lshl_add_u64 v[14:15], v[14:15], 0, s[28:29]
	v_cmp_le_i64_e32 vcc, s[14:15], v[14:15]
	v_lshl_add_u64 v[18:19], s[8:9], 0, v[16:17]
	v_ashrrev_i32_e32 v17, 31, v14
	v_mov_b32_e32 v16, v14
	s_or_b64 s[42:43], vcc, s[42:43]
	s_waitcnt vmcnt(2)
	v_mul_f64 v[28:29], s[36:37], v[30:31]
	s_waitcnt vmcnt(1)
	v_mul_f64 v[20:21], v[32:33], v[2:3]
	v_mul_f64 v[28:29], v[10:11], v[28:29]
	s_waitcnt vmcnt(0)
	v_fma_f64 v[20:21], v[20:21], v[34:35], -v[28:29]
	v_mul_f64 v[20:21], v[12:13], v[20:21]
	global_store_dwordx2 v[18:19], v[20:21], off
	s_andn2_b64 exec, exec, s[42:43]
	s_cbranch_execnz .LBB116_43
.LBB116_44:                             ;   in Loop: Header=BB116_4 Depth=1
	s_or_b64 exec, exec, s[10:11]
	s_cbranch_execnz .LBB116_3
	s_branch .LBB116_46
.LBB116_45:                             ;   in Loop: Header=BB116_4 Depth=1
.LBB116_46:                             ;   in Loop: Header=BB116_4 Depth=1
	s_and_saveexec_b64 s[10:11], s[4:5]
	s_cbranch_execz .LBB116_2
; %bb.47:                               ;   in Loop: Header=BB116_4 Depth=1
	s_mov_b64 s[42:43], 0
	v_mov_b64_e32 v[14:15], v[6:7]
	v_mov_b64_e32 v[16:17], v[0:1]
.LBB116_48:                             ;   Parent Loop BB116_4 Depth=1
                                        ; =>  This Inner Loop Header: Depth=2
	v_lshlrev_b64 v[16:17], 3, v[16:17]
	v_lshl_add_u64 v[18:19], s[38:39], 0, v[16:17]
	global_load_dwordx2 v[18:19], v[18:19], off
	v_lshl_add_u64 v[20:21], s[40:41], 0, v[16:17]
	global_load_dwordx2 v[20:21], v[20:21], off
	v_lshl_add_u64 v[14:15], v[14:15], 0, s[28:29]
	v_cmp_le_i64_e32 vcc, s[14:15], v[14:15]
	v_lshl_add_u64 v[28:29], s[8:9], 0, v[16:17]
	v_ashrrev_i32_e32 v17, 31, v14
	v_mov_b32_e32 v16, v14
	s_or_b64 s[42:43], vcc, s[42:43]
	s_waitcnt vmcnt(1)
	v_mul_f64 v[18:19], s[36:37], v[18:19]
	v_mul_f64 v[18:19], v[10:11], v[18:19]
	s_waitcnt vmcnt(0)
	v_fma_f64 v[18:19], v[20:21], v[2:3], -v[18:19]
	v_mul_f64 v[18:19], v[12:13], v[18:19]
	global_store_dwordx2 v[28:29], v[18:19], off
	s_andn2_b64 exec, exec, s[42:43]
	s_cbranch_execnz .LBB116_48
	s_branch .LBB116_2
.LBB116_49:
	s_endpgm
	.section	.rodata,"a",@progbits
	.p2align	6, 0x0
	.amdhsa_kernel _ZN2at6native12_GLOBAL__N_118cuComputeGradInputIddLb1EEEvPKT_S5_llPKT0_S8_S5_PS3_
		.amdhsa_group_segment_fixed_size 0
		.amdhsa_private_segment_fixed_size 0
		.amdhsa_kernarg_size 320
		.amdhsa_user_sgpr_count 2
		.amdhsa_user_sgpr_dispatch_ptr 0
		.amdhsa_user_sgpr_queue_ptr 0
		.amdhsa_user_sgpr_kernarg_segment_ptr 1
		.amdhsa_user_sgpr_dispatch_id 0
		.amdhsa_user_sgpr_kernarg_preload_length 0
		.amdhsa_user_sgpr_kernarg_preload_offset 0
		.amdhsa_user_sgpr_private_segment_size 0
		.amdhsa_uses_dynamic_stack 0
		.amdhsa_enable_private_segment 0
		.amdhsa_system_sgpr_workgroup_id_x 1
		.amdhsa_system_sgpr_workgroup_id_y 1
		.amdhsa_system_sgpr_workgroup_id_z 0
		.amdhsa_system_sgpr_workgroup_info 0
		.amdhsa_system_vgpr_workitem_id 1
		.amdhsa_next_free_vgpr 36
		.amdhsa_next_free_sgpr 48
		.amdhsa_accum_offset 36
		.amdhsa_reserve_vcc 1
		.amdhsa_float_round_mode_32 0
		.amdhsa_float_round_mode_16_64 0
		.amdhsa_float_denorm_mode_32 3
		.amdhsa_float_denorm_mode_16_64 3
		.amdhsa_dx10_clamp 1
		.amdhsa_ieee_mode 1
		.amdhsa_fp16_overflow 0
		.amdhsa_tg_split 0
		.amdhsa_exception_fp_ieee_invalid_op 0
		.amdhsa_exception_fp_denorm_src 0
		.amdhsa_exception_fp_ieee_div_zero 0
		.amdhsa_exception_fp_ieee_overflow 0
		.amdhsa_exception_fp_ieee_underflow 0
		.amdhsa_exception_fp_ieee_inexact 0
		.amdhsa_exception_int_div_zero 0
	.end_amdhsa_kernel
	.section	.text._ZN2at6native12_GLOBAL__N_118cuComputeGradInputIddLb1EEEvPKT_S5_llPKT0_S8_S5_PS3_,"axG",@progbits,_ZN2at6native12_GLOBAL__N_118cuComputeGradInputIddLb1EEEvPKT_S5_llPKT0_S8_S5_PS3_,comdat
.Lfunc_end116:
	.size	_ZN2at6native12_GLOBAL__N_118cuComputeGradInputIddLb1EEEvPKT_S5_llPKT0_S8_S5_PS3_, .Lfunc_end116-_ZN2at6native12_GLOBAL__N_118cuComputeGradInputIddLb1EEEvPKT_S5_llPKT0_S8_S5_PS3_
                                        ; -- End function
	.section	.AMDGPU.csdata,"",@progbits
; Kernel info:
; codeLenInByte = 1464
; NumSgprs: 54
; NumVgprs: 36
; NumAgprs: 0
; TotalNumVgprs: 36
; ScratchSize: 0
; MemoryBound: 0
; FloatMode: 240
; IeeeMode: 1
; LDSByteSize: 0 bytes/workgroup (compile time only)
; SGPRBlocks: 6
; VGPRBlocks: 4
; NumSGPRsForWavesPerEU: 54
; NumVGPRsForWavesPerEU: 36
; AccumOffset: 36
; Occupancy: 8
; WaveLimiterHint : 0
; COMPUTE_PGM_RSRC2:SCRATCH_EN: 0
; COMPUTE_PGM_RSRC2:USER_SGPR: 2
; COMPUTE_PGM_RSRC2:TRAP_HANDLER: 0
; COMPUTE_PGM_RSRC2:TGID_X_EN: 1
; COMPUTE_PGM_RSRC2:TGID_Y_EN: 1
; COMPUTE_PGM_RSRC2:TGID_Z_EN: 0
; COMPUTE_PGM_RSRC2:TIDIG_COMP_CNT: 1
; COMPUTE_PGM_RSRC3_GFX90A:ACCUM_OFFSET: 8
; COMPUTE_PGM_RSRC3_GFX90A:TG_SPLIT: 0
	.section	.text._ZN2at6native12_GLOBAL__N_128layer_norm_grad_input_kernelIddLb1EEEvPKT_S5_PKT0_S8_S5_PS3_i,"axG",@progbits,_ZN2at6native12_GLOBAL__N_128layer_norm_grad_input_kernelIddLb1EEEvPKT_S5_PKT0_S8_S5_PS3_i,comdat
	.globl	_ZN2at6native12_GLOBAL__N_128layer_norm_grad_input_kernelIddLb1EEEvPKT_S5_PKT0_S8_S5_PS3_i ; -- Begin function _ZN2at6native12_GLOBAL__N_128layer_norm_grad_input_kernelIddLb1EEEvPKT_S5_PKT0_S8_S5_PS3_i
	.p2align	8
	.type	_ZN2at6native12_GLOBAL__N_128layer_norm_grad_input_kernelIddLb1EEEvPKT_S5_PKT0_S8_S5_PS3_i,@function
_ZN2at6native12_GLOBAL__N_128layer_norm_grad_input_kernelIddLb1EEEvPKT_S5_PKT0_S8_S5_PS3_i: ; @_ZN2at6native12_GLOBAL__N_128layer_norm_grad_input_kernelIddLb1EEEvPKT_S5_PKT0_S8_S5_PS3_i
; %bb.0:
	s_load_dword s33, s[0:1], 0x30
	s_load_dwordx4 s[8:11], s[0:1], 0x0
	s_load_dwordx4 s[4:7], s[0:1], 0x18
	s_mov_b32 s3, 0
	v_lshlrev_b32_e32 v2, 2, v0
	s_waitcnt lgkmcnt(0)
	s_ashr_i32 s12, s33, 31
	s_mul_hi_u32 s13, s33, s2
	s_mul_i32 s12, s12, s2
	s_add_i32 s19, s13, s12
	s_mul_i32 s18, s33, s2
	s_lshl_b64 s[2:3], s[2:3], 3
	s_add_u32 s2, s4, s2
	s_addc_u32 s3, s5, s3
	s_load_dwordx2 s[4:5], s[2:3], 0x0
	s_lshl_b64 s[16:17], s[18:19], 3
	s_add_u32 s12, s10, s16
	s_addc_u32 s13, s11, s17
	s_add_u32 s14, s8, s16
	v_or_b32_e32 v1, 3, v2
	s_addc_u32 s15, s9, s17
	v_cmp_gt_u32_e32 vcc, s33, v1
	v_mov_b64_e32 v[4:5], 0
	s_and_saveexec_b64 s[20:21], vcc
	s_cbranch_execz .LBB117_12
; %bb.1:
	s_load_dword s2, s[0:1], 0x44
	s_cmp_lg_u64 s[6:7], 0
	s_cselect_b64 s[24:25], -1, 0
	v_cndmask_b32_e64 v1, 0, 1, s[24:25]
	s_mov_b64 s[22:23], 0
	s_waitcnt lgkmcnt(0)
	s_and_b32 s2, s2, 0xffff
	s_lshl_b32 s34, s2, 2
	s_add_u32 s26, s6, 8
	s_addc_u32 s27, s7, 0
	s_add_u32 s28, s6, 16
	s_addc_u32 s29, s7, 0
	s_add_u32 s30, s6, 24
	v_mov_b64_e32 v[4:5], 0
	s_addc_u32 s31, s7, 0
	v_mov_b32_e32 v3, 0
	v_cmp_ne_u32_e64 s[2:3], 1, v1
	s_branch .LBB117_3
.LBB117_2:                              ;   in Loop: Header=BB117_3 Depth=1
	global_load_dwordx2 v[30:31], v[18:19], off offset:24
	global_load_dwordx2 v[32:33], v[12:13], off offset:24
	s_waitcnt vmcnt(6)
	v_mul_f64 v[8:9], v[8:9], v[16:17]
	s_waitcnt vmcnt(4)
	v_mul_f64 v[6:7], v[6:7], v[22:23]
	v_mul_f64 v[8:9], v[10:11], v[8:9]
	s_waitcnt vmcnt(2)
	v_mul_f64 v[12:13], v[26:27], v[28:29]
	v_add_u32_e32 v2, s34, v2
	v_mul_f64 v[6:7], v[20:21], v[6:7]
	v_fmac_f64_e32 v[4:5], s[4:5], v[8:9]
	v_mul_f64 v[10:11], v[24:25], v[12:13]
	v_add_u32_e32 v1, 3, v2
	v_fmac_f64_e32 v[4:5], s[4:5], v[6:7]
	v_cmp_le_u32_e32 vcc, s33, v1
	v_fmac_f64_e32 v[4:5], s[4:5], v[10:11]
	s_or_b64 s[22:23], vcc, s[22:23]
	s_waitcnt vmcnt(1)
	v_mul_f64 v[6:7], v[14:15], v[30:31]
	s_waitcnt vmcnt(0)
	v_mul_f64 v[6:7], v[32:33], v[6:7]
	v_fmac_f64_e32 v[4:5], s[4:5], v[6:7]
	s_andn2_b64 exec, exec, s[22:23]
	s_cbranch_execz .LBB117_11
.LBB117_3:                              ; =>This Inner Loop Header: Depth=1
	v_mov_b64_e32 v[6:7], 1.0
	s_and_b64 vcc, exec, s[24:25]
	v_mov_b64_e32 v[8:9], v[6:7]
	s_cbranch_vccz .LBB117_5
; %bb.4:                                ;   in Loop: Header=BB117_3 Depth=1
	v_lshl_add_u64 v[8:9], v[2:3], 3, s[6:7]
	global_load_dwordx2 v[8:9], v[8:9], off
.LBB117_5:                              ;   in Loop: Header=BB117_3 Depth=1
	v_lshlrev_b64 v[14:15], 3, v[2:3]
	v_lshl_add_u64 v[12:13], s[12:13], 0, v[14:15]
	v_lshl_add_u64 v[18:19], s[14:15], 0, v[14:15]
	global_load_dwordx2 v[10:11], v[12:13], off
	global_load_dwordx2 v[16:17], v[18:19], off
	s_and_b64 vcc, exec, s[2:3]
	s_cbranch_vccnz .LBB117_7
; %bb.6:                                ;   in Loop: Header=BB117_3 Depth=1
	v_lshl_add_u64 v[6:7], v[2:3], 3, s[26:27]
	global_load_dwordx2 v[6:7], v[6:7], off
.LBB117_7:                              ;   in Loop: Header=BB117_3 Depth=1
	s_nop 0
	global_load_dwordx2 v[20:21], v[12:13], off offset:8
	global_load_dwordx2 v[22:23], v[18:19], off offset:8
	v_mov_b64_e32 v[14:15], 1.0
	s_and_b64 vcc, exec, s[2:3]
	v_mov_b64_e32 v[26:27], v[14:15]
	s_cbranch_vccnz .LBB117_9
; %bb.8:                                ;   in Loop: Header=BB117_3 Depth=1
	v_lshl_add_u64 v[24:25], v[2:3], 3, s[28:29]
	global_load_dwordx2 v[26:27], v[24:25], off
.LBB117_9:                              ;   in Loop: Header=BB117_3 Depth=1
	s_nop 0
	global_load_dwordx2 v[24:25], v[12:13], off offset:16
	global_load_dwordx2 v[28:29], v[18:19], off offset:16
	s_and_b64 vcc, exec, s[2:3]
	s_cbranch_vccnz .LBB117_2
; %bb.10:                               ;   in Loop: Header=BB117_3 Depth=1
	v_lshl_add_u64 v[14:15], v[2:3], 3, s[30:31]
	global_load_dwordx2 v[14:15], v[14:15], off
	s_branch .LBB117_2
.LBB117_11:
	s_or_b64 exec, exec, s[22:23]
.LBB117_12:
	s_or_b64 exec, exec, s[20:21]
	v_cmp_gt_u32_e32 vcc, s33, v2
	s_and_saveexec_b64 s[20:21], vcc
	s_cbranch_execz .LBB117_19
; %bb.13:
	s_cmp_lg_u64 s[6:7], 0
	v_mov_b32_e32 v3, 0
	v_lshlrev_b64 v[8:9], 3, v[2:3]
	s_cselect_b64 s[2:3], -1, 0
	v_lshl_add_u64 v[10:11], s[18:19], 3, v[8:9]
	v_cndmask_b32_e64 v1, 0, 1, s[2:3]
	s_mov_b64 s[22:23], 0
	v_lshl_add_u64 v[6:7], s[6:7], 0, v[8:9]
	v_lshl_add_u64 v[8:9], s[10:11], 0, v[10:11]
	v_lshl_add_u64 v[10:11], s[8:9], 0, v[10:11]
	v_cmp_ne_u32_e64 s[2:3], 1, v1
	s_branch .LBB117_16
.LBB117_14:                             ;   in Loop: Header=BB117_16 Depth=1
	global_load_dwordx2 v[12:13], v[6:7], off
.LBB117_15:                             ;   in Loop: Header=BB117_16 Depth=1
	global_load_dwordx2 v[14:15], v[10:11], off
	global_load_dwordx2 v[16:17], v[8:9], off
	v_add_u32_e32 v2, 1, v2
	v_cmp_le_u32_e32 vcc, s33, v2
	v_lshl_add_u64 v[6:7], v[6:7], 0, 8
	v_lshl_add_u64 v[8:9], v[8:9], 0, 8
	s_or_b64 s[22:23], vcc, s[22:23]
	v_lshl_add_u64 v[10:11], v[10:11], 0, 8
	s_waitcnt vmcnt(1)
	v_mul_f64 v[12:13], v[12:13], v[14:15]
	s_waitcnt vmcnt(0)
	v_mul_f64 v[12:13], v[16:17], v[12:13]
	s_waitcnt lgkmcnt(0)
	v_fmac_f64_e32 v[4:5], s[4:5], v[12:13]
	s_andn2_b64 exec, exec, s[22:23]
	s_cbranch_execz .LBB117_18
.LBB117_16:                             ; =>This Inner Loop Header: Depth=1
	s_and_b64 vcc, exec, s[2:3]
	s_cbranch_vccz .LBB117_14
; %bb.17:                               ;   in Loop: Header=BB117_16 Depth=1
	v_mov_b64_e32 v[12:13], 1.0
	s_branch .LBB117_15
.LBB117_18:
	s_or_b64 exec, exec, s[22:23]
.LBB117_19:
	s_or_b64 exec, exec, s[20:21]
	v_mbcnt_lo_u32_b32 v1, -1, 0
	v_mbcnt_hi_u32_b32 v10, -1, v1
	v_and_b32_e32 v12, 63, v10
	v_cmp_gt_u32_e32 vcc, 32, v12
	v_and_b32_e32 v11, 63, v0
	s_waitcnt lgkmcnt(0)
	v_cndmask_b32_e64 v1, 0, 1, vcc
	v_lshlrev_b32_e32 v1, 5, v1
	v_add_lshl_u32 v1, v1, v10, 2
	ds_bpermute_b32 v2, v1, v4
	ds_bpermute_b32 v3, v1, v5
	v_cmp_gt_u32_e32 vcc, 48, v12
	s_barrier
	s_waitcnt lgkmcnt(0)
	v_cndmask_b32_e64 v6, 0, 1, vcc
	v_add_f64 v[2:3], v[4:5], v[2:3]
	v_lshlrev_b32_e32 v4, 4, v6
	v_add_lshl_u32 v6, v4, v10, 2
	ds_bpermute_b32 v4, v6, v2
	ds_bpermute_b32 v5, v6, v3
	v_cmp_gt_u32_e32 vcc, 56, v12
	s_waitcnt lgkmcnt(0)
	v_add_f64 v[2:3], v[2:3], v[4:5]
	v_cndmask_b32_e64 v4, 0, 1, vcc
	v_lshlrev_b32_e32 v4, 3, v4
	v_add_lshl_u32 v7, v4, v10, 2
	ds_bpermute_b32 v4, v7, v2
	ds_bpermute_b32 v5, v7, v3
	v_cmp_gt_u32_e32 vcc, 60, v12
	s_waitcnt lgkmcnt(0)
	v_add_f64 v[2:3], v[2:3], v[4:5]
	v_cndmask_b32_e64 v4, 0, 1, vcc
	;; [unrolled: 8-line block ×3, first 2 shown]
	v_lshlrev_b32_e32 v4, 1, v4
	v_add_lshl_u32 v9, v4, v10, 2
	ds_bpermute_b32 v4, v9, v2
	ds_bpermute_b32 v5, v9, v3
	v_cmp_ne_u32_e32 vcc, 63, v12
	s_waitcnt lgkmcnt(0)
	v_add_f64 v[2:3], v[2:3], v[4:5]
	v_addc_co_u32_e32 v4, vcc, 0, v10, vcc
	v_lshlrev_b32_e32 v10, 2, v4
	ds_bpermute_b32 v4, v10, v2
	ds_bpermute_b32 v5, v10, v3
	v_cmp_eq_u32_e32 vcc, 0, v11
	s_and_saveexec_b64 s[2:3], vcc
	s_cbranch_execz .LBB117_21
; %bb.20:
	v_lshrrev_b32_e32 v12, 3, v0
	v_add_u32_e32 v12, 0, v12
	s_waitcnt lgkmcnt(0)
	v_add_f64 v[2:3], v[2:3], v[4:5]
	ds_write_b64 v12, v[2:3]
.LBB117_21:
	s_or_b64 exec, exec, s[2:3]
	s_waitcnt lgkmcnt(0)
	s_barrier
	s_load_dword s8, s[0:1], 0x44
	v_mov_b64_e32 v[2:3], 0
	s_waitcnt lgkmcnt(0)
	s_bfe_u32 s2, s8, 0xa0006
	v_cmp_gt_u32_e32 vcc, s2, v0
	s_and_saveexec_b64 s[2:3], vcc
	s_cbranch_execnz .LBB117_32
; %bb.22:
	s_or_b64 exec, exec, s[2:3]
	v_cmp_gt_u32_e32 vcc, 64, v0
	s_and_saveexec_b64 s[2:3], vcc
	s_cbranch_execnz .LBB117_33
.LBB117_23:
	s_or_b64 exec, exec, s[2:3]
	v_cmp_eq_u32_e32 vcc, 0, v0
	s_and_saveexec_b64 s[2:3], vcc
	s_cbranch_execz .LBB117_25
.LBB117_24:
	v_mov_b32_e32 v1, 0
	s_waitcnt lgkmcnt(0)
	ds_write_b64 v1, v[2:3] offset:8
.LBB117_25:
	s_or_b64 exec, exec, s[2:3]
	v_cmp_gt_i32_e32 vcc, s33, v0
	s_waitcnt lgkmcnt(0)
	s_barrier
	s_and_saveexec_b64 s[2:3], vcc
	s_cbranch_execz .LBB117_31
; %bb.26:
	v_cvt_f64_i32_e32 v[2:3], s33
	v_div_scale_f64 v[6:7], s[2:3], v[2:3], v[2:3], 1.0
	v_rcp_f64_e32 v[8:9], v[6:7]
	s_load_dwordx2 s[0:1], s[0:1], 0x28
	s_and_b32 s10, s8, 0xffff
	v_mov_b32_e32 v1, 0
	v_fma_f64 v[10:11], -v[6:7], v[8:9], 1.0
	v_fmac_f64_e32 v[8:9], v[8:9], v[10:11]
	v_fma_f64 v[10:11], -v[6:7], v[8:9], 1.0
	v_fmac_f64_e32 v[8:9], v[8:9], v[10:11]
	v_div_scale_f64 v[10:11], vcc, 1.0, v[2:3], 1.0
	s_waitcnt lgkmcnt(0)
	s_add_u32 s2, s0, s16
	ds_read_b64 v[4:5], v1 offset:8
	v_mul_f64 v[12:13], v[10:11], v[8:9]
	s_addc_u32 s3, s1, s17
	v_fma_f64 v[6:7], -v[6:7], v[12:13], v[10:11]
	s_cmp_lg_u64 s[6:7], 0
	v_div_fmas_f64 v[6:7], v[6:7], v[8:9], v[12:13]
	s_cselect_b64 s[0:1], -1, 0
	v_div_fixup_f64 v[6:7], v[6:7], v[2:3], 1.0
	v_cndmask_b32_e64 v1, 0, 1, s[0:1]
	v_mul_f64 v[6:7], v[6:7], s[4:5]
	s_mov_b64 s[8:9], 0
	v_cmp_ne_u32_e64 s[0:1], 1, v1
	s_branch .LBB117_29
.LBB117_27:                             ;   in Loop: Header=BB117_29 Depth=1
	v_lshl_add_u64 v[12:13], v[0:1], 3, s[6:7]
	global_load_dwordx2 v[12:13], v[12:13], off
.LBB117_28:                             ;   in Loop: Header=BB117_29 Depth=1
	s_waitcnt vmcnt(1)
	v_mul_f64 v[8:9], s[4:5], v[8:9]
	s_waitcnt vmcnt(0)
	v_mul_f64 v[12:13], v[12:13], v[2:3]
	s_waitcnt lgkmcnt(0)
	v_mul_f64 v[8:9], v[4:5], v[8:9]
	v_fma_f64 v[8:9], v[10:11], v[12:13], -v[8:9]
	v_lshl_add_u64 v[10:11], v[0:1], 3, s[2:3]
	v_add_u32_e32 v0, s10, v0
	v_cmp_le_i32_e32 vcc, s33, v0
	v_mul_f64 v[8:9], v[6:7], v[8:9]
	s_or_b64 s[8:9], vcc, s[8:9]
	global_store_dwordx2 v[10:11], v[8:9], off
	s_andn2_b64 exec, exec, s[8:9]
	s_cbranch_execz .LBB117_31
.LBB117_29:                             ; =>This Inner Loop Header: Depth=1
	v_ashrrev_i32_e32 v1, 31, v0
	v_lshlrev_b64 v[10:11], 3, v[0:1]
	v_lshl_add_u64 v[8:9], s[12:13], 0, v[10:11]
	v_lshl_add_u64 v[10:11], s[14:15], 0, v[10:11]
	global_load_dwordx2 v[8:9], v[8:9], off
	s_and_b64 vcc, exec, s[0:1]
	global_load_dwordx2 v[10:11], v[10:11], off
	s_cbranch_vccz .LBB117_27
; %bb.30:                               ;   in Loop: Header=BB117_29 Depth=1
	v_mov_b64_e32 v[12:13], 1.0
	s_branch .LBB117_28
.LBB117_31:
	s_endpgm
.LBB117_32:
	v_lshl_add_u32 v2, v11, 3, 0
	ds_read_b64 v[2:3], v2
	s_or_b64 exec, exec, s[2:3]
	v_cmp_gt_u32_e32 vcc, 64, v0
	s_and_saveexec_b64 s[2:3], vcc
	s_cbranch_execz .LBB117_23
.LBB117_33:
	s_waitcnt lgkmcnt(0)
	ds_bpermute_b32 v4, v1, v2
	ds_bpermute_b32 v5, v1, v3
	s_waitcnt lgkmcnt(0)
	v_add_f64 v[2:3], v[2:3], v[4:5]
	ds_bpermute_b32 v4, v6, v2
	ds_bpermute_b32 v5, v6, v3
	s_waitcnt lgkmcnt(0)
	v_add_f64 v[2:3], v[2:3], v[4:5]
	ds_bpermute_b32 v4, v7, v2
	ds_bpermute_b32 v5, v7, v3
	s_waitcnt lgkmcnt(0)
	v_add_f64 v[2:3], v[2:3], v[4:5]
	ds_bpermute_b32 v4, v8, v2
	ds_bpermute_b32 v5, v8, v3
	s_waitcnt lgkmcnt(0)
	v_add_f64 v[2:3], v[2:3], v[4:5]
	ds_bpermute_b32 v4, v9, v2
	ds_bpermute_b32 v5, v9, v3
	s_waitcnt lgkmcnt(0)
	v_add_f64 v[2:3], v[2:3], v[4:5]
	ds_bpermute_b32 v4, v10, v2
	ds_bpermute_b32 v5, v10, v3
	s_waitcnt lgkmcnt(0)
	v_add_f64 v[2:3], v[2:3], v[4:5]
	s_or_b64 exec, exec, s[2:3]
	v_cmp_eq_u32_e32 vcc, 0, v0
	s_and_saveexec_b64 s[2:3], vcc
	s_cbranch_execnz .LBB117_24
	s_branch .LBB117_25
	.section	.rodata,"a",@progbits
	.p2align	6, 0x0
	.amdhsa_kernel _ZN2at6native12_GLOBAL__N_128layer_norm_grad_input_kernelIddLb1EEEvPKT_S5_PKT0_S8_S5_PS3_i
		.amdhsa_group_segment_fixed_size 0
		.amdhsa_private_segment_fixed_size 0
		.amdhsa_kernarg_size 312
		.amdhsa_user_sgpr_count 2
		.amdhsa_user_sgpr_dispatch_ptr 0
		.amdhsa_user_sgpr_queue_ptr 0
		.amdhsa_user_sgpr_kernarg_segment_ptr 1
		.amdhsa_user_sgpr_dispatch_id 0
		.amdhsa_user_sgpr_kernarg_preload_length 0
		.amdhsa_user_sgpr_kernarg_preload_offset 0
		.amdhsa_user_sgpr_private_segment_size 0
		.amdhsa_uses_dynamic_stack 0
		.amdhsa_enable_private_segment 0
		.amdhsa_system_sgpr_workgroup_id_x 1
		.amdhsa_system_sgpr_workgroup_id_y 0
		.amdhsa_system_sgpr_workgroup_id_z 0
		.amdhsa_system_sgpr_workgroup_info 0
		.amdhsa_system_vgpr_workitem_id 0
		.amdhsa_next_free_vgpr 34
		.amdhsa_next_free_sgpr 35
		.amdhsa_accum_offset 36
		.amdhsa_reserve_vcc 1
		.amdhsa_float_round_mode_32 0
		.amdhsa_float_round_mode_16_64 0
		.amdhsa_float_denorm_mode_32 3
		.amdhsa_float_denorm_mode_16_64 3
		.amdhsa_dx10_clamp 1
		.amdhsa_ieee_mode 1
		.amdhsa_fp16_overflow 0
		.amdhsa_tg_split 0
		.amdhsa_exception_fp_ieee_invalid_op 0
		.amdhsa_exception_fp_denorm_src 0
		.amdhsa_exception_fp_ieee_div_zero 0
		.amdhsa_exception_fp_ieee_overflow 0
		.amdhsa_exception_fp_ieee_underflow 0
		.amdhsa_exception_fp_ieee_inexact 0
		.amdhsa_exception_int_div_zero 0
	.end_amdhsa_kernel
	.section	.text._ZN2at6native12_GLOBAL__N_128layer_norm_grad_input_kernelIddLb1EEEvPKT_S5_PKT0_S8_S5_PS3_i,"axG",@progbits,_ZN2at6native12_GLOBAL__N_128layer_norm_grad_input_kernelIddLb1EEEvPKT_S5_PKT0_S8_S5_PS3_i,comdat
.Lfunc_end117:
	.size	_ZN2at6native12_GLOBAL__N_128layer_norm_grad_input_kernelIddLb1EEEvPKT_S5_PKT0_S8_S5_PS3_i, .Lfunc_end117-_ZN2at6native12_GLOBAL__N_128layer_norm_grad_input_kernelIddLb1EEEvPKT_S5_PKT0_S8_S5_PS3_i
                                        ; -- End function
	.section	.AMDGPU.csdata,"",@progbits
; Kernel info:
; codeLenInByte = 1792
; NumSgprs: 41
; NumVgprs: 34
; NumAgprs: 0
; TotalNumVgprs: 34
; ScratchSize: 0
; MemoryBound: 0
; FloatMode: 240
; IeeeMode: 1
; LDSByteSize: 0 bytes/workgroup (compile time only)
; SGPRBlocks: 5
; VGPRBlocks: 4
; NumSGPRsForWavesPerEU: 41
; NumVGPRsForWavesPerEU: 34
; AccumOffset: 36
; Occupancy: 8
; WaveLimiterHint : 0
; COMPUTE_PGM_RSRC2:SCRATCH_EN: 0
; COMPUTE_PGM_RSRC2:USER_SGPR: 2
; COMPUTE_PGM_RSRC2:TRAP_HANDLER: 0
; COMPUTE_PGM_RSRC2:TGID_X_EN: 1
; COMPUTE_PGM_RSRC2:TGID_Y_EN: 0
; COMPUTE_PGM_RSRC2:TGID_Z_EN: 0
; COMPUTE_PGM_RSRC2:TIDIG_COMP_CNT: 0
; COMPUTE_PGM_RSRC3_GFX90A:ACCUM_OFFSET: 8
; COMPUTE_PGM_RSRC3_GFX90A:TG_SPLIT: 0
	.section	.text._ZN2at6native12_GLOBAL__N_133GammaBetaBackwardSimpleCUDAKernelIddLb1EEEvllPKT_S5_PKT0_S8_PS3_S9_,"axG",@progbits,_ZN2at6native12_GLOBAL__N_133GammaBetaBackwardSimpleCUDAKernelIddLb1EEEvllPKT_S5_PKT0_S8_PS3_S9_,comdat
	.globl	_ZN2at6native12_GLOBAL__N_133GammaBetaBackwardSimpleCUDAKernelIddLb1EEEvllPKT_S5_PKT0_S8_PS3_S9_ ; -- Begin function _ZN2at6native12_GLOBAL__N_133GammaBetaBackwardSimpleCUDAKernelIddLb1EEEvllPKT_S5_PKT0_S8_PS3_S9_
	.p2align	8
	.type	_ZN2at6native12_GLOBAL__N_133GammaBetaBackwardSimpleCUDAKernelIddLb1EEEvllPKT_S5_PKT0_S8_PS3_S9_,@function
_ZN2at6native12_GLOBAL__N_133GammaBetaBackwardSimpleCUDAKernelIddLb1EEEvllPKT_S5_PKT0_S8_PS3_S9_: ; @_ZN2at6native12_GLOBAL__N_133GammaBetaBackwardSimpleCUDAKernelIddLb1EEEvllPKT_S5_PKT0_S8_PS3_S9_
; %bb.0:
	s_load_dword s3, s[0:1], 0x4c
	s_load_dwordx8 s[4:11], s[0:1], 0x0
	v_mov_b32_e32 v1, 0
	v_mov_b32_e32 v2, s2
	s_waitcnt lgkmcnt(0)
	s_and_b32 s3, s3, 0xffff
	v_mad_u64_u32 v[0:1], s[2:3], s3, v2, v[0:1]
	v_cmp_gt_i64_e32 vcc, s[6:7], v[0:1]
	s_and_saveexec_b64 s[2:3], vcc
	s_cbranch_execz .LBB118_9
; %bb.1:
	s_load_dwordx4 s[12:15], s[0:1], 0x28
	v_cmp_lt_i64_e64 s[0:1], s[4:5], 1
	s_and_b64 vcc, exec, s[0:1]
	s_cbranch_vccnz .LBB118_6
; %bb.2:
	s_waitcnt lgkmcnt(0)
	s_cmp_lg_u64 s[14:15], 0
	s_cselect_b64 s[0:1], -1, 0
	v_mov_b64_e32 v[6:7], 0
	v_cndmask_b32_e64 v2, 0, 1, s[0:1]
	v_lshlrev_b64 v[4:5], 3, v[0:1]
	s_lshl_b64 s[2:3], s[6:7], 3
	v_cmp_ne_u32_e64 s[0:1], 1, v2
	v_mov_b64_e32 v[2:3], v[6:7]
	s_branch .LBB118_4
.LBB118_3:                              ;   in Loop: Header=BB118_4 Depth=1
	s_add_u32 s4, s4, -1
	s_addc_u32 s5, s5, -1
	s_add_u32 s12, s12, 8
	s_addc_u32 s13, s13, 0
	v_add_f64 v[2:3], v[2:3], v[8:9]
	s_cmp_eq_u64 s[4:5], 0
	v_lshl_add_u64 v[4:5], v[4:5], 0, s[2:3]
	s_cbranch_scc1 .LBB118_7
.LBB118_4:                              ; =>This Inner Loop Header: Depth=1
	s_and_b64 vcc, exec, s[0:1]
	v_mov_b64_e32 v[8:9], v[6:7]
	s_cbranch_vccnz .LBB118_3
; %bb.5:                                ;   in Loop: Header=BB118_4 Depth=1
	v_lshl_add_u64 v[8:9], s[8:9], 0, v[4:5]
	v_lshl_add_u64 v[10:11], s[10:11], 0, v[4:5]
	global_load_dwordx2 v[8:9], v[8:9], off
	s_load_dwordx2 s[6:7], s[12:13], 0x0
	global_load_dwordx2 v[10:11], v[10:11], off
	s_waitcnt vmcnt(0)
	v_mul_f64 v[8:9], v[8:9], v[10:11]
	s_waitcnt lgkmcnt(0)
	v_mul_f64 v[8:9], v[8:9], s[6:7]
	s_branch .LBB118_3
.LBB118_6:
	v_mov_b64_e32 v[2:3], 0
.LBB118_7:
	s_waitcnt lgkmcnt(0)
	s_cmp_lg_u64 s[14:15], 0
	s_cbranch_scc0 .LBB118_9
; %bb.8:
	v_lshl_add_u64 v[0:1], v[0:1], 3, s[14:15]
	global_store_dwordx2 v[0:1], v[2:3], off
.LBB118_9:
	s_endpgm
	.section	.rodata,"a",@progbits
	.p2align	6, 0x0
	.amdhsa_kernel _ZN2at6native12_GLOBAL__N_133GammaBetaBackwardSimpleCUDAKernelIddLb1EEEvllPKT_S5_PKT0_S8_PS3_S9_
		.amdhsa_group_segment_fixed_size 0
		.amdhsa_private_segment_fixed_size 0
		.amdhsa_kernarg_size 320
		.amdhsa_user_sgpr_count 2
		.amdhsa_user_sgpr_dispatch_ptr 0
		.amdhsa_user_sgpr_queue_ptr 0
		.amdhsa_user_sgpr_kernarg_segment_ptr 1
		.amdhsa_user_sgpr_dispatch_id 0
		.amdhsa_user_sgpr_kernarg_preload_length 0
		.amdhsa_user_sgpr_kernarg_preload_offset 0
		.amdhsa_user_sgpr_private_segment_size 0
		.amdhsa_uses_dynamic_stack 0
		.amdhsa_enable_private_segment 0
		.amdhsa_system_sgpr_workgroup_id_x 1
		.amdhsa_system_sgpr_workgroup_id_y 0
		.amdhsa_system_sgpr_workgroup_id_z 0
		.amdhsa_system_sgpr_workgroup_info 0
		.amdhsa_system_vgpr_workitem_id 0
		.amdhsa_next_free_vgpr 12
		.amdhsa_next_free_sgpr 16
		.amdhsa_accum_offset 12
		.amdhsa_reserve_vcc 1
		.amdhsa_float_round_mode_32 0
		.amdhsa_float_round_mode_16_64 0
		.amdhsa_float_denorm_mode_32 3
		.amdhsa_float_denorm_mode_16_64 3
		.amdhsa_dx10_clamp 1
		.amdhsa_ieee_mode 1
		.amdhsa_fp16_overflow 0
		.amdhsa_tg_split 0
		.amdhsa_exception_fp_ieee_invalid_op 0
		.amdhsa_exception_fp_denorm_src 0
		.amdhsa_exception_fp_ieee_div_zero 0
		.amdhsa_exception_fp_ieee_overflow 0
		.amdhsa_exception_fp_ieee_underflow 0
		.amdhsa_exception_fp_ieee_inexact 0
		.amdhsa_exception_int_div_zero 0
	.end_amdhsa_kernel
	.section	.text._ZN2at6native12_GLOBAL__N_133GammaBetaBackwardSimpleCUDAKernelIddLb1EEEvllPKT_S5_PKT0_S8_PS3_S9_,"axG",@progbits,_ZN2at6native12_GLOBAL__N_133GammaBetaBackwardSimpleCUDAKernelIddLb1EEEvllPKT_S5_PKT0_S8_PS3_S9_,comdat
.Lfunc_end118:
	.size	_ZN2at6native12_GLOBAL__N_133GammaBetaBackwardSimpleCUDAKernelIddLb1EEEvllPKT_S5_PKT0_S8_PS3_S9_, .Lfunc_end118-_ZN2at6native12_GLOBAL__N_133GammaBetaBackwardSimpleCUDAKernelIddLb1EEEvllPKT_S5_PKT0_S8_PS3_S9_
                                        ; -- End function
	.section	.AMDGPU.csdata,"",@progbits
; Kernel info:
; codeLenInByte = 288
; NumSgprs: 22
; NumVgprs: 12
; NumAgprs: 0
; TotalNumVgprs: 12
; ScratchSize: 0
; MemoryBound: 1
; FloatMode: 240
; IeeeMode: 1
; LDSByteSize: 0 bytes/workgroup (compile time only)
; SGPRBlocks: 2
; VGPRBlocks: 1
; NumSGPRsForWavesPerEU: 22
; NumVGPRsForWavesPerEU: 12
; AccumOffset: 12
; Occupancy: 8
; WaveLimiterHint : 0
; COMPUTE_PGM_RSRC2:SCRATCH_EN: 0
; COMPUTE_PGM_RSRC2:USER_SGPR: 2
; COMPUTE_PGM_RSRC2:TRAP_HANDLER: 0
; COMPUTE_PGM_RSRC2:TGID_X_EN: 1
; COMPUTE_PGM_RSRC2:TGID_Y_EN: 0
; COMPUTE_PGM_RSRC2:TGID_Z_EN: 0
; COMPUTE_PGM_RSRC2:TIDIG_COMP_CNT: 0
; COMPUTE_PGM_RSRC3_GFX90A:ACCUM_OFFSET: 2
; COMPUTE_PGM_RSRC3_GFX90A:TG_SPLIT: 0
	.section	.text._ZN2at6native12_GLOBAL__N_135GammaBetaBackwardCUDAKernelTemplateIddLj64ELj1ELj32ELb1ELb1ELb1EEEvllPKT_S5_PKT0_S8_PS3_S9_,"axG",@progbits,_ZN2at6native12_GLOBAL__N_135GammaBetaBackwardCUDAKernelTemplateIddLj64ELj1ELj32ELb1ELb1ELb1EEEvllPKT_S5_PKT0_S8_PS3_S9_,comdat
	.globl	_ZN2at6native12_GLOBAL__N_135GammaBetaBackwardCUDAKernelTemplateIddLj64ELj1ELj32ELb1ELb1ELb1EEEvllPKT_S5_PKT0_S8_PS3_S9_ ; -- Begin function _ZN2at6native12_GLOBAL__N_135GammaBetaBackwardCUDAKernelTemplateIddLj64ELj1ELj32ELb1ELb1ELb1EEEvllPKT_S5_PKT0_S8_PS3_S9_
	.p2align	8
	.type	_ZN2at6native12_GLOBAL__N_135GammaBetaBackwardCUDAKernelTemplateIddLj64ELj1ELj32ELb1ELb1ELb1EEEvllPKT_S5_PKT0_S8_PS3_S9_,@function
_ZN2at6native12_GLOBAL__N_135GammaBetaBackwardCUDAKernelTemplateIddLj64ELj1ELj32ELb1ELb1ELb1EEEvllPKT_S5_PKT0_S8_PS3_S9_: ; @_ZN2at6native12_GLOBAL__N_135GammaBetaBackwardCUDAKernelTemplateIddLj64ELj1ELj32ELb1ELb1ELb1EEEvllPKT_S5_PKT0_S8_PS3_S9_
; %bb.0:
	s_load_dwordx4 s[8:11], s[0:1], 0x0
	s_load_dwordx2 s[16:17], s[0:1], 0x30
	s_lshl_b32 s18, s3, 5
	s_mov_b32 s19, 0
	s_mov_b32 s6, s3
	s_waitcnt lgkmcnt(0)
	v_mov_b64_e32 v[2:3], s[8:9]
	v_cmp_ge_i64_e32 vcc, s[18:19], v[2:3]
	v_mov_b64_e32 v[4:5], 0
	v_bfe_u32 v2, v0, 10, 10
	s_cbranch_vccnz .LBB119_7
; %bb.1:
	s_load_dword s3, s[0:1], 0x4c
	s_load_dword s7, s[0:1], 0x44
	s_load_dwordx4 s[12:15], s[0:1], 0x10
	s_load_dwordx2 s[22:23], s[0:1], 0x28
	v_and_b32_e32 v1, 0x3ff, v0
	s_waitcnt lgkmcnt(0)
	s_and_b32 s3, s3, 0xffff
	v_mad_u32_u24 v3, v2, s3, v1
	v_lshlrev_b32_e32 v6, 5, v2
	v_mov_b32_e32 v7, 0
	v_lshl_or_b32 v10, s2, 6, v1
	v_mbcnt_lo_u32_b32 v1, -1, 0
	v_and_b32_e32 v4, 63, v3
	v_mov_b32_e32 v5, v7
	v_mbcnt_hi_u32_b32 v1, -1, v1
	s_lshl_b32 s20, s7, 5
	v_lshl_add_u64 v[12:13], v[6:7], 0, s[18:19]
	v_cmp_gt_u32_e64 s[4:5], 32, v4
	v_mov_b32_e32 v11, v7
	v_lshlrev_b32_e32 v1, 2, v1
	v_lshl_add_u64 v[6:7], v[12:13], 0, v[4:5]
	v_mul_lo_u32 v14, s11, v12
	v_mul_lo_u32 v13, s10, v13
	v_mad_u64_u32 v[4:5], s[24:25], s10, v12, 0
	s_mul_i32 s3, s11, s20
	s_mul_hi_u32 s7, s10, s20
	v_and_b32_e32 v1, 0x100, v1
	s_mov_b32 s21, s19
	v_add3_u32 v5, v5, v13, v14
	v_lshlrev_b64 v[10:11], 3, v[10:11]
	s_add_i32 s25, s7, s3
	s_mul_i32 s24, s10, s20
	v_mov_b64_e32 v[12:13], 0
	v_or_b32_e32 v3, 4, v1
	v_or_b32_e32 v16, 8, v1
	;; [unrolled: 1-line block ×31, first 2 shown]
	v_lshl_add_u64 v[8:9], v[6:7], 3, s[22:23]
	s_lshl_b64 s[22:23], s[20:21], 3
	v_lshl_add_u64 v[10:11], v[4:5], 3, v[10:11]
	s_lshl_b64 s[24:25], s[24:25], 3
	s_lshl_b64 s[26:27], s[10:11], 3
	v_mov_b64_e32 v[4:5], v[12:13]
	s_branch .LBB119_4
.LBB119_2:                              ;   in Loop: Header=BB119_4 Depth=1
	s_or_b64 exec, exec, s[30:31]
.LBB119_3:                              ;   in Loop: Header=BB119_4 Depth=1
	s_or_b64 exec, exec, s[28:29]
	v_lshl_add_u64 v[46:47], s[12:13], 0, v[10:11]
	v_lshl_add_u64 v[50:51], s[14:15], 0, v[10:11]
	global_load_dwordx2 v[48:49], v[46:47], off
	global_load_dwordx2 v[52:53], v[50:51], off
	s_waitcnt vmcnt(2)
	ds_bpermute_b32 v54, v1, v14
	ds_bpermute_b32 v55, v1, v15
	v_lshl_add_u64 v[46:47], v[46:47], 0, s[26:27]
	v_lshl_add_u64 v[50:51], v[50:51], 0, s[26:27]
	s_add_u32 s18, s18, s20
	s_addc_u32 s19, s19, 0
	v_lshl_add_u64 v[8:9], v[8:9], 0, s[22:23]
	v_lshl_add_u64 v[6:7], v[6:7], 0, s[20:21]
	;; [unrolled: 1-line block ×3, first 2 shown]
	s_waitcnt vmcnt(0)
	v_mul_f64 v[48:49], v[48:49], v[52:53]
	global_load_dwordx2 v[52:53], v[46:47], off
	s_waitcnt lgkmcnt(0)
	v_fmac_f64_e32 v[4:5], v[48:49], v[54:55]
	global_load_dwordx2 v[48:49], v[50:51], off
	ds_bpermute_b32 v54, v3, v14
	ds_bpermute_b32 v55, v3, v15
	v_lshl_add_u64 v[46:47], v[46:47], 0, s[26:27]
	v_lshl_add_u64 v[50:51], v[50:51], 0, s[26:27]
	s_waitcnt vmcnt(0)
	v_mul_f64 v[48:49], v[52:53], v[48:49]
	global_load_dwordx2 v[52:53], v[46:47], off
	s_waitcnt lgkmcnt(0)
	v_fmac_f64_e32 v[4:5], v[48:49], v[54:55]
	global_load_dwordx2 v[48:49], v[50:51], off
	ds_bpermute_b32 v54, v16, v14
	ds_bpermute_b32 v55, v16, v15
	v_lshl_add_u64 v[46:47], v[46:47], 0, s[26:27]
	v_lshl_add_u64 v[50:51], v[50:51], 0, s[26:27]
	;; [unrolled: 10-line block ×29, first 2 shown]
	s_waitcnt vmcnt(0)
	v_mul_f64 v[48:49], v[52:53], v[48:49]
	global_load_dwordx2 v[52:53], v[46:47], off
	s_waitcnt lgkmcnt(0)
	v_fmac_f64_e32 v[4:5], v[48:49], v[54:55]
	global_load_dwordx2 v[54:55], v[50:51], off
	v_lshl_add_u64 v[46:47], v[46:47], 0, s[26:27]
	v_lshl_add_u64 v[50:51], v[50:51], 0, s[26:27]
	global_load_dwordx2 v[46:47], v[46:47], off
	ds_bpermute_b32 v48, v44, v14
	global_load_dwordx2 v[50:51], v[50:51], off
	ds_bpermute_b32 v49, v44, v15
	ds_bpermute_b32 v14, v45, v14
	;; [unrolled: 1-line block ×3, first 2 shown]
	s_waitcnt vmcnt(2)
	v_mul_f64 v[52:53], v[52:53], v[54:55]
	s_waitcnt lgkmcnt(2)
	v_fmac_f64_e32 v[4:5], v[52:53], v[48:49]
	s_waitcnt vmcnt(0)
	v_mul_f64 v[46:47], v[46:47], v[50:51]
	s_waitcnt lgkmcnt(0)
	v_fmac_f64_e32 v[4:5], v[46:47], v[14:15]
	v_mov_b64_e32 v[14:15], s[8:9]
	v_cmp_lt_i64_e32 vcc, s[18:19], v[14:15]
	s_cbranch_vccz .LBB119_7
.LBB119_4:                              ; =>This Inner Loop Header: Depth=1
	v_mov_b64_e32 v[14:15], v[12:13]
	s_and_saveexec_b64 s[28:29], s[4:5]
	s_cbranch_execz .LBB119_3
; %bb.5:                                ;   in Loop: Header=BB119_4 Depth=1
	v_cmp_gt_i64_e32 vcc, s[8:9], v[6:7]
	v_mov_b64_e32 v[14:15], 0
	s_and_saveexec_b64 s[30:31], vcc
	s_cbranch_execz .LBB119_2
; %bb.6:                                ;   in Loop: Header=BB119_4 Depth=1
	global_load_dwordx2 v[14:15], v[8:9], off
	s_branch .LBB119_2
.LBB119_7:
	s_cmp_eq_u64 s[16:17], 0
	s_cbranch_scc1 .LBB119_9
; %bb.8:
	s_load_dword s0, s[0:1], 0x4c
	v_mov_b32_e32 v3, 0
	v_mov_b32_e32 v1, s6
	s_mov_b32 s3, 0
	v_and_b32_e32 v0, 0x3ff, v0
	s_waitcnt lgkmcnt(0)
	s_lshr_b32 s0, s0, 16
	v_mad_u64_u32 v[6:7], s[0:1], s0, v1, v[2:3]
	v_mul_lo_u32 v1, v7, s10
	v_mul_lo_u32 v2, v6, s11
	v_mad_u64_u32 v[6:7], s[0:1], v6, s10, 0
	s_lshl_b64 s[0:1], s[2:3], 9
	s_add_u32 s0, s0, s16
	v_add3_u32 v7, v7, v2, v1
	s_addc_u32 s1, s1, s17
	v_lshl_add_u64 v[6:7], v[6:7], 3, s[0:1]
	v_lshlrev_b32_e32 v2, 3, v0
	v_lshl_add_u64 v[0:1], v[6:7], 0, v[2:3]
	global_store_dwordx2 v[0:1], v[4:5], off
.LBB119_9:
	s_endpgm
	.section	.rodata,"a",@progbits
	.p2align	6, 0x0
	.amdhsa_kernel _ZN2at6native12_GLOBAL__N_135GammaBetaBackwardCUDAKernelTemplateIddLj64ELj1ELj32ELb1ELb1ELb1EEEvllPKT_S5_PKT0_S8_PS3_S9_
		.amdhsa_group_segment_fixed_size 0
		.amdhsa_private_segment_fixed_size 0
		.amdhsa_kernarg_size 320
		.amdhsa_user_sgpr_count 2
		.amdhsa_user_sgpr_dispatch_ptr 0
		.amdhsa_user_sgpr_queue_ptr 0
		.amdhsa_user_sgpr_kernarg_segment_ptr 1
		.amdhsa_user_sgpr_dispatch_id 0
		.amdhsa_user_sgpr_kernarg_preload_length 0
		.amdhsa_user_sgpr_kernarg_preload_offset 0
		.amdhsa_user_sgpr_private_segment_size 0
		.amdhsa_uses_dynamic_stack 0
		.amdhsa_enable_private_segment 0
		.amdhsa_system_sgpr_workgroup_id_x 1
		.amdhsa_system_sgpr_workgroup_id_y 1
		.amdhsa_system_sgpr_workgroup_id_z 0
		.amdhsa_system_sgpr_workgroup_info 0
		.amdhsa_system_vgpr_workitem_id 1
		.amdhsa_next_free_vgpr 56
		.amdhsa_next_free_sgpr 32
		.amdhsa_accum_offset 56
		.amdhsa_reserve_vcc 1
		.amdhsa_float_round_mode_32 0
		.amdhsa_float_round_mode_16_64 0
		.amdhsa_float_denorm_mode_32 3
		.amdhsa_float_denorm_mode_16_64 3
		.amdhsa_dx10_clamp 1
		.amdhsa_ieee_mode 1
		.amdhsa_fp16_overflow 0
		.amdhsa_tg_split 0
		.amdhsa_exception_fp_ieee_invalid_op 0
		.amdhsa_exception_fp_denorm_src 0
		.amdhsa_exception_fp_ieee_div_zero 0
		.amdhsa_exception_fp_ieee_overflow 0
		.amdhsa_exception_fp_ieee_underflow 0
		.amdhsa_exception_fp_ieee_inexact 0
		.amdhsa_exception_int_div_zero 0
	.end_amdhsa_kernel
	.section	.text._ZN2at6native12_GLOBAL__N_135GammaBetaBackwardCUDAKernelTemplateIddLj64ELj1ELj32ELb1ELb1ELb1EEEvllPKT_S5_PKT0_S8_PS3_S9_,"axG",@progbits,_ZN2at6native12_GLOBAL__N_135GammaBetaBackwardCUDAKernelTemplateIddLj64ELj1ELj32ELb1ELb1ELb1EEEvllPKT_S5_PKT0_S8_PS3_S9_,comdat
.Lfunc_end119:
	.size	_ZN2at6native12_GLOBAL__N_135GammaBetaBackwardCUDAKernelTemplateIddLj64ELj1ELj32ELb1ELb1ELb1EEEvllPKT_S5_PKT0_S8_PS3_S9_, .Lfunc_end119-_ZN2at6native12_GLOBAL__N_135GammaBetaBackwardCUDAKernelTemplateIddLj64ELj1ELj32ELb1ELb1ELb1EEEvllPKT_S5_PKT0_S8_PS3_S9_
                                        ; -- End function
	.section	.AMDGPU.csdata,"",@progbits
; Kernel info:
; codeLenInByte = 2884
; NumSgprs: 38
; NumVgprs: 56
; NumAgprs: 0
; TotalNumVgprs: 56
; ScratchSize: 0
; MemoryBound: 0
; FloatMode: 240
; IeeeMode: 1
; LDSByteSize: 0 bytes/workgroup (compile time only)
; SGPRBlocks: 4
; VGPRBlocks: 6
; NumSGPRsForWavesPerEU: 38
; NumVGPRsForWavesPerEU: 56
; AccumOffset: 56
; Occupancy: 8
; WaveLimiterHint : 0
; COMPUTE_PGM_RSRC2:SCRATCH_EN: 0
; COMPUTE_PGM_RSRC2:USER_SGPR: 2
; COMPUTE_PGM_RSRC2:TRAP_HANDLER: 0
; COMPUTE_PGM_RSRC2:TGID_X_EN: 1
; COMPUTE_PGM_RSRC2:TGID_Y_EN: 1
; COMPUTE_PGM_RSRC2:TGID_Z_EN: 0
; COMPUTE_PGM_RSRC2:TIDIG_COMP_CNT: 1
; COMPUTE_PGM_RSRC3_GFX90A:ACCUM_OFFSET: 13
; COMPUTE_PGM_RSRC3_GFX90A:TG_SPLIT: 0
	.section	.text._ZN2at6native12_GLOBAL__N_135GammaBetaBackwardCUDAKernelTemplateIddLj64ELj1ELj32ELb1ELb0ELb1EEEvllPKT_S5_PKT0_S8_PS3_S9_,"axG",@progbits,_ZN2at6native12_GLOBAL__N_135GammaBetaBackwardCUDAKernelTemplateIddLj64ELj1ELj32ELb1ELb0ELb1EEEvllPKT_S5_PKT0_S8_PS3_S9_,comdat
	.globl	_ZN2at6native12_GLOBAL__N_135GammaBetaBackwardCUDAKernelTemplateIddLj64ELj1ELj32ELb1ELb0ELb1EEEvllPKT_S5_PKT0_S8_PS3_S9_ ; -- Begin function _ZN2at6native12_GLOBAL__N_135GammaBetaBackwardCUDAKernelTemplateIddLj64ELj1ELj32ELb1ELb0ELb1EEEvllPKT_S5_PKT0_S8_PS3_S9_
	.p2align	8
	.type	_ZN2at6native12_GLOBAL__N_135GammaBetaBackwardCUDAKernelTemplateIddLj64ELj1ELj32ELb1ELb0ELb1EEEvllPKT_S5_PKT0_S8_PS3_S9_,@function
_ZN2at6native12_GLOBAL__N_135GammaBetaBackwardCUDAKernelTemplateIddLj64ELj1ELj32ELb1ELb0ELb1EEEvllPKT_S5_PKT0_S8_PS3_S9_: ; @_ZN2at6native12_GLOBAL__N_135GammaBetaBackwardCUDAKernelTemplateIddLj64ELj1ELj32ELb1ELb0ELb1EEEvllPKT_S5_PKT0_S8_PS3_S9_
; %bb.0:
	s_load_dwordx8 s[12:19], s[0:1], 0x0
	s_load_dwordx2 s[10:11], s[0:1], 0x28
	s_mov_b32 s8, s3
	s_lshl_b32 s3, s2, 6
	v_mov_b32_e32 v85, v0
	s_or_b32 s20, s3, 63
	s_mov_b32 s21, 0
	s_waitcnt lgkmcnt(0)
	v_mov_b64_e32 v[0:1], s[14:15]
	v_cmp_ge_i64_e32 vcc, s[20:21], v[0:1]
	s_lshl_b32 s20, s8, 5
	v_mov_b64_e32 v[0:1], s[12:13]
	v_cmp_lt_i64_e64 s[4:5], s[20:21], v[0:1]
	s_nop 1
	v_cndmask_b32_e64 v0, 0, 1, s[4:5]
	v_cmp_ne_u32_e64 s[4:5], 1, v0
	s_cbranch_vccz .LBB120_145
; %bb.1:
	s_and_b64 vcc, exec, s[4:5]
	v_mov_b64_e32 v[6:7], 0
	s_cbranch_vccnz .LBB120_147
; %bb.2:
	v_mov_b32_e32 v1, 0
	v_bfe_u32 v2, v85, 10, 10
	v_lshlrev_b32_e32 v4, 5, v2
	v_mov_b32_e32 v5, v1
	v_accvgpr_write_b32 a1, v2
	v_lshl_add_u64 v[2:3], v[4:5], 0, s[20:21]
	v_lshl_add_u64 v[6:7], v[2:3], 0, 31
	v_mul_lo_u32 v8, s15, v6
	v_mul_lo_u32 v9, s14, v7
	v_mad_u64_u32 v[6:7], s[28:29], s14, v6, 0
	v_add3_u32 v7, v7, v9, v8
	v_lshlrev_b64 v[6:7], 3, v[6:7]
	v_lshl_add_u64 v[8:9], s[16:17], 0, v[6:7]
	v_lshl_add_u64 v[10:11], s[18:19], 0, v[6:7]
	v_lshl_add_u64 v[6:7], v[2:3], 0, 30
	v_mul_lo_u32 v12, s15, v6
	v_mul_lo_u32 v13, s14, v7
	v_mad_u64_u32 v[6:7], s[30:31], s14, v6, 0
	v_add3_u32 v7, v7, v13, v12
	v_lshlrev_b64 v[6:7], 3, v[6:7]
	v_lshl_add_u64 v[12:13], s[16:17], 0, v[6:7]
	v_lshl_add_u64 v[14:15], s[18:19], 0, v[6:7]
	v_lshl_add_u64 v[6:7], v[2:3], 0, 29
	v_mul_lo_u32 v16, s15, v6
	v_mul_lo_u32 v17, s14, v7
	v_mad_u64_u32 v[6:7], s[30:31], s14, v6, 0
	v_add3_u32 v7, v7, v17, v16
	v_lshlrev_b64 v[6:7], 3, v[6:7]
	v_lshl_add_u64 v[16:17], s[16:17], 0, v[6:7]
	v_lshl_add_u64 v[18:19], s[18:19], 0, v[6:7]
	v_lshl_add_u64 v[6:7], v[2:3], 0, 28
	v_mul_lo_u32 v20, s15, v6
	v_mul_lo_u32 v21, s14, v7
	v_mad_u64_u32 v[6:7], s[30:31], s14, v6, 0
	v_add3_u32 v7, v7, v21, v20
	v_lshlrev_b64 v[6:7], 3, v[6:7]
	v_lshl_add_u64 v[20:21], s[16:17], 0, v[6:7]
	v_lshl_add_u64 v[22:23], s[18:19], 0, v[6:7]
	v_lshl_add_u64 v[6:7], v[2:3], 0, 27
	v_mul_lo_u32 v24, s15, v6
	v_mul_lo_u32 v25, s14, v7
	v_mad_u64_u32 v[6:7], s[30:31], s14, v6, 0
	v_add3_u32 v7, v7, v25, v24
	v_lshlrev_b64 v[6:7], 3, v[6:7]
	v_lshl_add_u64 v[24:25], s[16:17], 0, v[6:7]
	v_lshl_add_u64 v[26:27], s[18:19], 0, v[6:7]
	v_lshl_add_u64 v[6:7], v[2:3], 0, 26
	v_mul_lo_u32 v28, s15, v6
	v_mul_lo_u32 v29, s14, v7
	v_mad_u64_u32 v[6:7], s[30:31], s14, v6, 0
	v_add3_u32 v7, v7, v29, v28
	v_lshlrev_b64 v[6:7], 3, v[6:7]
	v_lshl_add_u64 v[28:29], s[16:17], 0, v[6:7]
	v_lshl_add_u64 v[30:31], s[18:19], 0, v[6:7]
	v_lshl_add_u64 v[6:7], v[2:3], 0, 25
	v_mul_lo_u32 v32, s15, v6
	v_mul_lo_u32 v33, s14, v7
	v_mad_u64_u32 v[6:7], s[30:31], s14, v6, 0
	v_add3_u32 v7, v7, v33, v32
	v_lshlrev_b64 v[6:7], 3, v[6:7]
	v_lshl_add_u64 v[32:33], s[16:17], 0, v[6:7]
	v_lshl_add_u64 v[34:35], s[18:19], 0, v[6:7]
	v_lshl_add_u64 v[6:7], v[2:3], 0, 24
	v_mul_lo_u32 v36, s15, v6
	v_mul_lo_u32 v37, s14, v7
	v_mad_u64_u32 v[6:7], s[30:31], s14, v6, 0
	v_add3_u32 v7, v7, v37, v36
	v_lshlrev_b64 v[6:7], 3, v[6:7]
	v_lshl_add_u64 v[36:37], s[16:17], 0, v[6:7]
	v_lshl_add_u64 v[38:39], s[18:19], 0, v[6:7]
	v_lshl_add_u64 v[6:7], v[2:3], 0, 23
	v_mul_lo_u32 v40, s15, v6
	v_mul_lo_u32 v41, s14, v7
	v_mad_u64_u32 v[6:7], s[30:31], s14, v6, 0
	v_add3_u32 v7, v7, v41, v40
	v_lshlrev_b64 v[6:7], 3, v[6:7]
	v_lshl_add_u64 v[40:41], s[16:17], 0, v[6:7]
	v_lshl_add_u64 v[42:43], s[18:19], 0, v[6:7]
	v_lshl_add_u64 v[6:7], v[2:3], 0, 22
	v_mul_lo_u32 v44, s15, v6
	v_mul_lo_u32 v45, s14, v7
	v_mad_u64_u32 v[6:7], s[30:31], s14, v6, 0
	v_add3_u32 v7, v7, v45, v44
	v_lshlrev_b64 v[6:7], 3, v[6:7]
	v_lshl_add_u64 v[44:45], s[16:17], 0, v[6:7]
	v_lshl_add_u64 v[46:47], s[18:19], 0, v[6:7]
	v_lshl_add_u64 v[6:7], v[2:3], 0, 21
	v_mul_lo_u32 v48, s15, v6
	v_mul_lo_u32 v49, s14, v7
	v_mad_u64_u32 v[6:7], s[30:31], s14, v6, 0
	v_add3_u32 v7, v7, v49, v48
	v_lshlrev_b64 v[6:7], 3, v[6:7]
	v_lshl_add_u64 v[48:49], s[16:17], 0, v[6:7]
	v_lshl_add_u64 v[50:51], s[18:19], 0, v[6:7]
	v_lshl_add_u64 v[6:7], v[2:3], 0, 20
	v_mul_lo_u32 v52, s15, v6
	v_mul_lo_u32 v53, s14, v7
	v_mad_u64_u32 v[6:7], s[30:31], s14, v6, 0
	v_add3_u32 v7, v7, v53, v52
	v_lshlrev_b64 v[6:7], 3, v[6:7]
	v_lshl_add_u64 v[52:53], s[16:17], 0, v[6:7]
	v_lshl_add_u64 v[54:55], s[18:19], 0, v[6:7]
	v_lshl_add_u64 v[6:7], v[2:3], 0, 19
	v_mul_lo_u32 v56, s15, v6
	v_mul_lo_u32 v57, s14, v7
	v_mad_u64_u32 v[6:7], s[30:31], s14, v6, 0
	v_add3_u32 v7, v7, v57, v56
	v_lshlrev_b64 v[6:7], 3, v[6:7]
	v_lshl_add_u64 v[56:57], s[16:17], 0, v[6:7]
	v_lshl_add_u64 v[58:59], s[18:19], 0, v[6:7]
	v_lshl_add_u64 v[6:7], v[2:3], 0, 18
	v_mul_lo_u32 v60, s15, v6
	v_mul_lo_u32 v61, s14, v7
	v_mad_u64_u32 v[6:7], s[30:31], s14, v6, 0
	v_add3_u32 v7, v7, v61, v60
	v_lshlrev_b64 v[6:7], 3, v[6:7]
	v_lshl_add_u64 v[60:61], s[16:17], 0, v[6:7]
	v_lshl_add_u64 v[62:63], s[18:19], 0, v[6:7]
	v_lshl_add_u64 v[6:7], v[2:3], 0, 17
	v_mul_lo_u32 v64, s15, v6
	v_mul_lo_u32 v65, s14, v7
	v_mad_u64_u32 v[6:7], s[30:31], s14, v6, 0
	v_add3_u32 v7, v7, v65, v64
	v_lshlrev_b64 v[6:7], 3, v[6:7]
	v_lshl_add_u64 v[64:65], s[16:17], 0, v[6:7]
	v_lshl_add_u64 v[66:67], s[18:19], 0, v[6:7]
	v_lshl_add_u64 v[6:7], v[2:3], 0, 16
	v_mul_lo_u32 v68, s15, v6
	v_mul_lo_u32 v69, s14, v7
	v_mad_u64_u32 v[6:7], s[30:31], s14, v6, 0
	v_add3_u32 v7, v7, v69, v68
	v_lshlrev_b64 v[6:7], 3, v[6:7]
	v_lshl_add_u64 v[68:69], s[16:17], 0, v[6:7]
	v_lshl_add_u64 v[70:71], s[18:19], 0, v[6:7]
	v_lshl_add_u64 v[6:7], v[2:3], 0, 15
	v_mul_lo_u32 v72, s15, v6
	v_mul_lo_u32 v73, s14, v7
	v_mad_u64_u32 v[6:7], s[30:31], s14, v6, 0
	v_add3_u32 v7, v7, v73, v72
	v_lshlrev_b64 v[6:7], 3, v[6:7]
	v_lshl_add_u64 v[72:73], s[16:17], 0, v[6:7]
	v_lshl_add_u64 v[74:75], s[18:19], 0, v[6:7]
	v_lshl_add_u64 v[6:7], v[2:3], 0, 14
	v_mul_lo_u32 v76, s15, v6
	v_mul_lo_u32 v77, s14, v7
	v_mad_u64_u32 v[6:7], s[30:31], s14, v6, 0
	v_add3_u32 v7, v7, v77, v76
	v_lshlrev_b64 v[6:7], 3, v[6:7]
	v_lshl_add_u64 v[76:77], s[16:17], 0, v[6:7]
	v_lshl_add_u64 v[78:79], s[18:19], 0, v[6:7]
	v_lshl_add_u64 v[6:7], v[2:3], 0, 13
	v_mul_lo_u32 v80, s15, v6
	v_mul_lo_u32 v81, s14, v7
	v_mad_u64_u32 v[6:7], s[30:31], s14, v6, 0
	v_add3_u32 v7, v7, v81, v80
	v_lshlrev_b64 v[6:7], 3, v[6:7]
	v_lshl_add_u64 v[80:81], s[16:17], 0, v[6:7]
	v_lshl_add_u64 v[82:83], s[18:19], 0, v[6:7]
	v_lshl_add_u64 v[6:7], v[2:3], 0, 12
	v_and_b32_e32 v0, 0x3ff, v85
	v_mov_b32_e32 v159, v85
	v_mul_lo_u32 v84, s15, v6
	v_mul_lo_u32 v85, s14, v7
	v_mad_u64_u32 v[6:7], s[30:31], s14, v6, 0
	v_add3_u32 v7, v7, v85, v84
	v_lshlrev_b64 v[6:7], 3, v[6:7]
	v_lshl_add_u64 v[84:85], s[16:17], 0, v[6:7]
	v_lshl_add_u64 v[86:87], s[18:19], 0, v[6:7]
	v_lshl_add_u64 v[6:7], v[2:3], 0, 11
	v_mul_lo_u32 v88, s15, v6
	v_mul_lo_u32 v89, s14, v7
	v_mad_u64_u32 v[6:7], s[30:31], s14, v6, 0
	v_add3_u32 v7, v7, v89, v88
	v_lshlrev_b64 v[6:7], 3, v[6:7]
	v_lshl_add_u64 v[88:89], s[16:17], 0, v[6:7]
	v_lshl_add_u64 v[90:91], s[18:19], 0, v[6:7]
	v_lshl_add_u64 v[6:7], v[2:3], 0, 10
	;; [unrolled: 8-line block ×10, first 2 shown]
	v_mul_lo_u32 v124, s15, v6
	v_mul_lo_u32 v125, s14, v7
	v_mad_u64_u32 v[6:7], s[30:31], s14, v6, 0
	v_add3_u32 v7, v7, v125, v124
	s_load_dword s9, s[0:1], 0x44
	v_lshlrev_b64 v[6:7], 3, v[6:7]
	v_lshl_add_u64 v[124:125], s[16:17], 0, v[6:7]
	v_lshl_add_u64 v[126:127], s[18:19], 0, v[6:7]
	v_mov_b64_e32 v[6:7], s[14:15]
	v_mad_u64_u32 v[6:7], s[30:31], s14, v2, v[6:7]
	v_mul_lo_u32 v132, s14, v3
	v_mul_lo_u32 v133, s15, v2
	v_mad_u64_u32 v[2:3], s[30:31], s14, v2, 0
	v_add3_u32 v3, v3, v132, v133
	s_add_u32 s24, s0, 64
	v_lshlrev_b64 v[2:3], 3, v[2:3]
	s_addc_u32 s25, s1, 0
	s_waitcnt lgkmcnt(0)
	s_lshl_b32 s22, s9, 5
	v_add3_u32 v7, v133, v7, v132
	v_lshl_add_u64 v[132:133], s[16:17], 0, v[2:3]
	v_lshl_add_u64 v[134:135], s[18:19], 0, v[2:3]
	v_mbcnt_lo_u32_b32 v2, -1, 0
	s_mul_i32 s9, s15, s22
	s_mul_hi_u32 s28, s14, s22
	v_mbcnt_hi_u32_b32 v2, -1, v2
	v_accvgpr_write_b32 a0, v0
	v_add_u32_e32 v0, s3, v0
	s_add_i32 s29, s28, s9
	s_mul_i32 s28, s14, s22
	v_lshlrev_b64 v[6:7], 3, v[6:7]
	v_lshlrev_b32_e32 v2, 2, v2
	s_mov_b32 s23, 0
	v_cmp_gt_i64_e64 s[6:7], s[14:15], v[0:1]
	v_accvgpr_write_b32 a3, v1
	v_lshlrev_b64 v[0:1], 3, v[0:1]
	s_mov_b64 s[26:27], 31
	s_lshl_b64 s[28:29], s[28:29], 3
	v_lshl_add_u64 v[128:129], s[16:17], 0, v[6:7]
	v_lshl_add_u64 v[130:131], s[18:19], 0, v[6:7]
	v_mov_b64_e32 v[136:137], 0
	v_and_b32_e32 v158, 0x100, v2
	s_mov_b64 s[30:31], s[20:21]
.LBB120_3:                              ; =>This Inner Loop Header: Depth=1
	s_add_u32 s34, s20, s26
	s_addc_u32 s35, 0, s27
	v_mov_b64_e32 v[2:3], s[12:13]
	v_cmp_ge_i64_e32 vcc, s[34:35], v[2:3]
	v_lshl_add_u64 v[138:139], s[20:21], 0, v[4:5]
	s_cbranch_vccz .LBB120_73
; %bb.4:                                ;   in Loop: Header=BB120_3 Depth=1
	s_load_dword s9, s[24:25], 0xc
	v_accvgpr_read_b32 v2, a0
	v_accvgpr_read_b32 v3, a1
	v_mov_b64_e32 v[6:7], 0
	v_mov_b64_e32 v[140:141], v[6:7]
	s_waitcnt lgkmcnt(0)
	s_and_b32 s9, s9, 0xffff
	v_mad_u32_u24 v2, v3, s9, v2
	v_and_b32_e32 v2, 63, v2
	v_accvgpr_read_b32 v3, a3
	v_accvgpr_write_b32 a2, v2
	v_accvgpr_write_b32 a3, v3
	v_cmp_gt_u32_e32 vcc, 32, v2
	s_and_saveexec_b64 s[34:35], vcc
	s_cbranch_execz .LBB120_8
; %bb.5:                                ;   in Loop: Header=BB120_3 Depth=1
	v_accvgpr_read_b32 v2, a2
	v_accvgpr_read_b32 v3, a3
	v_lshl_add_u64 v[2:3], v[138:139], 0, v[2:3]
	v_cmp_gt_i64_e32 vcc, s[12:13], v[2:3]
	v_mov_b64_e32 v[140:141], 0
	s_and_saveexec_b64 s[36:37], vcc
	s_cbranch_execz .LBB120_7
; %bb.6:                                ;   in Loop: Header=BB120_3 Depth=1
	v_lshl_add_u64 v[2:3], v[2:3], 3, s[10:11]
	global_load_dwordx2 v[140:141], v[2:3], off
.LBB120_7:                              ;   in Loop: Header=BB120_3 Depth=1
	s_or_b64 exec, exec, s[36:37]
.LBB120_8:                              ;   in Loop: Header=BB120_3 Depth=1
	s_or_b64 exec, exec, s[34:35]
	v_cmp_gt_i64_e32 vcc, s[12:13], v[138:139]
	s_and_b64 s[36:37], s[6:7], vcc
	v_mov_b64_e32 v[156:157], v[6:7]
	s_and_saveexec_b64 s[34:35], s[36:37]
	s_cbranch_execz .LBB120_10
; %bb.9:                                ;   in Loop: Header=BB120_3 Depth=1
	v_lshl_add_u64 v[2:3], v[132:133], 0, v[0:1]
	global_load_dwordx2 v[6:7], v[2:3], off
	v_lshl_add_u64 v[2:3], v[134:135], 0, v[0:1]
	global_load_dwordx2 v[156:157], v[2:3], off
.LBB120_10:                             ;   in Loop: Header=BB120_3 Depth=1
	s_or_b64 exec, exec, s[34:35]
	v_lshl_add_u64 v[2:3], v[138:139], 0, 1
	v_mov_b64_e32 v[144:145], 0
	v_cmp_gt_i64_e32 vcc, s[12:13], v[2:3]
	v_accvgpr_write_b32 a8, v144
	s_and_b64 s[36:37], s[6:7], vcc
	v_mov_b64_e32 v[160:161], v[144:145]
	v_accvgpr_write_b32 a9, v145
	s_and_saveexec_b64 s[34:35], s[36:37]
	s_cbranch_execz .LBB120_12
; %bb.11:                               ;   in Loop: Header=BB120_3 Depth=1
	v_lshl_add_u64 v[2:3], v[128:129], 0, v[0:1]
	global_load_dwordx2 v[160:161], v[2:3], off
	v_lshl_add_u64 v[2:3], v[130:131], 0, v[0:1]
	global_load_dwordx2 a[8:9], v[2:3], off
.LBB120_12:                             ;   in Loop: Header=BB120_3 Depth=1
	s_or_b64 exec, exec, s[34:35]
	v_lshl_add_u64 v[2:3], v[138:139], 0, 2
	v_cmp_gt_i64_e32 vcc, s[12:13], v[2:3]
	s_and_b64 s[36:37], s[6:7], vcc
	v_mov_b64_e32 v[164:165], v[144:145]
	s_and_saveexec_b64 s[34:35], s[36:37]
	s_cbranch_execz .LBB120_14
; %bb.13:                               ;   in Loop: Header=BB120_3 Depth=1
	v_lshl_add_u64 v[2:3], v[124:125], 0, v[0:1]
	global_load_dwordx2 v[144:145], v[2:3], off
	v_lshl_add_u64 v[2:3], v[126:127], 0, v[0:1]
	global_load_dwordx2 v[164:165], v[2:3], off
.LBB120_14:                             ;   in Loop: Header=BB120_3 Depth=1
	s_or_b64 exec, exec, s[34:35]
	v_lshl_add_u64 v[2:3], v[138:139], 0, 3
	v_mov_b64_e32 v[152:153], 0
	v_cmp_gt_i64_e32 vcc, s[12:13], v[2:3]
	v_accvgpr_write_b32 a12, v152
	v_accvgpr_write_b32 a16, v152
	s_and_b64 s[36:37], s[6:7], vcc
	v_accvgpr_write_b32 a13, v153
	v_accvgpr_write_b32 a17, v153
	s_and_saveexec_b64 s[34:35], s[36:37]
	s_cbranch_execz .LBB120_16
; %bb.15:                               ;   in Loop: Header=BB120_3 Depth=1
	v_lshl_add_u64 v[2:3], v[120:121], 0, v[0:1]
	global_load_dwordx2 a[12:13], v[2:3], off
	v_lshl_add_u64 v[2:3], v[122:123], 0, v[0:1]
	global_load_dwordx2 a[16:17], v[2:3], off
.LBB120_16:                             ;   in Loop: Header=BB120_3 Depth=1
	s_or_b64 exec, exec, s[34:35]
	v_lshl_add_u64 v[2:3], v[138:139], 0, 4
	v_cmp_gt_i64_e32 vcc, s[12:13], v[2:3]
	v_accvgpr_write_b32 a14, v152
	s_and_b64 s[36:37], s[6:7], vcc
	v_accvgpr_write_b32 a15, v153
	s_and_saveexec_b64 s[34:35], s[36:37]
	s_cbranch_execz .LBB120_18
; %bb.17:                               ;   in Loop: Header=BB120_3 Depth=1
	v_lshl_add_u64 v[2:3], v[116:117], 0, v[0:1]
	global_load_dwordx2 v[152:153], v[2:3], off
	v_lshl_add_u64 v[2:3], v[118:119], 0, v[0:1]
	global_load_dwordx2 a[14:15], v[2:3], off
.LBB120_18:                             ;   in Loop: Header=BB120_3 Depth=1
	s_or_b64 exec, exec, s[34:35]
	v_lshl_add_u64 v[2:3], v[138:139], 0, 5
	v_mov_b64_e32 v[162:163], 0
	v_cmp_gt_i64_e32 vcc, s[12:13], v[2:3]
	v_accvgpr_write_b32 a18, v162
	s_and_b64 s[36:37], s[6:7], vcc
	v_accvgpr_write_b32 a19, v163
	v_mov_b64_e32 v[166:167], v[162:163]
	s_and_saveexec_b64 s[34:35], s[36:37]
	s_cbranch_execz .LBB120_20
; %bb.19:                               ;   in Loop: Header=BB120_3 Depth=1
	v_lshl_add_u64 v[2:3], v[112:113], 0, v[0:1]
	global_load_dwordx2 a[18:19], v[2:3], off
	v_lshl_add_u64 v[2:3], v[114:115], 0, v[0:1]
	global_load_dwordx2 v[166:167], v[2:3], off
.LBB120_20:                             ;   in Loop: Header=BB120_3 Depth=1
	s_or_b64 exec, exec, s[34:35]
	v_lshl_add_u64 v[2:3], v[138:139], 0, 6
	v_cmp_gt_i64_e32 vcc, s[12:13], v[2:3]
	s_and_b64 s[36:37], s[6:7], vcc
	v_mov_b64_e32 v[176:177], v[162:163]
	s_and_saveexec_b64 s[34:35], s[36:37]
	s_cbranch_execz .LBB120_22
; %bb.21:                               ;   in Loop: Header=BB120_3 Depth=1
	v_lshl_add_u64 v[2:3], v[108:109], 0, v[0:1]
	global_load_dwordx2 v[162:163], v[2:3], off
	v_lshl_add_u64 v[2:3], v[110:111], 0, v[0:1]
	global_load_dwordx2 v[176:177], v[2:3], off
.LBB120_22:                             ;   in Loop: Header=BB120_3 Depth=1
	s_or_b64 exec, exec, s[34:35]
	v_lshl_add_u64 v[2:3], v[138:139], 0, 7
	v_cmp_gt_i64_e32 vcc, s[12:13], v[2:3]
	v_mov_b64_e32 v[168:169], 0
	s_and_b64 s[36:37], s[6:7], vcc
	v_mov_b64_e32 v[170:171], v[168:169]
	v_mov_b64_e32 v[172:173], v[168:169]
	s_and_saveexec_b64 s[34:35], s[36:37]
	s_cbranch_execz .LBB120_24
; %bb.23:                               ;   in Loop: Header=BB120_3 Depth=1
	v_lshl_add_u64 v[2:3], v[104:105], 0, v[0:1]
	global_load_dwordx2 v[170:171], v[2:3], off
	v_lshl_add_u64 v[2:3], v[106:107], 0, v[0:1]
	global_load_dwordx2 v[172:173], v[2:3], off
.LBB120_24:                             ;   in Loop: Header=BB120_3 Depth=1
	s_or_b64 exec, exec, s[34:35]
	v_lshl_add_u64 v[2:3], v[138:139], 0, 8
	v_cmp_gt_i64_e32 vcc, s[12:13], v[2:3]
	s_and_b64 s[36:37], s[6:7], vcc
	v_mov_b64_e32 v[178:179], v[168:169]
	s_and_saveexec_b64 s[34:35], s[36:37]
	s_cbranch_execz .LBB120_26
; %bb.25:                               ;   in Loop: Header=BB120_3 Depth=1
	v_lshl_add_u64 v[2:3], v[100:101], 0, v[0:1]
	global_load_dwordx2 v[168:169], v[2:3], off
	v_lshl_add_u64 v[2:3], v[102:103], 0, v[0:1]
	global_load_dwordx2 v[178:179], v[2:3], off
.LBB120_26:                             ;   in Loop: Header=BB120_3 Depth=1
	s_or_b64 exec, exec, s[34:35]
	v_lshl_add_u64 v[2:3], v[138:139], 0, 9
	v_cmp_gt_i64_e32 vcc, s[12:13], v[2:3]
	v_mov_b64_e32 v[174:175], 0
	s_and_b64 s[36:37], s[6:7], vcc
	v_mov_b64_e32 v[180:181], v[174:175]
	;; [unrolled: 28-line block ×12, first 2 shown]
	v_mov_b64_e32 v[150:151], v[146:147]
	s_and_saveexec_b64 s[34:35], s[36:37]
	s_cbranch_execz .LBB120_68
; %bb.67:                               ;   in Loop: Header=BB120_3 Depth=1
	v_lshl_add_u64 v[142:143], v[16:17], 0, v[0:1]
	global_load_dwordx2 v[148:149], v[142:143], off
	v_lshl_add_u64 v[142:143], v[18:19], 0, v[0:1]
	global_load_dwordx2 v[150:151], v[142:143], off
.LBB120_68:                             ;   in Loop: Header=BB120_3 Depth=1
	s_or_b64 exec, exec, s[34:35]
	v_lshl_add_u64 v[142:143], v[138:139], 0, 30
	v_cmp_gt_i64_e32 vcc, s[12:13], v[142:143]
	s_and_b64 s[36:37], s[6:7], vcc
	v_mov_b64_e32 v[154:155], v[146:147]
	s_and_saveexec_b64 s[34:35], s[36:37]
	s_cbranch_execz .LBB120_70
; %bb.69:                               ;   in Loop: Header=BB120_3 Depth=1
	v_lshl_add_u64 v[142:143], v[12:13], 0, v[0:1]
	global_load_dwordx2 v[146:147], v[142:143], off
	v_lshl_add_u64 v[142:143], v[14:15], 0, v[0:1]
	global_load_dwordx2 v[154:155], v[142:143], off
.LBB120_70:                             ;   in Loop: Header=BB120_3 Depth=1
	s_or_b64 exec, exec, s[34:35]
	v_lshl_add_u64 v[142:143], v[138:139], 0, 31
	s_waitcnt vmcnt(0)
	v_accvgpr_write_b32 a10, v164
	v_accvgpr_write_b32 a6, v160
	v_cmp_gt_i64_e32 vcc, s[12:13], v[142:143]
	v_accvgpr_write_b32 a11, v165
	v_accvgpr_write_b32 a7, v161
	v_mov_b64_e32 v[160:161], v[156:157]
	s_and_b64 s[36:37], s[6:7], vcc
	v_mov_b64_e32 v[142:143], 0
	s_and_saveexec_b64 s[34:35], s[36:37]
	s_cbranch_execz .LBB120_72
; %bb.71:                               ;   in Loop: Header=BB120_3 Depth=1
	v_lshl_add_u64 v[142:143], v[8:9], 0, v[0:1]
	v_lshl_add_u64 v[156:157], v[10:11], 0, v[0:1]
	global_load_dwordx2 v[142:143], v[142:143], off
	s_nop 0
	global_load_dwordx2 v[156:157], v[156:157], off
	s_waitcnt vmcnt(0)
	v_mul_f64 v[142:143], v[142:143], v[156:157]
.LBB120_72:                             ;   in Loop: Header=BB120_3 Depth=1
	s_or_b64 exec, exec, s[34:35]
	ds_bpermute_b32 v156, v158, v140
	ds_bpermute_b32 v157, v158, v141
	v_mul_f64 v[6:7], v[6:7], v[160:161]
	v_accvgpr_read_b32 v161, a7
	v_accvgpr_read_b32 v165, a9
	;; [unrolled: 1-line block ×3, first 2 shown]
	s_waitcnt lgkmcnt(0)
	v_fma_f64 v[6:7], v[6:7], v[156:157], v[136:137]
	ds_bpermute_b32 v156, v158, v140 offset:4
	ds_bpermute_b32 v157, v158, v141 offset:4
	v_accvgpr_read_b32 v164, a8
	v_mul_f64 v[160:161], v[160:161], v[164:165]
	v_mul_f64 v[2:3], v[252:253], v[2:3]
	s_waitcnt lgkmcnt(0)
	v_fmac_f64_e32 v[6:7], v[160:161], v[156:157]
	ds_bpermute_b32 v156, v158, v140 offset:8
	ds_bpermute_b32 v157, v158, v141 offset:8
	v_accvgpr_read_b32 v161, a11
	v_accvgpr_read_b32 v160, a10
	v_mul_f64 v[144:145], v[144:145], v[160:161]
	v_accvgpr_read_b32 v161, a17
	s_waitcnt lgkmcnt(0)
	v_fmac_f64_e32 v[6:7], v[144:145], v[156:157]
	ds_bpermute_b32 v144, v158, v140 offset:12
	ds_bpermute_b32 v145, v158, v141 offset:12
	v_accvgpr_read_b32 v157, a13
	v_accvgpr_read_b32 v156, a12
	;; [unrolled: 1-line block ×3, first 2 shown]
	v_mul_f64 v[156:157], v[156:157], v[160:161]
	s_waitcnt lgkmcnt(0)
	v_fmac_f64_e32 v[6:7], v[156:157], v[144:145]
	ds_bpermute_b32 v144, v158, v140 offset:16
	ds_bpermute_b32 v145, v158, v141 offset:16
	v_accvgpr_read_b32 v157, a15
	v_accvgpr_read_b32 v156, a14
	v_mul_f64 v[152:153], v[152:153], v[156:157]
	s_waitcnt lgkmcnt(0)
	v_fmac_f64_e32 v[6:7], v[152:153], v[144:145]
	ds_bpermute_b32 v144, v158, v140 offset:20
	ds_bpermute_b32 v145, v158, v141 offset:20
	v_accvgpr_read_b32 v153, a19
	v_accvgpr_read_b32 v152, a18
	v_mul_f64 v[152:153], v[152:153], v[166:167]
	s_waitcnt lgkmcnt(0)
	v_fmac_f64_e32 v[6:7], v[152:153], v[144:145]
	ds_bpermute_b32 v144, v158, v140 offset:24
	ds_bpermute_b32 v145, v158, v141 offset:24
	v_mul_f64 v[152:153], v[162:163], v[176:177]
	s_waitcnt lgkmcnt(0)
	v_fmac_f64_e32 v[6:7], v[152:153], v[144:145]
	ds_bpermute_b32 v144, v158, v140 offset:28
	ds_bpermute_b32 v145, v158, v141 offset:28
	;; [unrolled: 5-line block ×22, first 2 shown]
	s_waitcnt lgkmcnt(0)
	v_fmac_f64_e32 v[6:7], v[2:3], v[144:145]
	ds_bpermute_b32 v2, v158, v140 offset:112
	ds_bpermute_b32 v3, v158, v141 offset:112
	v_mul_f64 v[144:145], v[246:247], v[254:255]
	s_waitcnt lgkmcnt(0)
	v_fmac_f64_e32 v[6:7], v[144:145], v[2:3]
	ds_bpermute_b32 v2, v158, v140 offset:116
	ds_bpermute_b32 v3, v158, v141 offset:116
	v_mul_f64 v[144:145], v[148:149], v[150:151]
	;; [unrolled: 5-line block ×3, first 2 shown]
	s_waitcnt lgkmcnt(0)
	v_fmac_f64_e32 v[6:7], v[144:145], v[2:3]
	ds_bpermute_b32 v2, v158, v140 offset:124
	ds_bpermute_b32 v3, v158, v141 offset:124
	s_branch .LBB120_143
.LBB120_73:                             ;   in Loop: Header=BB120_3 Depth=1
                                        ; implicit-def: $vgpr6_vgpr7
                                        ; implicit-def: $vgpr142_vgpr143
                                        ; implicit-def: $vgpr2
	s_cbranch_execz .LBB120_143
; %bb.74:                               ;   in Loop: Header=BB120_3 Depth=1
	s_load_dword s9, s[24:25], 0x0
	v_accvgpr_read_b32 v7, a3
	s_waitcnt lgkmcnt(0)
	v_accvgpr_read_b32 v3, a0
	v_accvgpr_read_b32 v6, a1
	v_mov_b64_e32 v[140:141], 0
	s_cmp_lt_u32 s2, s9
	s_cselect_b32 s9, 12, 18
	s_add_u32 s34, s24, s9
	s_addc_u32 s35, s25, 0
	global_load_ushort v2, v7, s[34:35]
	s_waitcnt vmcnt(0)
	v_mad_u32_u24 v2, v6, v2, v3
	v_and_b32_e32 v6, 63, v2
	v_accvgpr_write_b32 a2, v6
	v_accvgpr_write_b32 a3, v7
	v_cmp_gt_u32_e32 vcc, 32, v6
	v_mov_b64_e32 v[6:7], v[140:141]
	s_and_saveexec_b64 s[34:35], vcc
	s_cbranch_execz .LBB120_78
; %bb.75:                               ;   in Loop: Header=BB120_3 Depth=1
	v_accvgpr_read_b32 v2, a2
	v_accvgpr_read_b32 v3, a3
	v_lshl_add_u64 v[2:3], v[138:139], 0, v[2:3]
	v_cmp_gt_i64_e32 vcc, s[12:13], v[2:3]
	v_mov_b64_e32 v[6:7], 0
	s_and_saveexec_b64 s[36:37], vcc
	s_cbranch_execz .LBB120_77
; %bb.76:                               ;   in Loop: Header=BB120_3 Depth=1
	v_lshl_add_u64 v[2:3], v[2:3], 3, s[10:11]
	global_load_dwordx2 v[6:7], v[2:3], off
.LBB120_77:                             ;   in Loop: Header=BB120_3 Depth=1
	s_or_b64 exec, exec, s[36:37]
.LBB120_78:                             ;   in Loop: Header=BB120_3 Depth=1
	s_or_b64 exec, exec, s[34:35]
	v_mov_b64_e32 v[152:153], v[140:141]
	s_and_saveexec_b64 s[34:35], s[6:7]
	s_cbranch_execz .LBB120_80
; %bb.79:                               ;   in Loop: Header=BB120_3 Depth=1
	v_lshl_add_u64 v[2:3], v[132:133], 0, v[0:1]
	global_load_dwordx2 v[140:141], v[2:3], off
	v_lshl_add_u64 v[2:3], v[134:135], 0, v[0:1]
	global_load_dwordx2 v[152:153], v[2:3], off
.LBB120_80:                             ;   in Loop: Header=BB120_3 Depth=1
	s_or_b64 exec, exec, s[34:35]
	v_mov_b64_e32 v[138:139], 0
	v_accvgpr_write_b32 a6, v138
	v_mov_b64_e32 v[154:155], v[138:139]
	v_accvgpr_write_b32 a7, v139
	s_and_saveexec_b64 s[34:35], s[6:7]
	s_cbranch_execz .LBB120_82
; %bb.81:                               ;   in Loop: Header=BB120_3 Depth=1
	v_lshl_add_u64 v[2:3], v[128:129], 0, v[0:1]
	global_load_dwordx2 v[154:155], v[2:3], off
	v_lshl_add_u64 v[2:3], v[130:131], 0, v[0:1]
	global_load_dwordx2 a[6:7], v[2:3], off
.LBB120_82:                             ;   in Loop: Header=BB120_3 Depth=1
	s_or_b64 exec, exec, s[34:35]
	v_accvgpr_write_b32 a8, v138
	v_accvgpr_write_b32 a9, v139
	s_and_saveexec_b64 s[34:35], s[6:7]
	s_cbranch_execz .LBB120_84
; %bb.83:                               ;   in Loop: Header=BB120_3 Depth=1
	v_lshl_add_u64 v[2:3], v[124:125], 0, v[0:1]
	global_load_dwordx2 v[138:139], v[2:3], off
	v_lshl_add_u64 v[2:3], v[126:127], 0, v[0:1]
	global_load_dwordx2 a[8:9], v[2:3], off
.LBB120_84:                             ;   in Loop: Header=BB120_3 Depth=1
	s_or_b64 exec, exec, s[34:35]
	v_mov_b64_e32 v[144:145], 0
	v_accvgpr_write_b32 a12, v144
	v_accvgpr_write_b32 a13, v145
	v_mov_b64_e32 v[160:161], v[144:145]
	s_and_saveexec_b64 s[34:35], s[6:7]
	s_cbranch_execz .LBB120_86
; %bb.85:                               ;   in Loop: Header=BB120_3 Depth=1
	v_lshl_add_u64 v[2:3], v[120:121], 0, v[0:1]
	global_load_dwordx2 a[12:13], v[2:3], off
	v_lshl_add_u64 v[2:3], v[122:123], 0, v[0:1]
	global_load_dwordx2 v[160:161], v[2:3], off
.LBB120_86:                             ;   in Loop: Header=BB120_3 Depth=1
	s_or_b64 exec, exec, s[34:35]
	v_accvgpr_write_b32 a10, v144
	v_accvgpr_write_b32 a11, v145
	s_and_saveexec_b64 s[34:35], s[6:7]
	s_cbranch_execz .LBB120_88
; %bb.87:                               ;   in Loop: Header=BB120_3 Depth=1
	v_lshl_add_u64 v[2:3], v[116:117], 0, v[0:1]
	global_load_dwordx2 v[144:145], v[2:3], off
	v_lshl_add_u64 v[2:3], v[118:119], 0, v[0:1]
	global_load_dwordx2 a[10:11], v[2:3], off
.LBB120_88:                             ;   in Loop: Header=BB120_3 Depth=1
	s_or_b64 exec, exec, s[34:35]
	v_mov_b64_e32 v[156:157], 0
	v_mov_b64_e32 v[164:165], v[156:157]
	v_mov_b64_e32 v[168:169], v[156:157]
	s_and_saveexec_b64 s[34:35], s[6:7]
	s_cbranch_execz .LBB120_90
; %bb.89:                               ;   in Loop: Header=BB120_3 Depth=1
	v_lshl_add_u64 v[2:3], v[112:113], 0, v[0:1]
	global_load_dwordx2 v[164:165], v[2:3], off
	v_lshl_add_u64 v[2:3], v[114:115], 0, v[0:1]
	global_load_dwordx2 v[168:169], v[2:3], off
.LBB120_90:                             ;   in Loop: Header=BB120_3 Depth=1
	s_or_b64 exec, exec, s[34:35]
	v_mov_b64_e32 v[174:175], v[156:157]
	s_and_saveexec_b64 s[34:35], s[6:7]
	s_cbranch_execz .LBB120_92
; %bb.91:                               ;   in Loop: Header=BB120_3 Depth=1
	v_lshl_add_u64 v[2:3], v[108:109], 0, v[0:1]
	global_load_dwordx2 v[156:157], v[2:3], off
	v_lshl_add_u64 v[2:3], v[110:111], 0, v[0:1]
	global_load_dwordx2 v[174:175], v[2:3], off
.LBB120_92:                             ;   in Loop: Header=BB120_3 Depth=1
	s_or_b64 exec, exec, s[34:35]
	v_mov_b64_e32 v[162:163], 0
	v_mov_b64_e32 v[170:171], v[162:163]
	v_mov_b64_e32 v[172:173], v[162:163]
	s_and_saveexec_b64 s[34:35], s[6:7]
	s_cbranch_execz .LBB120_94
; %bb.93:                               ;   in Loop: Header=BB120_3 Depth=1
	v_lshl_add_u64 v[2:3], v[104:105], 0, v[0:1]
	global_load_dwordx2 v[170:171], v[2:3], off
	v_lshl_add_u64 v[2:3], v[106:107], 0, v[0:1]
	global_load_dwordx2 v[172:173], v[2:3], off
.LBB120_94:                             ;   in Loop: Header=BB120_3 Depth=1
	s_or_b64 exec, exec, s[34:35]
	v_mov_b64_e32 v[176:177], v[162:163]
	;; [unrolled: 22-line block ×3, first 2 shown]
	s_and_saveexec_b64 s[34:35], s[6:7]
	s_cbranch_execz .LBB120_100
; %bb.99:                               ;   in Loop: Header=BB120_3 Depth=1
	v_lshl_add_u64 v[2:3], v[92:93], 0, v[0:1]
	global_load_dwordx2 v[166:167], v[2:3], off
	v_lshl_add_u64 v[2:3], v[94:95], 0, v[0:1]
	global_load_dwordx2 v[178:179], v[2:3], off
.LBB120_100:                            ;   in Loop: Header=BB120_3 Depth=1
	s_or_b64 exec, exec, s[34:35]
	v_mov_b64_e32 v[180:181], 0
	v_mov_b64_e32 v[188:189], v[180:181]
	v_mov_b64_e32 v[192:193], v[180:181]
	s_and_saveexec_b64 s[34:35], s[6:7]
	s_cbranch_execz .LBB120_102
; %bb.101:                              ;   in Loop: Header=BB120_3 Depth=1
	v_lshl_add_u64 v[2:3], v[88:89], 0, v[0:1]
	global_load_dwordx2 v[188:189], v[2:3], off
	v_lshl_add_u64 v[2:3], v[90:91], 0, v[0:1]
	global_load_dwordx2 v[192:193], v[2:3], off
.LBB120_102:                            ;   in Loop: Header=BB120_3 Depth=1
	s_or_b64 exec, exec, s[34:35]
	v_mov_b64_e32 v[198:199], v[180:181]
	s_and_saveexec_b64 s[34:35], s[6:7]
	s_cbranch_execz .LBB120_104
; %bb.103:                              ;   in Loop: Header=BB120_3 Depth=1
	v_lshl_add_u64 v[2:3], v[84:85], 0, v[0:1]
	global_load_dwordx2 v[180:181], v[2:3], off
	v_lshl_add_u64 v[2:3], v[86:87], 0, v[0:1]
	global_load_dwordx2 v[198:199], v[2:3], off
.LBB120_104:                            ;   in Loop: Header=BB120_3 Depth=1
	s_or_b64 exec, exec, s[34:35]
	v_mov_b64_e32 v[186:187], 0
	v_mov_b64_e32 v[194:195], v[186:187]
	v_mov_b64_e32 v[196:197], v[186:187]
	s_and_saveexec_b64 s[34:35], s[6:7]
	s_cbranch_execz .LBB120_106
; %bb.105:                              ;   in Loop: Header=BB120_3 Depth=1
	v_lshl_add_u64 v[2:3], v[80:81], 0, v[0:1]
	global_load_dwordx2 v[194:195], v[2:3], off
	v_lshl_add_u64 v[2:3], v[82:83], 0, v[0:1]
	global_load_dwordx2 v[196:197], v[2:3], off
.LBB120_106:                            ;   in Loop: Header=BB120_3 Depth=1
	s_or_b64 exec, exec, s[34:35]
	v_mov_b64_e32 v[200:201], v[186:187]
	s_and_saveexec_b64 s[34:35], s[6:7]
	s_cbranch_execz .LBB120_108
; %bb.107:                              ;   in Loop: Header=BB120_3 Depth=1
	v_lshl_add_u64 v[2:3], v[76:77], 0, v[0:1]
	global_load_dwordx2 v[186:187], v[2:3], off
	v_lshl_add_u64 v[2:3], v[78:79], 0, v[0:1]
	global_load_dwordx2 v[200:201], v[2:3], off
.LBB120_108:                            ;   in Loop: Header=BB120_3 Depth=1
	;; [unrolled: 22-line block ×10, first 2 shown]
	s_or_b64 exec, exec, s[34:35]
	s_waitcnt vmcnt(1)
	v_accvgpr_write_b32 a4, v154
	v_accvgpr_write_b32 a5, v155
	v_mov_b64_e32 v[142:143], 0
	s_and_saveexec_b64 s[34:35], s[6:7]
	s_cbranch_execz .LBB120_142
; %bb.141:                              ;   in Loop: Header=BB120_3 Depth=1
	v_lshl_add_u64 v[142:143], v[8:9], 0, v[0:1]
	v_lshl_add_u64 v[154:155], v[10:11], 0, v[0:1]
	global_load_dwordx2 v[142:143], v[142:143], off
	s_nop 0
	global_load_dwordx2 v[154:155], v[154:155], off
	s_waitcnt vmcnt(0)
	v_mul_f64 v[142:143], v[142:143], v[154:155]
.LBB120_142:                            ;   in Loop: Header=BB120_3 Depth=1
	s_or_b64 exec, exec, s[34:35]
	s_waitcnt vmcnt(0)
	ds_bpermute_b32 v154, v158, v6
	ds_bpermute_b32 v155, v158, v7
	v_mul_f64 v[140:141], v[140:141], v[152:153]
	v_accvgpr_read_b32 v153, a7
	v_accvgpr_read_b32 v152, a6
	v_mul_f64 v[2:3], v[238:239], v[2:3]
	s_waitcnt lgkmcnt(0)
	v_fmac_f64_e32 v[136:137], v[140:141], v[154:155]
	ds_bpermute_b32 v140, v158, v6 offset:4
	ds_bpermute_b32 v141, v158, v7 offset:4
	v_accvgpr_read_b32 v155, a5
	v_accvgpr_read_b32 v154, a4
	v_mul_f64 v[154:155], v[154:155], v[152:153]
	v_accvgpr_read_b32 v153, a9
	s_waitcnt lgkmcnt(0)
	v_fmac_f64_e32 v[136:137], v[154:155], v[140:141]
	ds_bpermute_b32 v140, v158, v6 offset:8
	ds_bpermute_b32 v141, v158, v7 offset:8
	v_accvgpr_read_b32 v152, a8
	v_mul_f64 v[138:139], v[138:139], v[152:153]
	s_waitcnt lgkmcnt(0)
	v_fmac_f64_e32 v[136:137], v[138:139], v[140:141]
	ds_bpermute_b32 v138, v158, v6 offset:12
	ds_bpermute_b32 v139, v158, v7 offset:12
	v_accvgpr_read_b32 v141, a13
	v_accvgpr_read_b32 v140, a12
	v_mul_f64 v[140:141], v[140:141], v[160:161]
	s_waitcnt lgkmcnt(0)
	v_fmac_f64_e32 v[136:137], v[140:141], v[138:139]
	ds_bpermute_b32 v138, v158, v6 offset:16
	ds_bpermute_b32 v139, v158, v7 offset:16
	v_accvgpr_read_b32 v141, a11
	v_accvgpr_read_b32 v140, a10
	v_mul_f64 v[140:141], v[144:145], v[140:141]
	s_waitcnt lgkmcnt(0)
	v_fmac_f64_e32 v[136:137], v[140:141], v[138:139]
	ds_bpermute_b32 v138, v158, v6 offset:20
	ds_bpermute_b32 v139, v158, v7 offset:20
	v_mul_f64 v[140:141], v[164:165], v[168:169]
	s_waitcnt lgkmcnt(0)
	v_fmac_f64_e32 v[136:137], v[140:141], v[138:139]
	ds_bpermute_b32 v138, v158, v6 offset:24
	ds_bpermute_b32 v139, v158, v7 offset:24
	;; [unrolled: 5-line block ×24, first 2 shown]
	s_waitcnt lgkmcnt(0)
	v_fmac_f64_e32 v[136:137], v[2:3], v[138:139]
	ds_bpermute_b32 v2, v158, v6 offset:116
	ds_bpermute_b32 v3, v158, v7 offset:116
	v_mul_f64 v[138:139], v[146:147], v[148:149]
	s_waitcnt lgkmcnt(0)
	v_fmac_f64_e32 v[136:137], v[138:139], v[2:3]
	ds_bpermute_b32 v2, v158, v6 offset:120
	ds_bpermute_b32 v3, v158, v7 offset:120
	v_mul_f64 v[138:139], v[250:251], v[150:151]
	s_waitcnt lgkmcnt(0)
	v_fmac_f64_e32 v[136:137], v[138:139], v[2:3]
	ds_bpermute_b32 v2, v158, v6 offset:124
	ds_bpermute_b32 v3, v158, v7 offset:124
	v_mov_b64_e32 v[6:7], v[136:137]
.LBB120_143:                            ;   in Loop: Header=BB120_3 Depth=1
	s_add_u32 s30, s30, s22
	s_waitcnt lgkmcnt(0)
	v_fmac_f64_e32 v[6:7], v[142:143], v[2:3]
	s_addc_u32 s31, s31, 0
	v_mov_b64_e32 v[2:3], s[12:13]
	s_add_u32 s26, s26, s22
	v_cmp_lt_i64_e32 vcc, s[30:31], v[2:3]
	v_lshl_add_u64 v[8:9], v[8:9], 0, s[28:29]
	v_lshl_add_u64 v[10:11], v[10:11], 0, s[28:29]
	;; [unrolled: 1-line block ×65, first 2 shown]
	s_addc_u32 s27, s27, 0
	s_cbranch_vccz .LBB120_146
; %bb.144:                              ;   in Loop: Header=BB120_3 Depth=1
	v_mov_b64_e32 v[136:137], v[6:7]
	s_branch .LBB120_3
.LBB120_145:
                                        ; implicit-def: $vgpr6_vgpr7
	s_load_dwordx2 s[6:7], s[0:1], 0x30
	s_branch .LBB120_148
.LBB120_146:
	v_mov_b32_e32 v85, v159
.LBB120_147:
	s_load_dwordx2 s[6:7], s[0:1], 0x30
	s_cbranch_execnz .LBB120_228
.LBB120_148:
	s_and_b64 vcc, exec, s[4:5]
	v_mov_b64_e32 v[6:7], 0
	s_cbranch_vccnz .LBB120_228
; %bb.149:
	v_and_b32_e32 v0, 0x3ff, v85
	v_add_u32_e32 v130, s3, v0
	v_mov_b32_e32 v131, 0
	v_bfe_u32 v31, v85, 10, 10
	v_lshlrev_b64 v[4:5], 3, v[130:131]
	v_lshlrev_b32_e32 v130, 8, v31
	v_accvgpr_write_b32 a0, v0
	v_lshl_add_u64 v[0:1], s[20:21], 3, v[130:131]
	v_lshl_add_u64 v[6:7], v[0:1], 0, 8
	v_mov_b64_e32 v[2:3], s[16:17]
	v_lshl_add_u64 v[10:11], v[0:1], 0, 16
	v_lshl_add_u64 v[12:13], v[0:1], 0, 24
	;; [unrolled: 1-line block ×7, first 2 shown]
	v_mov_b64_e32 v[8:9], s[18:19]
	v_mad_u64_u32 v[90:91], s[4:5], s14, v6, v[2:3]
	v_mad_u64_u32 v[92:93], s[4:5], s14, v10, v[2:3]
	;; [unrolled: 1-line block ×9, first 2 shown]
	v_mul_lo_u32 v7, s14, v7
	v_mul_lo_u32 v24, s15, v6
	s_mov_b64 s[4:5], 0x48
	v_add3_u32 v91, v24, v91, v7
	v_add3_u32 v107, v24, v107, v7
	v_lshl_add_u64 v[6:7], v[0:1], 0, s[4:5]
	v_mad_u64_u32 v[110:111], s[4:5], s14, v12, v[8:9]
	v_mad_u64_u32 v[112:113], s[4:5], s14, v6, v[2:3]
	;; [unrolled: 1-line block ×3, first 2 shown]
	v_mul_lo_u32 v11, s14, v11
	v_mul_lo_u32 v25, s15, v10
	;; [unrolled: 1-line block ×4, first 2 shown]
	v_mad_u64_u32 v[108:109], s[22:23], s14, v10, v[8:9]
	s_mov_b64 s[4:5], 0x50
	v_add3_u32 v93, v25, v93, v11
	v_add3_u32 v95, v26, v95, v13
	v_mul_lo_u32 v21, s14, v21
	v_mul_lo_u32 v30, s15, v20
	v_add3_u32 v109, v25, v109, v11
	v_add3_u32 v111, v26, v111, v13
	v_lshl_add_u64 v[10:11], v[0:1], 0, s[4:5]
	v_mad_u64_u32 v[12:13], s[4:5], s14, v20, v[8:9]
	v_add3_u32 v13, v30, v13, v21
	v_accvgpr_write_b32 a37, v13
	v_mul_lo_u32 v23, s14, v23
	v_mul_lo_u32 v24, s15, v22
	v_accvgpr_write_b32 a36, v12
	v_mad_u64_u32 v[12:13], s[22:23], s14, v22, v[8:9]
	v_mad_u64_u32 v[118:119], s[4:5], s14, v18, v[8:9]
	;; [unrolled: 1-line block ×3, first 2 shown]
	v_add3_u32 v13, v24, v13, v23
	v_mul_lo_u32 v17, s14, v17
	v_mul_lo_u32 v28, s15, v16
	v_mad_u64_u32 v[116:117], s[22:23], s14, v16, v[8:9]
	s_mov_b64 s[4:5], 0x58
	v_accvgpr_write_b32 a39, v13
	v_mul_lo_u32 v27, s15, v14
	v_add3_u32 v99, v28, v99, v17
	v_mul_lo_u32 v7, s14, v7
	v_mul_lo_u32 v14, s15, v6
	v_add3_u32 v117, v28, v117, v17
	v_accvgpr_write_b32 a38, v12
	v_lshl_add_u64 v[12:13], v[0:1], 0, s[4:5]
	v_mad_u64_u32 v[16:17], s[4:5], s14, v6, v[8:9]
	v_mul_lo_u32 v15, s14, v15
	v_mul_lo_u32 v19, s14, v19
	v_mul_lo_u32 v29, s15, v18
	v_add3_u32 v17, v14, v17, v7
	v_add3_u32 v97, v27, v97, v15
	;; [unrolled: 1-line block ×5, first 2 shown]
	v_mul_lo_u32 v11, s14, v11
	v_mul_lo_u32 v15, s15, v10
	v_accvgpr_write_b32 a41, v17
	v_mad_u64_u32 v[18:19], s[4:5], s14, v10, v[8:9]
	v_add3_u32 v113, v14, v113, v7
	v_add3_u32 v121, v15, v121, v11
	v_accvgpr_write_b32 a40, v16
	v_mad_u64_u32 v[16:17], s[4:5], s14, v12, v[2:3]
	v_mul_lo_u32 v6, s14, v13
	v_add3_u32 v19, v15, v19, v11
	v_mul_lo_u32 v7, s15, v12
	v_mad_u64_u32 v[10:11], s[22:23], s14, v12, v[8:9]
	s_mov_b64 s[4:5], 0x60
	v_add3_u32 v11, v7, v11, v6
	v_add3_u32 v17, v7, v17, v6
	v_accvgpr_write_b32 a47, v11
	v_lshl_add_u64 v[6:7], v[0:1], 0, s[4:5]
	v_accvgpr_write_b32 a46, v10
	v_mul_lo_u32 v7, s14, v7
	v_mul_lo_u32 v10, s15, v6
	v_mad_u64_u32 v[12:13], s[4:5], s14, v6, v[2:3]
	v_add3_u32 v13, v10, v13, v7
	v_accvgpr_write_b32 a49, v13
	v_accvgpr_write_b32 a48, v12
	v_mad_u64_u32 v[12:13], s[4:5], s14, v6, v[8:9]
	v_add3_u32 v13, v10, v13, v7
	s_mov_b64 s[4:5], 0x68
	v_accvgpr_write_b32 a51, v13
	v_lshl_add_u64 v[6:7], v[0:1], 0, s[4:5]
	v_accvgpr_write_b32 a50, v12
	v_mul_lo_u32 v7, s14, v7
	v_mul_lo_u32 v10, s15, v6
	v_mad_u64_u32 v[12:13], s[4:5], s14, v6, v[2:3]
	v_add3_u32 v13, v10, v13, v7
	v_accvgpr_write_b32 a53, v13
	v_accvgpr_write_b32 a52, v12
	v_mad_u64_u32 v[12:13], s[4:5], s14, v6, v[8:9]
	v_add3_u32 v13, v10, v13, v7
	s_mov_b64 s[4:5], 0x70
	;; [unrolled: 12-line block ×17, first 2 shown]
	v_accvgpr_write_b32 a115, v13
	v_lshl_add_u64 v[6:7], v[0:1], 0, s[4:5]
	v_accvgpr_write_b32 a114, v12
	v_mul_lo_u32 v7, s14, v7
	v_mul_lo_u32 v10, s15, v6
	v_mad_u64_u32 v[12:13], s[4:5], s14, v6, v[2:3]
	v_add3_u32 v13, v10, v13, v7
	v_accvgpr_write_b32 a117, v13
	v_accvgpr_write_b32 a116, v12
	v_mad_u64_u32 v[12:13], s[4:5], s14, v6, v[8:9]
	s_mov_b64 s[4:5], 0xf0
	v_add3_u32 v13, v10, v13, v7
	v_lshl_add_u64 v[6:7], v[0:1], 0, s[4:5]
	v_mad_u64_u32 v[122:123], s[4:5], s14, v6, v[2:3]
	v_mad_u64_u32 v[124:125], s[4:5], s14, v6, v[8:9]
	s_mov_b64 s[4:5], 0xf8
	v_mul_lo_u32 v7, s14, v7
	v_mul_lo_u32 v10, s15, v6
	v_lshl_add_u64 v[0:1], v[0:1], 0, s[4:5]
	v_lshlrev_b32_e32 v130, 5, v31
	v_add3_u32 v123, v10, v123, v7
	v_add3_u32 v125, v10, v125, v7
	v_mad_u64_u32 v[126:127], s[4:5], s14, v0, v[2:3]
	v_mad_u64_u32 v[128:129], s[4:5], s14, v0, v[8:9]
	v_mul_lo_u32 v1, s14, v1
	v_mul_lo_u32 v0, s15, v0
	v_lshl_add_u64 v[6:7], v[130:131], 0, s[20:21]
	v_add3_u32 v127, v0, v127, v1
	v_add3_u32 v129, v0, v129, v1
	v_lshl_add_u64 v[0:1], v[6:7], 0, 31
	v_mul_lo_u32 v2, s15, v0
	v_mul_lo_u32 v3, s14, v1
	v_mad_u64_u32 v[0:1], s[4:5], s14, v0, 0
	v_add3_u32 v1, v1, v3, v2
	v_lshl_add_u64 v[2:3], v[6:7], 0, 30
	v_mul_lo_u32 v8, s15, v2
	v_mul_lo_u32 v9, s14, v3
	v_mad_u64_u32 v[2:3], s[4:5], s14, v2, 0
	;; [unrolled: 5-line block ×3, first 2 shown]
	v_accvgpr_write_b32 a119, v13
	v_add3_u32 v9, v9, v11, v10
	v_lshl_add_u64 v[10:11], v[6:7], 0, 28
	v_accvgpr_write_b32 a118, v12
	v_mul_lo_u32 v12, s15, v10
	v_mul_lo_u32 v13, s14, v11
	v_mad_u64_u32 v[10:11], s[4:5], s14, v10, 0
	v_add3_u32 v11, v11, v13, v12
	v_lshl_add_u64 v[12:13], v[6:7], 0, 27
	v_mul_lo_u32 v14, s15, v12
	v_mul_lo_u32 v15, s14, v13
	v_mad_u64_u32 v[12:13], s[4:5], s14, v12, 0
	v_accvgpr_write_b32 a43, v17
	v_add3_u32 v13, v13, v15, v14
	v_lshl_add_u64 v[14:15], v[6:7], 0, 26
	v_accvgpr_write_b32 a42, v16
	v_mul_lo_u32 v16, s15, v14
	v_mul_lo_u32 v17, s14, v15
	v_mad_u64_u32 v[14:15], s[4:5], s14, v14, 0
	v_accvgpr_write_b32 a45, v19
	v_add3_u32 v15, v15, v17, v16
	v_lshl_add_u64 v[16:17], v[6:7], 0, 25
	v_accvgpr_write_b32 a44, v18
	v_mul_lo_u32 v18, s15, v16
	v_mul_lo_u32 v19, s14, v17
	v_mad_u64_u32 v[16:17], s[4:5], s14, v16, 0
	v_add3_u32 v17, v17, v19, v18
	v_lshl_add_u64 v[18:19], v[6:7], 0, 24
	v_add3_u32 v103, v30, v103, v21
	v_mul_lo_u32 v20, s15, v18
	v_mul_lo_u32 v21, s14, v19
	v_mad_u64_u32 v[18:19], s[4:5], s14, v18, 0
	v_add3_u32 v19, v19, v21, v20
	v_lshl_add_u64 v[20:21], v[6:7], 0, 23
	v_add3_u32 v105, v24, v105, v23
	v_mul_lo_u32 v22, s15, v20
	v_mul_lo_u32 v23, s14, v21
	v_mad_u64_u32 v[20:21], s[4:5], s14, v20, 0
	v_add3_u32 v21, v21, v23, v22
	v_lshl_add_u64 v[22:23], v[6:7], 0, 22
	v_mul_lo_u32 v24, s15, v22
	v_mul_lo_u32 v25, s14, v23
	v_mad_u64_u32 v[22:23], s[4:5], s14, v22, 0
	v_add3_u32 v23, v23, v25, v24
	v_lshl_add_u64 v[24:25], v[6:7], 0, 21
	;; [unrolled: 5-line block ×4, first 2 shown]
	v_accvgpr_write_b32 a1, v31
	v_mul_lo_u32 v30, s15, v28
	v_mul_lo_u32 v31, s14, v29
	v_mad_u64_u32 v[28:29], s[4:5], s14, v28, 0
	v_add3_u32 v29, v29, v31, v30
	v_lshl_add_u64 v[30:31], v[6:7], 0, 18
	v_mul_lo_u32 v32, s15, v30
	v_mul_lo_u32 v33, s14, v31
	v_mad_u64_u32 v[30:31], s[4:5], s14, v30, 0
	v_add3_u32 v31, v31, v33, v32
	v_lshl_add_u64 v[32:33], v[6:7], 0, 17
	;; [unrolled: 5-line block ×6, first 2 shown]
	v_lshlrev_b64 v[0:1], 3, v[0:1]
	v_mul_lo_u32 v42, s15, v40
	v_mul_lo_u32 v43, s14, v41
	v_mad_u64_u32 v[40:41], s[4:5], s14, v40, 0
	v_lshl_add_u64 v[136:137], s[16:17], 0, v[0:1]
	v_lshl_add_u64 v[138:139], s[18:19], 0, v[0:1]
	v_lshlrev_b64 v[0:1], 3, v[2:3]
	v_add3_u32 v41, v41, v43, v42
	v_lshl_add_u64 v[42:43], v[6:7], 0, 12
	v_lshl_add_u64 v[140:141], s[16:17], 0, v[0:1]
	v_lshl_add_u64 v[142:143], s[18:19], 0, v[0:1]
	v_lshlrev_b64 v[0:1], 3, v[8:9]
	v_mul_lo_u32 v44, s15, v42
	v_mul_lo_u32 v45, s14, v43
	v_mad_u64_u32 v[42:43], s[4:5], s14, v42, 0
	v_lshl_add_u64 v[144:145], s[16:17], 0, v[0:1]
	v_lshl_add_u64 v[146:147], s[18:19], 0, v[0:1]
	v_lshlrev_b64 v[0:1], 3, v[10:11]
	v_add3_u32 v43, v43, v45, v44
	v_lshl_add_u64 v[44:45], v[6:7], 0, 11
	v_lshl_add_u64 v[148:149], s[16:17], 0, v[0:1]
	v_lshl_add_u64 v[150:151], s[18:19], 0, v[0:1]
	;; [unrolled: 11-line block ×11, first 2 shown]
	v_lshlrev_b64 v[0:1], 3, v[48:49]
	v_mul_lo_u32 v64, s15, v62
	v_mul_lo_u32 v65, s14, v63
	v_mad_u64_u32 v[62:63], s[4:5], s14, v62, 0
	s_load_dword s3, s[0:1], 0x44
	v_lshl_add_u64 v[224:225], s[16:17], 0, v[0:1]
	v_lshl_add_u64 v[226:227], s[18:19], 0, v[0:1]
	v_lshlrev_b64 v[0:1], 3, v[50:51]
	v_add3_u32 v63, v63, v65, v64
	v_mov_b64_e32 v[64:65], s[14:15]
	v_lshl_add_u64 v[228:229], s[16:17], 0, v[0:1]
	v_lshl_add_u64 v[230:231], s[18:19], 0, v[0:1]
	v_lshlrev_b64 v[0:1], 3, v[52:53]
	v_mad_u64_u32 v[64:65], s[4:5], s14, v6, v[64:65]
	v_mul_lo_u32 v66, s15, v6
	v_mul_lo_u32 v67, s14, v7
	v_mad_u64_u32 v[6:7], s[4:5], s14, v6, 0
	v_lshl_add_u64 v[232:233], s[16:17], 0, v[0:1]
	v_lshl_add_u64 v[234:235], s[18:19], 0, v[0:1]
	v_lshlrev_b64 v[0:1], 3, v[54:55]
	v_add3_u32 v7, v7, v67, v66
	v_lshl_add_u64 v[236:237], s[16:17], 0, v[0:1]
	v_lshl_add_u64 v[238:239], s[18:19], 0, v[0:1]
	v_lshlrev_b64 v[0:1], 3, v[56:57]
	s_add_u32 s22, s0, 64
	v_lshlrev_b64 v[6:7], 3, v[6:7]
	v_lshl_add_u64 v[240:241], s[16:17], 0, v[0:1]
	v_lshl_add_u64 v[242:243], s[18:19], 0, v[0:1]
	v_lshlrev_b64 v[0:1], 3, v[58:59]
	s_addc_u32 s23, s1, 0
	s_waitcnt lgkmcnt(0)
	s_lshl_b32 s4, s3, 5
	v_lshl_add_u64 v[132:133], s[16:17], 0, v[6:7]
	v_lshl_add_u64 v[134:135], s[18:19], 0, v[6:7]
	;; [unrolled: 1-line block ×4, first 2 shown]
	v_lshlrev_b64 v[0:1], 3, v[60:61]
	v_mbcnt_lo_u32_b32 v6, -1, 0
	v_add3_u32 v65, v66, v65, v67
	s_mul_i32 s3, s15, s4
	s_mul_hi_u32 s9, s14, s4
	v_lshl_add_u64 v[248:249], s[16:17], 0, v[0:1]
	v_lshl_add_u64 v[250:251], s[18:19], 0, v[0:1]
	v_lshlrev_b64 v[0:1], 3, v[62:63]
	v_mbcnt_hi_u32_b32 v6, -1, v6
	s_add_i32 s25, s9, s3
	s_mul_i32 s24, s14, s4
	v_lshl_add_u64 v[252:253], s[16:17], 0, v[0:1]
	v_lshl_add_u64 v[254:255], s[18:19], 0, v[0:1]
	v_lshlrev_b64 v[0:1], 3, v[64:65]
	v_lshlrev_b32_e32 v6, 2, v6
	v_accvgpr_write_b32 a3, v131
	s_mov_b32 s5, 0
	s_lshl_b64 s[24:25], s[24:25], 3
	s_mov_b64 s[26:27], 31
	v_lshl_add_u64 v[2:3], s[16:17], 0, v[0:1]
	v_lshl_add_u64 v[0:1], s[18:19], 0, v[0:1]
	v_and_b32_e32 v84, 0x100, v6
	s_mov_b64 s[16:17], s[20:21]
	v_mov_b64_e32 v[8:9], 0
.LBB120_150:                            ; =>This Inner Loop Header: Depth=1
	s_add_u32 s18, s20, s26
	s_addc_u32 s19, 0, s27
	v_mov_b64_e32 v[6:7], s[12:13]
	v_cmp_ge_i64_e32 vcc, s[18:19], v[6:7]
	v_lshl_add_u64 v[10:11], s[20:21], 0, v[130:131]
	s_cbranch_vccz .LBB120_220
; %bb.151:                              ;   in Loop: Header=BB120_150 Depth=1
	s_load_dword s3, s[22:23], 0xc
	v_accvgpr_read_b32 v12, a0
	v_accvgpr_read_b32 v13, a1
	v_mov_b64_e32 v[6:7], 0
	s_waitcnt lgkmcnt(0)
	s_and_b32 s3, s3, 0xffff
	v_mad_u32_u24 v12, v13, s3, v12
	v_and_b32_e32 v12, 63, v12
	v_accvgpr_read_b32 v13, a3
	v_accvgpr_write_b32 a2, v12
	v_accvgpr_write_b32 a3, v13
	v_cmp_gt_u32_e32 vcc, 32, v12
	v_mov_b64_e32 v[12:13], v[6:7]
	s_and_saveexec_b64 s[18:19], vcc
	s_cbranch_execz .LBB120_155
; %bb.152:                              ;   in Loop: Header=BB120_150 Depth=1
	v_accvgpr_read_b32 v13, a3
	v_accvgpr_read_b32 v12, a2
	v_lshl_add_u64 v[14:15], v[10:11], 0, v[12:13]
	v_cmp_gt_i64_e32 vcc, s[12:13], v[14:15]
	v_mov_b64_e32 v[12:13], 0
	s_and_saveexec_b64 s[28:29], vcc
	s_cbranch_execz .LBB120_154
; %bb.153:                              ;   in Loop: Header=BB120_150 Depth=1
	v_lshl_add_u64 v[12:13], v[14:15], 3, s[10:11]
	global_load_dwordx2 v[12:13], v[12:13], off
.LBB120_154:                            ;   in Loop: Header=BB120_150 Depth=1
	s_or_b64 exec, exec, s[28:29]
.LBB120_155:                            ;   in Loop: Header=BB120_150 Depth=1
	s_or_b64 exec, exec, s[18:19]
	v_cmp_gt_i64_e32 vcc, s[12:13], v[10:11]
	v_mov_b64_e32 v[80:81], v[6:7]
	s_and_saveexec_b64 s[18:19], vcc
	s_cbranch_execz .LBB120_157
; %bb.156:                              ;   in Loop: Header=BB120_150 Depth=1
	v_lshl_add_u64 v[6:7], v[132:133], 0, v[4:5]
	v_lshl_add_u64 v[14:15], v[134:135], 0, v[4:5]
	global_load_dwordx2 v[6:7], v[6:7], off
	s_nop 0
	global_load_dwordx2 v[80:81], v[14:15], off
.LBB120_157:                            ;   in Loop: Header=BB120_150 Depth=1
	s_or_b64 exec, exec, s[18:19]
	v_lshl_add_u64 v[14:15], v[10:11], 0, 1
	v_cmp_gt_i64_e32 vcc, s[12:13], v[14:15]
	v_mov_b64_e32 v[14:15], 0
	v_mov_b64_e32 v[86:87], v[14:15]
	v_mov_b64_e32 v[88:89], v[14:15]
	s_and_saveexec_b64 s[18:19], vcc
	s_cbranch_execz .LBB120_159
; %bb.158:                              ;   in Loop: Header=BB120_150 Depth=1
	v_lshl_add_u64 v[16:17], v[2:3], 0, v[4:5]
	global_load_dwordx2 v[86:87], v[16:17], off
	v_lshl_add_u64 v[16:17], v[0:1], 0, v[4:5]
	global_load_dwordx2 v[88:89], v[16:17], off
.LBB120_159:                            ;   in Loop: Header=BB120_150 Depth=1
	s_or_b64 exec, exec, s[18:19]
	v_lshl_add_u64 v[16:17], v[10:11], 0, 2
	v_cmp_gt_i64_e32 vcc, s[12:13], v[16:17]
	v_mov_b64_e32 v[44:45], v[14:15]
	s_and_saveexec_b64 s[18:19], vcc
	s_cbranch_execz .LBB120_161
; %bb.160:                              ;   in Loop: Header=BB120_150 Depth=1
	v_lshl_add_u64 v[14:15], v[252:253], 0, v[4:5]
	v_lshl_add_u64 v[16:17], v[254:255], 0, v[4:5]
	global_load_dwordx2 v[14:15], v[14:15], off
	s_nop 0
	global_load_dwordx2 v[44:45], v[16:17], off
.LBB120_161:                            ;   in Loop: Header=BB120_150 Depth=1
	s_or_b64 exec, exec, s[18:19]
	v_lshl_add_u64 v[16:17], v[10:11], 0, 3
	v_cmp_gt_i64_e32 vcc, s[12:13], v[16:17]
	v_mov_b64_e32 v[16:17], 0
	v_accvgpr_write_b32 a14, v16
	v_accvgpr_write_b32 a16, v16
	v_accvgpr_write_b32 a15, v17
	v_accvgpr_write_b32 a17, v17
	s_and_saveexec_b64 s[18:19], vcc
	s_cbranch_execz .LBB120_163
; %bb.162:                              ;   in Loop: Header=BB120_150 Depth=1
	v_lshl_add_u64 v[18:19], v[248:249], 0, v[4:5]
	global_load_dwordx2 a[14:15], v[18:19], off
	v_lshl_add_u64 v[18:19], v[250:251], 0, v[4:5]
	global_load_dwordx2 a[16:17], v[18:19], off
.LBB120_163:                            ;   in Loop: Header=BB120_150 Depth=1
	s_or_b64 exec, exec, s[18:19]
	v_lshl_add_u64 v[18:19], v[10:11], 0, 4
	v_accvgpr_write_b32 a12, v16
	v_cmp_gt_i64_e32 vcc, s[12:13], v[18:19]
	v_accvgpr_write_b32 a13, v17
	s_and_saveexec_b64 s[18:19], vcc
	s_cbranch_execz .LBB120_165
; %bb.164:                              ;   in Loop: Header=BB120_150 Depth=1
	v_lshl_add_u64 v[16:17], v[244:245], 0, v[4:5]
	v_lshl_add_u64 v[18:19], v[246:247], 0, v[4:5]
	global_load_dwordx2 v[16:17], v[16:17], off
	s_nop 0
	global_load_dwordx2 a[12:13], v[18:19], off
.LBB120_165:                            ;   in Loop: Header=BB120_150 Depth=1
	s_or_b64 exec, exec, s[18:19]
	v_lshl_add_u64 v[18:19], v[10:11], 0, 5
	v_cmp_gt_i64_e32 vcc, s[12:13], v[18:19]
	v_mov_b64_e32 v[18:19], 0
	v_accvgpr_write_b32 a18, v18
	v_accvgpr_write_b32 a21, v19
	v_accvgpr_write_b32 a19, v19
	v_accvgpr_write_b32 a20, v18
	s_and_saveexec_b64 s[18:19], vcc
	s_cbranch_execz .LBB120_167
; %bb.166:                              ;   in Loop: Header=BB120_150 Depth=1
	v_lshl_add_u64 v[20:21], v[240:241], 0, v[4:5]
	global_load_dwordx2 a[18:19], v[20:21], off
	v_lshl_add_u64 v[20:21], v[242:243], 0, v[4:5]
	global_load_dwordx2 a[20:21], v[20:21], off
.LBB120_167:                            ;   in Loop: Header=BB120_150 Depth=1
	s_or_b64 exec, exec, s[18:19]
	v_lshl_add_u64 v[20:21], v[10:11], 0, 6
	v_accvgpr_write_b32 a27, v19
	v_cmp_gt_i64_e32 vcc, s[12:13], v[20:21]
	v_accvgpr_write_b32 a26, v18
	s_and_saveexec_b64 s[18:19], vcc
	s_cbranch_execz .LBB120_169
; %bb.168:                              ;   in Loop: Header=BB120_150 Depth=1
	v_lshl_add_u64 v[18:19], v[236:237], 0, v[4:5]
	v_lshl_add_u64 v[20:21], v[238:239], 0, v[4:5]
	global_load_dwordx2 v[18:19], v[18:19], off
	s_nop 0
	global_load_dwordx2 a[26:27], v[20:21], off
.LBB120_169:                            ;   in Loop: Header=BB120_150 Depth=1
	s_or_b64 exec, exec, s[18:19]
	v_lshl_add_u64 v[20:21], v[10:11], 0, 7
	v_cmp_gt_i64_e32 vcc, s[12:13], v[20:21]
	v_mov_b64_e32 v[20:21], 0
	v_accvgpr_write_b32 a23, v21
	v_accvgpr_write_b32 a25, v21
	v_accvgpr_write_b32 a22, v20
	v_accvgpr_write_b32 a24, v20
	s_and_saveexec_b64 s[18:19], vcc
	s_cbranch_execz .LBB120_171
; %bb.170:                              ;   in Loop: Header=BB120_150 Depth=1
	v_lshl_add_u64 v[22:23], v[232:233], 0, v[4:5]
	global_load_dwordx2 a[22:23], v[22:23], off
	v_lshl_add_u64 v[22:23], v[234:235], 0, v[4:5]
	global_load_dwordx2 a[24:25], v[22:23], off
.LBB120_171:                            ;   in Loop: Header=BB120_150 Depth=1
	s_or_b64 exec, exec, s[18:19]
	v_lshl_add_u64 v[22:23], v[10:11], 0, 8
	v_accvgpr_write_b32 a29, v21
	v_cmp_gt_i64_e32 vcc, s[12:13], v[22:23]
	v_accvgpr_write_b32 a28, v20
	s_and_saveexec_b64 s[18:19], vcc
	s_cbranch_execz .LBB120_173
; %bb.172:                              ;   in Loop: Header=BB120_150 Depth=1
	v_lshl_add_u64 v[20:21], v[228:229], 0, v[4:5]
	v_lshl_add_u64 v[22:23], v[230:231], 0, v[4:5]
	global_load_dwordx2 v[20:21], v[20:21], off
	s_nop 0
	global_load_dwordx2 a[28:29], v[22:23], off
.LBB120_173:                            ;   in Loop: Header=BB120_150 Depth=1
	s_or_b64 exec, exec, s[18:19]
	v_lshl_add_u64 v[22:23], v[10:11], 0, 9
	v_cmp_gt_i64_e32 vcc, s[12:13], v[22:23]
	v_mov_b64_e32 v[22:23], 0
	v_accvgpr_write_b32 a33, v23
	v_accvgpr_write_b32 a35, v23
	v_accvgpr_write_b32 a32, v22
	v_accvgpr_write_b32 a34, v22
	s_and_saveexec_b64 s[18:19], vcc
	s_cbranch_execz .LBB120_175
; %bb.174:                              ;   in Loop: Header=BB120_150 Depth=1
	v_lshl_add_u64 v[24:25], v[224:225], 0, v[4:5]
	global_load_dwordx2 a[32:33], v[24:25], off
	v_lshl_add_u64 v[24:25], v[226:227], 0, v[4:5]
	global_load_dwordx2 a[34:35], v[24:25], off
.LBB120_175:                            ;   in Loop: Header=BB120_150 Depth=1
	s_or_b64 exec, exec, s[18:19]
	v_lshl_add_u64 v[24:25], v[10:11], 0, 10
	v_accvgpr_write_b32 a31, v23
	v_cmp_gt_i64_e32 vcc, s[12:13], v[24:25]
	v_accvgpr_write_b32 a30, v22
	s_and_saveexec_b64 s[18:19], vcc
	s_cbranch_execz .LBB120_177
; %bb.176:                              ;   in Loop: Header=BB120_150 Depth=1
	v_lshl_add_u64 v[22:23], v[220:221], 0, v[4:5]
	v_lshl_add_u64 v[24:25], v[222:223], 0, v[4:5]
	global_load_dwordx2 v[22:23], v[22:23], off
	s_nop 0
	global_load_dwordx2 a[30:31], v[24:25], off
.LBB120_177:                            ;   in Loop: Header=BB120_150 Depth=1
	s_or_b64 exec, exec, s[18:19]
	v_lshl_add_u64 v[24:25], v[10:11], 0, 11
	v_cmp_gt_i64_e32 vcc, s[12:13], v[24:25]
	v_mov_b64_e32 v[24:25], 0
	v_accvgpr_write_b32 a121, v25
	v_accvgpr_write_b32 a123, v25
	v_accvgpr_write_b32 a120, v24
	v_accvgpr_write_b32 a122, v24
	s_and_saveexec_b64 s[18:19], vcc
	s_cbranch_execz .LBB120_179
; %bb.178:                              ;   in Loop: Header=BB120_150 Depth=1
	v_lshl_add_u64 v[26:27], v[216:217], 0, v[4:5]
	global_load_dwordx2 a[120:121], v[26:27], off
	v_lshl_add_u64 v[26:27], v[218:219], 0, v[4:5]
	global_load_dwordx2 a[122:123], v[26:27], off
.LBB120_179:                            ;   in Loop: Header=BB120_150 Depth=1
	s_or_b64 exec, exec, s[18:19]
	v_lshl_add_u64 v[26:27], v[10:11], 0, 12
	v_accvgpr_write_b32 a129, v25
	v_cmp_gt_i64_e32 vcc, s[12:13], v[26:27]
	v_accvgpr_write_b32 a128, v24
	s_and_saveexec_b64 s[18:19], vcc
	s_cbranch_execz .LBB120_181
; %bb.180:                              ;   in Loop: Header=BB120_150 Depth=1
	v_lshl_add_u64 v[24:25], v[212:213], 0, v[4:5]
	v_lshl_add_u64 v[26:27], v[214:215], 0, v[4:5]
	global_load_dwordx2 v[24:25], v[24:25], off
	s_nop 0
	global_load_dwordx2 a[128:129], v[26:27], off
.LBB120_181:                            ;   in Loop: Header=BB120_150 Depth=1
	s_or_b64 exec, exec, s[18:19]
	v_lshl_add_u64 v[26:27], v[10:11], 0, 13
	v_cmp_gt_i64_e32 vcc, s[12:13], v[26:27]
	v_mov_b64_e32 v[26:27], 0
	v_accvgpr_write_b32 a125, v27
	v_accvgpr_write_b32 a127, v27
	v_accvgpr_write_b32 a124, v26
	v_accvgpr_write_b32 a126, v26
	s_and_saveexec_b64 s[18:19], vcc
	s_cbranch_execz .LBB120_183
; %bb.182:                              ;   in Loop: Header=BB120_150 Depth=1
	v_lshl_add_u64 v[28:29], v[208:209], 0, v[4:5]
	global_load_dwordx2 a[124:125], v[28:29], off
	v_lshl_add_u64 v[28:29], v[210:211], 0, v[4:5]
	global_load_dwordx2 a[126:127], v[28:29], off
.LBB120_183:                            ;   in Loop: Header=BB120_150 Depth=1
	s_or_b64 exec, exec, s[18:19]
	v_lshl_add_u64 v[28:29], v[10:11], 0, 14
	v_accvgpr_write_b32 a131, v27
	v_cmp_gt_i64_e32 vcc, s[12:13], v[28:29]
	v_accvgpr_write_b32 a130, v26
	s_and_saveexec_b64 s[18:19], vcc
	s_cbranch_execz .LBB120_185
; %bb.184:                              ;   in Loop: Header=BB120_150 Depth=1
	v_lshl_add_u64 v[26:27], v[204:205], 0, v[4:5]
	v_lshl_add_u64 v[28:29], v[206:207], 0, v[4:5]
	global_load_dwordx2 v[26:27], v[26:27], off
	s_nop 0
	global_load_dwordx2 a[130:131], v[28:29], off
.LBB120_185:                            ;   in Loop: Header=BB120_150 Depth=1
	s_or_b64 exec, exec, s[18:19]
	v_lshl_add_u64 v[28:29], v[10:11], 0, 15
	v_cmp_gt_i64_e32 vcc, s[12:13], v[28:29]
	v_mov_b64_e32 v[28:29], 0
	v_accvgpr_write_b32 a135, v29
	v_accvgpr_write_b32 a137, v29
	v_accvgpr_write_b32 a134, v28
	v_accvgpr_write_b32 a136, v28
	s_and_saveexec_b64 s[18:19], vcc
	s_cbranch_execz .LBB120_187
; %bb.186:                              ;   in Loop: Header=BB120_150 Depth=1
	v_lshl_add_u64 v[30:31], v[200:201], 0, v[4:5]
	global_load_dwordx2 a[134:135], v[30:31], off
	v_lshl_add_u64 v[30:31], v[202:203], 0, v[4:5]
	global_load_dwordx2 a[136:137], v[30:31], off
.LBB120_187:                            ;   in Loop: Header=BB120_150 Depth=1
	s_or_b64 exec, exec, s[18:19]
	v_lshl_add_u64 v[30:31], v[10:11], 0, 16
	v_accvgpr_write_b32 a133, v29
	v_cmp_gt_i64_e32 vcc, s[12:13], v[30:31]
	v_accvgpr_write_b32 a132, v28
	s_and_saveexec_b64 s[18:19], vcc
	s_cbranch_execz .LBB120_189
; %bb.188:                              ;   in Loop: Header=BB120_150 Depth=1
	v_lshl_add_u64 v[28:29], v[196:197], 0, v[4:5]
	v_lshl_add_u64 v[30:31], v[198:199], 0, v[4:5]
	global_load_dwordx2 v[28:29], v[28:29], off
	s_nop 0
	global_load_dwordx2 a[132:133], v[30:31], off
.LBB120_189:                            ;   in Loop: Header=BB120_150 Depth=1
	s_or_b64 exec, exec, s[18:19]
	v_mov_b64_e32 v[36:37], 0
	v_lshl_add_u64 v[30:31], v[10:11], 0, 17
	v_accvgpr_write_b32 a139, v37
	v_accvgpr_write_b32 a141, v37
	v_cmp_gt_i64_e32 vcc, s[12:13], v[30:31]
	v_accvgpr_write_b32 a138, v36
	v_accvgpr_write_b32 a140, v36
	s_and_saveexec_b64 s[18:19], vcc
	s_cbranch_execz .LBB120_191
; %bb.190:                              ;   in Loop: Header=BB120_150 Depth=1
	v_lshl_add_u64 v[30:31], v[192:193], 0, v[4:5]
	global_load_dwordx2 a[138:139], v[30:31], off
	v_lshl_add_u64 v[30:31], v[194:195], 0, v[4:5]
	global_load_dwordx2 a[140:141], v[30:31], off
.LBB120_191:                            ;   in Loop: Header=BB120_150 Depth=1
	s_or_b64 exec, exec, s[18:19]
	v_lshl_add_u64 v[30:31], v[10:11], 0, 18
	v_cmp_gt_i64_e32 vcc, s[12:13], v[30:31]
	v_mov_b64_e32 v[50:51], v[36:37]
	s_and_saveexec_b64 s[18:19], vcc
	s_cbranch_execz .LBB120_193
; %bb.192:                              ;   in Loop: Header=BB120_150 Depth=1
	v_lshl_add_u64 v[30:31], v[188:189], 0, v[4:5]
	global_load_dwordx2 v[36:37], v[30:31], off
	v_lshl_add_u64 v[30:31], v[190:191], 0, v[4:5]
	global_load_dwordx2 v[50:51], v[30:31], off
.LBB120_193:                            ;   in Loop: Header=BB120_150 Depth=1
	s_or_b64 exec, exec, s[18:19]
	v_mov_b64_e32 v[40:41], 0
	v_lshl_add_u64 v[30:31], v[10:11], 0, 19
	v_accvgpr_write_b32 a143, v41
	v_cmp_gt_i64_e32 vcc, s[12:13], v[30:31]
	v_accvgpr_write_b32 a142, v40
	v_mov_b64_e32 v[48:49], v[40:41]
	s_and_saveexec_b64 s[18:19], vcc
	s_cbranch_execz .LBB120_195
; %bb.194:                              ;   in Loop: Header=BB120_150 Depth=1
	v_lshl_add_u64 v[30:31], v[184:185], 0, v[4:5]
	global_load_dwordx2 a[142:143], v[30:31], off
	v_lshl_add_u64 v[30:31], v[186:187], 0, v[4:5]
	global_load_dwordx2 v[48:49], v[30:31], off
.LBB120_195:                            ;   in Loop: Header=BB120_150 Depth=1
	s_or_b64 exec, exec, s[18:19]
	v_lshl_add_u64 v[30:31], v[10:11], 0, 20
	v_cmp_gt_i64_e32 vcc, s[12:13], v[30:31]
	v_mov_b64_e32 v[52:53], v[40:41]
	s_and_saveexec_b64 s[18:19], vcc
	s_cbranch_execz .LBB120_197
; %bb.196:                              ;   in Loop: Header=BB120_150 Depth=1
	v_lshl_add_u64 v[30:31], v[180:181], 0, v[4:5]
	global_load_dwordx2 v[40:41], v[30:31], off
	v_lshl_add_u64 v[30:31], v[182:183], 0, v[4:5]
	global_load_dwordx2 v[52:53], v[30:31], off
.LBB120_197:                            ;   in Loop: Header=BB120_150 Depth=1
	s_or_b64 exec, exec, s[18:19]
	v_lshl_add_u64 v[30:31], v[10:11], 0, 21
	v_mov_b64_e32 v[46:47], 0
	v_cmp_gt_i64_e32 vcc, s[12:13], v[30:31]
	v_mov_b64_e32 v[56:57], v[46:47]
	v_mov_b64_e32 v[58:59], v[46:47]
	s_and_saveexec_b64 s[18:19], vcc
	s_cbranch_execz .LBB120_199
; %bb.198:                              ;   in Loop: Header=BB120_150 Depth=1
	v_lshl_add_u64 v[30:31], v[176:177], 0, v[4:5]
	global_load_dwordx2 v[56:57], v[30:31], off
	v_lshl_add_u64 v[30:31], v[178:179], 0, v[4:5]
	global_load_dwordx2 v[58:59], v[30:31], off
.LBB120_199:                            ;   in Loop: Header=BB120_150 Depth=1
	s_or_b64 exec, exec, s[18:19]
	v_lshl_add_u64 v[30:31], v[10:11], 0, 22
	v_cmp_gt_i64_e32 vcc, s[12:13], v[30:31]
	v_mov_b64_e32 v[54:55], v[46:47]
	s_and_saveexec_b64 s[18:19], vcc
	s_cbranch_execz .LBB120_201
; %bb.200:                              ;   in Loop: Header=BB120_150 Depth=1
	v_lshl_add_u64 v[30:31], v[172:173], 0, v[4:5]
	global_load_dwordx2 v[46:47], v[30:31], off
	v_lshl_add_u64 v[30:31], v[174:175], 0, v[4:5]
	global_load_dwordx2 v[54:55], v[30:31], off
.LBB120_201:                            ;   in Loop: Header=BB120_150 Depth=1
	s_or_b64 exec, exec, s[18:19]
	v_lshl_add_u64 v[30:31], v[10:11], 0, 23
	v_mov_b64_e32 v[32:33], 0
	v_cmp_gt_i64_e32 vcc, s[12:13], v[30:31]
	v_mov_b64_e32 v[34:35], v[32:33]
	;; [unrolled: 26-line block ×4, first 2 shown]
	v_mov_b64_e32 v[30:31], v[38:39]
	s_and_saveexec_b64 s[18:19], vcc
	s_cbranch_execz .LBB120_211
; %bb.210:                              ;   in Loop: Header=BB120_150 Depth=1
	v_lshl_add_u64 v[30:31], v[152:153], 0, v[4:5]
	global_load_dwordx2 v[76:77], v[30:31], off
	v_lshl_add_u64 v[30:31], v[154:155], 0, v[4:5]
	global_load_dwordx2 v[30:31], v[30:31], off
.LBB120_211:                            ;   in Loop: Header=BB120_150 Depth=1
	s_or_b64 exec, exec, s[18:19]
	v_lshl_add_u64 v[42:43], v[10:11], 0, 28
	v_cmp_gt_i64_e32 vcc, s[12:13], v[42:43]
	v_mov_b64_e32 v[74:75], v[38:39]
	s_and_saveexec_b64 s[18:19], vcc
	s_cbranch_execz .LBB120_213
; %bb.212:                              ;   in Loop: Header=BB120_150 Depth=1
	v_lshl_add_u64 v[38:39], v[148:149], 0, v[4:5]
	v_lshl_add_u64 v[42:43], v[150:151], 0, v[4:5]
	global_load_dwordx2 v[38:39], v[38:39], off
	s_nop 0
	global_load_dwordx2 v[74:75], v[42:43], off
.LBB120_213:                            ;   in Loop: Header=BB120_150 Depth=1
	s_or_b64 exec, exec, s[18:19]
	v_lshl_add_u64 v[42:43], v[10:11], 0, 29
	v_mov_b64_e32 v[72:73], 0
	v_cmp_gt_i64_e32 vcc, s[12:13], v[42:43]
	v_mov_b64_e32 v[78:79], v[72:73]
	v_mov_b64_e32 v[82:83], v[72:73]
	s_and_saveexec_b64 s[18:19], vcc
	s_cbranch_execz .LBB120_215
; %bb.214:                              ;   in Loop: Header=BB120_150 Depth=1
	v_lshl_add_u64 v[42:43], v[144:145], 0, v[4:5]
	global_load_dwordx2 v[78:79], v[42:43], off
	v_lshl_add_u64 v[42:43], v[146:147], 0, v[4:5]
	global_load_dwordx2 v[82:83], v[42:43], off
.LBB120_215:                            ;   in Loop: Header=BB120_150 Depth=1
	s_or_b64 exec, exec, s[18:19]
	v_lshl_add_u64 v[42:43], v[10:11], 0, 30
	v_cmp_gt_i64_e32 vcc, s[12:13], v[42:43]
	v_mov_b64_e32 v[42:43], v[72:73]
	s_and_saveexec_b64 s[18:19], vcc
	s_cbranch_execz .LBB120_217
; %bb.216:                              ;   in Loop: Header=BB120_150 Depth=1
	v_lshl_add_u64 v[42:43], v[140:141], 0, v[4:5]
	global_load_dwordx2 v[72:73], v[42:43], off
	v_lshl_add_u64 v[42:43], v[142:143], 0, v[4:5]
	global_load_dwordx2 v[42:43], v[42:43], off
.LBB120_217:                            ;   in Loop: Header=BB120_150 Depth=1
	s_or_b64 exec, exec, s[18:19]
	s_waitcnt vmcnt(0)
	v_accvgpr_write_b32 a10, v44
	v_accvgpr_write_b32 a11, v45
	v_mov_b64_e32 v[44:45], v[88:89]
	v_accvgpr_write_b32 a6, v86
	v_mov_b64_e32 v[88:89], v[80:81]
	v_lshl_add_u64 v[80:81], v[10:11], 0, 31
	v_accvgpr_write_b32 a7, v87
	v_cmp_gt_i64_e32 vcc, s[12:13], v[80:81]
	v_mov_b64_e32 v[80:81], 0
	s_and_saveexec_b64 s[18:19], vcc
	s_cbranch_execz .LBB120_219
; %bb.218:                              ;   in Loop: Header=BB120_150 Depth=1
	v_lshl_add_u64 v[80:81], v[136:137], 0, v[4:5]
	v_lshl_add_u64 v[86:87], v[138:139], 0, v[4:5]
	global_load_dwordx2 v[80:81], v[80:81], off
	s_nop 0
	global_load_dwordx2 v[86:87], v[86:87], off
	s_waitcnt vmcnt(0)
	v_mul_f64 v[80:81], v[80:81], v[86:87]
.LBB120_219:                            ;   in Loop: Header=BB120_150 Depth=1
	s_or_b64 exec, exec, s[18:19]
	ds_bpermute_b32 v86, v84, v12
	ds_bpermute_b32 v87, v84, v13
	v_mul_f64 v[6:7], v[6:7], v[88:89]
	v_accvgpr_read_b32 v89, a7
	v_accvgpr_read_b32 v88, a6
	v_mul_f64 v[88:89], v[88:89], v[44:45]
	s_waitcnt lgkmcnt(0)
	v_fma_f64 v[6:7], v[6:7], v[86:87], v[8:9]
	ds_bpermute_b32 v86, v84, v12 offset:4
	ds_bpermute_b32 v87, v84, v13 offset:4
	v_accvgpr_read_b32 v45, a11
	v_accvgpr_read_b32 v44, a10
	v_mul_f64 v[14:15], v[14:15], v[44:45]
	v_accvgpr_read_b32 v45, a15
	s_waitcnt lgkmcnt(0)
	v_fmac_f64_e32 v[6:7], v[88:89], v[86:87]
	ds_bpermute_b32 v86, v84, v12 offset:8
	ds_bpermute_b32 v87, v84, v13 offset:8
	v_accvgpr_read_b32 v44, a14
	s_waitcnt lgkmcnt(0)
	v_fmac_f64_e32 v[6:7], v[14:15], v[86:87]
	ds_bpermute_b32 v14, v84, v12 offset:12
	ds_bpermute_b32 v15, v84, v13 offset:12
	v_accvgpr_read_b32 v87, a17
	v_accvgpr_read_b32 v86, a16
	v_mul_f64 v[86:87], v[44:45], v[86:87]
	v_accvgpr_read_b32 v45, a13
	s_waitcnt lgkmcnt(0)
	v_fmac_f64_e32 v[6:7], v[86:87], v[14:15]
	ds_bpermute_b32 v14, v84, v12 offset:16
	ds_bpermute_b32 v15, v84, v13 offset:16
	v_accvgpr_read_b32 v44, a12
	v_mul_f64 v[16:17], v[16:17], v[44:45]
	v_accvgpr_read_b32 v45, a21
	v_accvgpr_read_b32 v44, a20
	s_waitcnt lgkmcnt(0)
	v_fmac_f64_e32 v[6:7], v[16:17], v[14:15]
	ds_bpermute_b32 v14, v84, v12 offset:20
	ds_bpermute_b32 v15, v84, v13 offset:20
	v_accvgpr_read_b32 v16, a18
	v_accvgpr_read_b32 v17, a19
	v_mul_f64 v[16:17], v[16:17], v[44:45]
	s_waitcnt lgkmcnt(0)
	v_fmac_f64_e32 v[6:7], v[16:17], v[14:15]
	ds_bpermute_b32 v14, v84, v12 offset:24
	ds_bpermute_b32 v15, v84, v13 offset:24
	v_accvgpr_read_b32 v16, a26
	v_accvgpr_read_b32 v17, a27
	v_mul_f64 v[16:17], v[18:19], v[16:17]
	v_accvgpr_read_b32 v18, a24
	s_waitcnt lgkmcnt(0)
	v_fmac_f64_e32 v[6:7], v[16:17], v[14:15]
	ds_bpermute_b32 v14, v84, v12 offset:28
	ds_bpermute_b32 v15, v84, v13 offset:28
	v_accvgpr_read_b32 v16, a22
	v_accvgpr_read_b32 v17, a23
	v_accvgpr_read_b32 v19, a25
	v_mul_f64 v[16:17], v[16:17], v[18:19]
	s_waitcnt lgkmcnt(0)
	v_fmac_f64_e32 v[6:7], v[16:17], v[14:15]
	ds_bpermute_b32 v14, v84, v12 offset:32
	ds_bpermute_b32 v15, v84, v13 offset:32
	v_accvgpr_read_b32 v16, a28
	v_accvgpr_read_b32 v17, a29
	v_mul_f64 v[16:17], v[20:21], v[16:17]
	v_accvgpr_read_b32 v18, a34
	s_waitcnt lgkmcnt(0)
	v_fmac_f64_e32 v[6:7], v[16:17], v[14:15]
	ds_bpermute_b32 v14, v84, v12 offset:36
	ds_bpermute_b32 v15, v84, v13 offset:36
	v_accvgpr_read_b32 v16, a32
	;; [unrolled: 16-line block ×6, first 2 shown]
	v_accvgpr_read_b32 v17, a139
	v_accvgpr_read_b32 v19, a141
	v_mul_f64 v[16:17], v[16:17], v[18:19]
	s_waitcnt lgkmcnt(0)
	v_fmac_f64_e32 v[6:7], v[16:17], v[14:15]
	ds_bpermute_b32 v14, v84, v12 offset:72
	ds_bpermute_b32 v15, v84, v13 offset:72
	v_mul_f64 v[16:17], v[36:37], v[50:51]
	s_waitcnt lgkmcnt(0)
	v_fmac_f64_e32 v[6:7], v[16:17], v[14:15]
	ds_bpermute_b32 v14, v84, v12 offset:76
	ds_bpermute_b32 v15, v84, v13 offset:76
	v_accvgpr_read_b32 v16, a142
	v_accvgpr_read_b32 v17, a143
	v_mul_f64 v[16:17], v[16:17], v[48:49]
	s_waitcnt lgkmcnt(0)
	v_fmac_f64_e32 v[6:7], v[16:17], v[14:15]
	ds_bpermute_b32 v14, v84, v12 offset:80
	ds_bpermute_b32 v15, v84, v13 offset:80
	v_mul_f64 v[16:17], v[40:41], v[52:53]
	s_waitcnt lgkmcnt(0)
	v_fmac_f64_e32 v[6:7], v[16:17], v[14:15]
	ds_bpermute_b32 v14, v84, v12 offset:84
	ds_bpermute_b32 v15, v84, v13 offset:84
	;; [unrolled: 5-line block ×11, first 2 shown]
	ds_bpermute_b32 v12, v84, v12 offset:124
	ds_bpermute_b32 v13, v84, v13 offset:124
	v_mul_f64 v[16:17], v[72:73], v[42:43]
	s_waitcnt lgkmcnt(2)
	v_fmac_f64_e32 v[6:7], v[16:17], v[14:15]
	s_waitcnt lgkmcnt(0)
	v_fmac_f64_e32 v[6:7], v[80:81], v[12:13]
	s_branch .LBB120_226
.LBB120_220:                            ;   in Loop: Header=BB120_150 Depth=1
                                        ; implicit-def: $vgpr6_vgpr7
	s_cbranch_execz .LBB120_226
; %bb.221:                              ;   in Loop: Header=BB120_150 Depth=1
	s_load_dword s3, s[22:23], 0x0
	v_accvgpr_read_b32 v13, a3
	v_accvgpr_read_b32 v7, a0
	;; [unrolled: 1-line block ×3, first 2 shown]
	s_waitcnt lgkmcnt(0)
	s_cmp_lt_u32 s2, s3
	s_cselect_b32 s3, 12, 18
	s_add_u32 s18, s22, s3
	s_addc_u32 s19, s23, 0
	global_load_ushort v6, v13, s[18:19]
	s_waitcnt vmcnt(0)
	v_mad_u32_u24 v6, v12, v6, v7
	v_and_b32_e32 v12, 63, v6
	v_accvgpr_write_b32 a2, v12
	v_accvgpr_write_b32 a3, v13
	v_cmp_gt_u32_e32 vcc, 32, v12
	v_mov_b64_e32 v[6:7], 0
	s_and_saveexec_b64 s[18:19], vcc
	s_cbranch_execz .LBB120_225
; %bb.222:                              ;   in Loop: Header=BB120_150 Depth=1
	v_accvgpr_read_b32 v7, a3
	v_accvgpr_read_b32 v6, a2
	v_lshl_add_u64 v[10:11], v[10:11], 0, v[6:7]
	v_cmp_gt_i64_e32 vcc, s[12:13], v[10:11]
	v_mov_b64_e32 v[6:7], 0
	s_and_saveexec_b64 s[28:29], vcc
	s_cbranch_execz .LBB120_224
; %bb.223:                              ;   in Loop: Header=BB120_150 Depth=1
	v_lshl_add_u64 v[6:7], v[10:11], 3, s[10:11]
	global_load_dwordx2 v[6:7], v[6:7], off
.LBB120_224:                            ;   in Loop: Header=BB120_150 Depth=1
	s_or_b64 exec, exec, s[28:29]
.LBB120_225:                            ;   in Loop: Header=BB120_150 Depth=1
	s_or_b64 exec, exec, s[18:19]
	v_lshl_add_u64 v[10:11], v[132:133], 0, v[4:5]
	global_load_dwordx2 v[24:25], v[10:11], off
	v_lshl_add_u64 v[10:11], v[134:135], 0, v[4:5]
	global_load_dwordx2 v[26:27], v[10:11], off
	;; [unrolled: 2-line block ×15, first 2 shown]
	v_accvgpr_read_b32 v10, a36
	v_accvgpr_read_b32 v11, a37
	v_lshl_add_u64 v[10:11], v[10:11], 0, v[4:5]
	global_load_dwordx2 v[54:55], v[10:11], off
	v_lshl_add_u64 v[10:11], v[104:105], 0, v[4:5]
	global_load_dwordx2 v[56:57], v[10:11], off
	v_accvgpr_read_b32 v10, a38
	v_accvgpr_read_b32 v11, a39
	v_lshl_add_u64 v[10:11], v[10:11], 0, v[4:5]
	global_load_dwordx2 v[58:59], v[10:11], off
	v_lshl_add_u64 v[10:11], v[112:113], 0, v[4:5]
	global_load_dwordx2 v[60:61], v[10:11], off
	;; [unrolled: 6-line block ×3, first 2 shown]
	v_accvgpr_read_b32 v10, a44
	v_accvgpr_read_b32 v11, a45
	v_lshl_add_u64 v[10:11], v[10:11], 0, v[4:5]
	global_load_dwordx2 v[66:67], v[10:11], off
	v_accvgpr_read_b32 v10, a42
	v_accvgpr_read_b32 v11, a43
	v_lshl_add_u64 v[10:11], v[10:11], 0, v[4:5]
	global_load_dwordx2 v[68:69], v[10:11], off
	;; [unrolled: 4-line block ×11, first 2 shown]
	v_accvgpr_read_b32 v10, a64
	v_accvgpr_read_b32 v11, a65
	v_lshl_add_u64 v[10:11], v[10:11], 0, v[4:5]
	v_accvgpr_write_b32 a4, v90
	v_accvgpr_write_b32 a5, v91
	global_load_dwordx2 v[90:91], v[10:11], off
	v_accvgpr_read_b32 v10, a66
	v_accvgpr_read_b32 v11, a67
	v_lshl_add_u64 v[10:11], v[10:11], 0, v[4:5]
	v_accvgpr_write_b32 a6, v92
	v_accvgpr_write_b32 a7, v93
	global_load_dwordx2 v[92:93], v[10:11], off
	;; [unrolled: 6-line block ×14, first 2 shown]
	v_accvgpr_read_b32 v10, a92
	v_accvgpr_read_b32 v11, a93
	v_accvgpr_write_b32 a34, v120
	v_lshl_add_u64 v[10:11], v[10:11], 0, v[4:5]
	v_accvgpr_write_b32 a35, v121
	s_waitcnt vmcnt(46)
	ds_bpermute_b32 v120, v84, v6
	ds_bpermute_b32 v121, v84, v7
	global_load_dwordx2 v[20:21], v[10:11], off
	v_accvgpr_read_b32 v10, a94
	v_accvgpr_read_b32 v11, a95
	v_lshl_add_u64 v[10:11], v[10:11], 0, v[4:5]
	global_load_dwordx2 v[22:23], v[10:11], off
	v_accvgpr_read_b32 v10, a96
	s_waitcnt vmcnt(46)
	v_mul_f64 v[24:25], v[24:25], v[26:27]
	v_accvgpr_read_b32 v11, a97
	s_waitcnt lgkmcnt(0)
	v_fmac_f64_e32 v[8:9], v[24:25], v[120:121]
	ds_bpermute_b32 v120, v84, v6 offset:4
	ds_bpermute_b32 v121, v84, v7 offset:4
	v_lshl_add_u64 v[10:11], v[10:11], 0, v[4:5]
	global_load_dwordx2 v[12:13], v[10:11], off
	v_accvgpr_read_b32 v10, a98
	v_accvgpr_read_b32 v11, a99
	v_lshl_add_u64 v[10:11], v[10:11], 0, v[4:5]
	s_waitcnt vmcnt(45)
	v_mul_f64 v[28:29], v[28:29], v[30:31]
	global_load_dwordx2 v[16:17], v[10:11], off
	v_accvgpr_read_b32 v10, a100
	s_waitcnt lgkmcnt(0)
	v_fmac_f64_e32 v[8:9], v[28:29], v[120:121]
	ds_bpermute_b32 v120, v84, v6 offset:8
	ds_bpermute_b32 v121, v84, v7 offset:8
	v_accvgpr_read_b32 v11, a101
	v_lshl_add_u64 v[10:11], v[10:11], 0, v[4:5]
	global_load_dwordx2 v[14:15], v[10:11], off
	v_accvgpr_read_b32 v10, a102
	v_accvgpr_read_b32 v11, a103
	s_waitcnt vmcnt(45)
	v_mul_f64 v[32:33], v[32:33], v[34:35]
	v_lshl_add_u64 v[10:11], v[10:11], 0, v[4:5]
	s_waitcnt lgkmcnt(0)
	v_fmac_f64_e32 v[8:9], v[32:33], v[120:121]
	ds_bpermute_b32 v120, v84, v6 offset:12
	ds_bpermute_b32 v121, v84, v7 offset:12
	global_load_dwordx2 v[18:19], v[10:11], off
	v_accvgpr_write_b32 a32, v118
	v_accvgpr_read_b32 v10, a104
	v_accvgpr_write_b32 a33, v119
	v_accvgpr_read_b32 v119, a107
	v_accvgpr_read_b32 v11, a105
	;; [unrolled: 1-line block ×5, first 2 shown]
	s_waitcnt vmcnt(44)
	v_mul_f64 v[36:37], v[36:37], v[38:39]
	v_lshl_add_u64 v[10:11], v[10:11], 0, v[4:5]
	v_lshl_add_u64 v[118:119], v[118:119], 0, v[4:5]
	v_accvgpr_read_b32 v27, a109
	v_accvgpr_read_b32 v25, a111
	;; [unrolled: 1-line block ×4, first 2 shown]
	s_waitcnt lgkmcnt(0)
	v_fmac_f64_e32 v[8:9], v[36:37], v[120:121]
	ds_bpermute_b32 v120, v84, v6 offset:16
	ds_bpermute_b32 v121, v84, v7 offset:16
	global_load_dwordx2 v[10:11], v[10:11], off
	v_lshl_add_u64 v[26:27], v[26:27], 0, v[4:5]
	global_load_dwordx2 v[118:119], v[118:119], off
	v_lshl_add_u64 v[24:25], v[24:25], 0, v[4:5]
	v_accvgpr_read_b32 v31, a113
	v_accvgpr_read_b32 v29, a115
	global_load_dwordx2 v[26:27], v[26:27], off
	v_lshl_add_u64 v[30:31], v[30:31], 0, v[4:5]
	global_load_dwordx2 v[24:25], v[24:25], off
	v_lshl_add_u64 v[28:29], v[28:29], 0, v[4:5]
	global_load_dwordx2 v[30:31], v[30:31], off
	s_waitcnt vmcnt(47)
	v_mul_f64 v[40:41], v[40:41], v[42:43]
	global_load_dwordx2 v[28:29], v[28:29], off
	v_accvgpr_read_b32 v34, a116
	v_accvgpr_read_b32 v32, a118
	s_waitcnt lgkmcnt(0)
	v_fmac_f64_e32 v[8:9], v[40:41], v[120:121]
	ds_bpermute_b32 v40, v84, v6 offset:20
	ds_bpermute_b32 v41, v84, v7 offset:20
	v_accvgpr_read_b32 v35, a117
	v_accvgpr_read_b32 v33, a119
	v_lshl_add_u64 v[34:35], v[34:35], 0, v[4:5]
	v_lshl_add_u64 v[32:33], v[32:33], 0, v[4:5]
	global_load_dwordx2 v[34:35], v[34:35], off
	v_lshl_add_u64 v[38:39], v[122:123], 0, v[4:5]
	global_load_dwordx2 v[32:33], v[32:33], off
	;; [unrolled: 2-line block ×4, first 2 shown]
	v_lshl_add_u64 v[120:121], v[128:129], 0, v[4:5]
	s_waitcnt vmcnt(50)
	v_mul_f64 v[44:45], v[44:45], v[46:47]
	global_load_dwordx2 v[42:43], v[42:43], off
	s_waitcnt lgkmcnt(0)
	v_fmac_f64_e32 v[8:9], v[44:45], v[40:41]
	global_load_dwordx2 v[44:45], v[120:121], off
	ds_bpermute_b32 v46, v84, v6 offset:24
	ds_bpermute_b32 v47, v84, v7 offset:24
	;; [unrolled: 1-line block ×4, first 2 shown]
	s_waitcnt vmcnt(50)
	v_mul_f64 v[48:49], v[48:49], v[50:51]
	ds_bpermute_b32 v50, v84, v6 offset:40
	s_waitcnt lgkmcnt(3)
	v_fmac_f64_e32 v[8:9], v[48:49], v[46:47]
	s_waitcnt vmcnt(48)
	v_mul_f64 v[46:47], v[52:53], v[54:55]
	s_waitcnt lgkmcnt(1)
	v_fmac_f64_e32 v[8:9], v[46:47], v[40:41]
	ds_bpermute_b32 v40, v84, v6 offset:32
	ds_bpermute_b32 v41, v84, v7 offset:32
	ds_bpermute_b32 v48, v84, v6 offset:36
	ds_bpermute_b32 v49, v84, v7 offset:36
	ds_bpermute_b32 v51, v84, v7 offset:40
	s_waitcnt vmcnt(46)
	v_mul_f64 v[46:47], v[56:57], v[58:59]
	s_waitcnt lgkmcnt(3)
	v_fmac_f64_e32 v[8:9], v[46:47], v[40:41]
	s_waitcnt vmcnt(44)
	v_mul_f64 v[40:41], v[60:61], v[62:63]
	s_waitcnt lgkmcnt(1)
	v_fmac_f64_e32 v[8:9], v[40:41], v[48:49]
	s_waitcnt vmcnt(42)
	v_mul_f64 v[40:41], v[64:65], v[66:67]
	s_waitcnt lgkmcnt(0)
	v_fmac_f64_e32 v[8:9], v[40:41], v[50:51]
	ds_bpermute_b32 v40, v84, v6 offset:44
	ds_bpermute_b32 v41, v84, v7 offset:44
	ds_bpermute_b32 v48, v84, v6 offset:48
	ds_bpermute_b32 v49, v84, v7 offset:48
	ds_bpermute_b32 v50, v84, v6 offset:52
	ds_bpermute_b32 v51, v84, v7 offset:52
	s_waitcnt vmcnt(40)
	v_mul_f64 v[46:47], v[68:69], v[70:71]
	s_waitcnt lgkmcnt(4)
	v_fmac_f64_e32 v[8:9], v[46:47], v[40:41]
	s_waitcnt vmcnt(38)
	v_mul_f64 v[40:41], v[72:73], v[74:75]
	s_waitcnt lgkmcnt(2)
	v_fmac_f64_e32 v[8:9], v[40:41], v[48:49]
	s_waitcnt vmcnt(36)
	v_mul_f64 v[40:41], v[76:77], v[78:79]
	s_waitcnt lgkmcnt(0)
	v_fmac_f64_e32 v[8:9], v[40:41], v[50:51]
	ds_bpermute_b32 v40, v84, v6 offset:56
	;; [unrolled: 18-line block ×5, first 2 shown]
	ds_bpermute_b32 v41, v84, v7 offset:92
	s_waitcnt vmcnt(16)
	v_mul_f64 v[20:21], v[20:21], v[22:23]
	ds_bpermute_b32 v22, v84, v6 offset:96
	ds_bpermute_b32 v23, v84, v7 offset:96
	;; [unrolled: 1-line block ×4, first 2 shown]
	s_waitcnt lgkmcnt(4)
	v_fmac_f64_e32 v[8:9], v[20:21], v[40:41]
	s_waitcnt vmcnt(14)
	v_mul_f64 v[12:13], v[12:13], v[16:17]
	s_waitcnt lgkmcnt(2)
	v_fmac_f64_e32 v[8:9], v[12:13], v[22:23]
	s_waitcnt vmcnt(12)
	v_mul_f64 v[12:13], v[14:15], v[18:19]
	s_waitcnt lgkmcnt(0)
	v_fmac_f64_e32 v[8:9], v[12:13], v[46:47]
	ds_bpermute_b32 v12, v84, v6 offset:104
	ds_bpermute_b32 v13, v84, v7 offset:104
	;; [unrolled: 1-line block ×6, first 2 shown]
	s_waitcnt vmcnt(10)
	v_mul_f64 v[10:11], v[10:11], v[118:119]
	s_waitcnt lgkmcnt(4)
	v_fmac_f64_e32 v[8:9], v[10:11], v[12:13]
	s_waitcnt vmcnt(8)
	v_mul_f64 v[10:11], v[26:27], v[24:25]
	s_waitcnt lgkmcnt(2)
	v_fmac_f64_e32 v[8:9], v[10:11], v[14:15]
	;; [unrolled: 4-line block ×3, first 2 shown]
	ds_bpermute_b32 v10, v84, v6 offset:116
	ds_bpermute_b32 v11, v84, v7 offset:116
	;; [unrolled: 1-line block ×6, first 2 shown]
	s_waitcnt vmcnt(4)
	v_mul_f64 v[12:13], v[34:35], v[32:33]
	s_waitcnt lgkmcnt(4)
	v_fmac_f64_e32 v[8:9], v[12:13], v[10:11]
	s_waitcnt vmcnt(2)
	v_mul_f64 v[10:11], v[38:39], v[36:37]
	s_waitcnt lgkmcnt(2)
	v_fmac_f64_e32 v[8:9], v[10:11], v[14:15]
	s_waitcnt vmcnt(0)
	v_mul_f64 v[10:11], v[42:43], v[44:45]
	v_accvgpr_read_b32 v121, a35
	v_accvgpr_read_b32 v93, a7
	;; [unrolled: 1-line block ×16, first 2 shown]
	s_waitcnt lgkmcnt(0)
	v_fmac_f64_e32 v[8:9], v[10:11], v[6:7]
	v_accvgpr_read_b32 v120, a34
	v_accvgpr_read_b32 v92, a6
	;; [unrolled: 1-line block ×16, first 2 shown]
	v_mov_b64_e32 v[6:7], v[8:9]
.LBB120_226:                            ;   in Loop: Header=BB120_150 Depth=1
	s_add_u32 s16, s16, s4
	s_addc_u32 s17, s17, 0
	v_mov_b64_e32 v[8:9], s[12:13]
	v_cmp_ge_i64_e32 vcc, s[16:17], v[8:9]
	v_accvgpr_read_b32 v8, a42
	v_accvgpr_read_b32 v9, a43
	v_lshl_add_u64 v[8:9], v[8:9], 0, s[24:25]
	v_accvgpr_write_b32 a43, v9
	v_accvgpr_write_b32 a42, v8
	v_accvgpr_read_b32 v8, a48
	v_accvgpr_read_b32 v9, a49
	v_lshl_add_u64 v[8:9], v[8:9], 0, s[24:25]
	v_accvgpr_write_b32 a49, v9
	v_accvgpr_write_b32 a48, v8
	v_accvgpr_read_b32 v8, a52
	v_accvgpr_read_b32 v9, a53
	v_lshl_add_u64 v[8:9], v[8:9], 0, s[24:25]
	v_accvgpr_write_b32 a53, v9
	v_accvgpr_write_b32 a52, v8
	v_accvgpr_read_b32 v8, a56
	v_accvgpr_read_b32 v9, a57
	v_lshl_add_u64 v[8:9], v[8:9], 0, s[24:25]
	v_accvgpr_write_b32 a57, v9
	v_accvgpr_write_b32 a56, v8
	v_accvgpr_read_b32 v8, a60
	v_accvgpr_read_b32 v9, a61
	v_lshl_add_u64 v[8:9], v[8:9], 0, s[24:25]
	v_accvgpr_write_b32 a61, v9
	v_accvgpr_write_b32 a60, v8
	v_accvgpr_read_b32 v8, a64
	v_accvgpr_read_b32 v9, a65
	v_lshl_add_u64 v[8:9], v[8:9], 0, s[24:25]
	v_accvgpr_write_b32 a65, v9
	v_accvgpr_write_b32 a64, v8
	v_accvgpr_read_b32 v8, a68
	v_accvgpr_read_b32 v9, a69
	v_lshl_add_u64 v[8:9], v[8:9], 0, s[24:25]
	v_accvgpr_write_b32 a69, v9
	v_accvgpr_write_b32 a68, v8
	v_accvgpr_read_b32 v8, a72
	v_accvgpr_read_b32 v9, a73
	v_lshl_add_u64 v[8:9], v[8:9], 0, s[24:25]
	v_accvgpr_write_b32 a73, v9
	v_accvgpr_write_b32 a72, v8
	v_accvgpr_read_b32 v8, a76
	v_accvgpr_read_b32 v9, a77
	v_lshl_add_u64 v[8:9], v[8:9], 0, s[24:25]
	v_accvgpr_write_b32 a77, v9
	v_accvgpr_write_b32 a76, v8
	v_accvgpr_read_b32 v8, a80
	v_accvgpr_read_b32 v9, a81
	v_lshl_add_u64 v[8:9], v[8:9], 0, s[24:25]
	v_accvgpr_write_b32 a81, v9
	v_accvgpr_write_b32 a80, v8
	v_accvgpr_read_b32 v8, a84
	v_accvgpr_read_b32 v9, a85
	v_lshl_add_u64 v[8:9], v[8:9], 0, s[24:25]
	v_accvgpr_write_b32 a85, v9
	v_accvgpr_write_b32 a84, v8
	v_accvgpr_read_b32 v8, a88
	v_accvgpr_read_b32 v9, a89
	v_lshl_add_u64 v[8:9], v[8:9], 0, s[24:25]
	v_accvgpr_write_b32 a89, v9
	v_accvgpr_write_b32 a88, v8
	v_accvgpr_read_b32 v8, a92
	v_accvgpr_read_b32 v9, a93
	v_lshl_add_u64 v[8:9], v[8:9], 0, s[24:25]
	v_accvgpr_write_b32 a93, v9
	v_accvgpr_write_b32 a92, v8
	v_accvgpr_read_b32 v8, a96
	v_accvgpr_read_b32 v9, a97
	v_lshl_add_u64 v[8:9], v[8:9], 0, s[24:25]
	v_accvgpr_write_b32 a97, v9
	v_accvgpr_write_b32 a96, v8
	v_accvgpr_read_b32 v8, a100
	v_accvgpr_read_b32 v9, a101
	v_lshl_add_u64 v[8:9], v[8:9], 0, s[24:25]
	v_accvgpr_write_b32 a101, v9
	v_accvgpr_write_b32 a100, v8
	v_accvgpr_read_b32 v8, a104
	v_accvgpr_read_b32 v9, a105
	v_lshl_add_u64 v[8:9], v[8:9], 0, s[24:25]
	v_accvgpr_write_b32 a105, v9
	v_accvgpr_write_b32 a104, v8
	v_accvgpr_read_b32 v8, a108
	v_accvgpr_read_b32 v9, a109
	v_lshl_add_u64 v[8:9], v[8:9], 0, s[24:25]
	v_accvgpr_write_b32 a109, v9
	v_accvgpr_write_b32 a108, v8
	v_accvgpr_read_b32 v8, a112
	v_accvgpr_read_b32 v9, a113
	v_lshl_add_u64 v[8:9], v[8:9], 0, s[24:25]
	v_accvgpr_write_b32 a113, v9
	v_accvgpr_write_b32 a112, v8
	v_accvgpr_read_b32 v8, a116
	v_accvgpr_read_b32 v9, a117
	v_lshl_add_u64 v[8:9], v[8:9], 0, s[24:25]
	v_accvgpr_write_b32 a117, v9
	v_accvgpr_write_b32 a116, v8
	v_accvgpr_read_b32 v8, a36
	v_accvgpr_read_b32 v9, a37
	v_lshl_add_u64 v[8:9], v[8:9], 0, s[24:25]
	v_accvgpr_write_b32 a37, v9
	v_accvgpr_write_b32 a36, v8
	v_accvgpr_read_b32 v8, a38
	v_accvgpr_read_b32 v9, a39
	v_lshl_add_u64 v[8:9], v[8:9], 0, s[24:25]
	v_accvgpr_write_b32 a39, v9
	v_accvgpr_write_b32 a38, v8
	v_accvgpr_read_b32 v8, a40
	v_accvgpr_read_b32 v9, a41
	v_lshl_add_u64 v[8:9], v[8:9], 0, s[24:25]
	v_accvgpr_write_b32 a41, v9
	v_accvgpr_write_b32 a40, v8
	v_accvgpr_read_b32 v8, a44
	v_accvgpr_read_b32 v9, a45
	v_lshl_add_u64 v[8:9], v[8:9], 0, s[24:25]
	v_accvgpr_write_b32 a45, v9
	v_accvgpr_write_b32 a44, v8
	v_accvgpr_read_b32 v8, a46
	v_accvgpr_read_b32 v9, a47
	v_lshl_add_u64 v[8:9], v[8:9], 0, s[24:25]
	v_accvgpr_write_b32 a47, v9
	v_accvgpr_write_b32 a46, v8
	v_accvgpr_read_b32 v8, a50
	v_accvgpr_read_b32 v9, a51
	v_lshl_add_u64 v[8:9], v[8:9], 0, s[24:25]
	v_accvgpr_write_b32 a51, v9
	v_accvgpr_write_b32 a50, v8
	v_accvgpr_read_b32 v8, a54
	v_accvgpr_read_b32 v9, a55
	v_lshl_add_u64 v[8:9], v[8:9], 0, s[24:25]
	v_accvgpr_write_b32 a55, v9
	v_accvgpr_write_b32 a54, v8
	v_accvgpr_read_b32 v8, a58
	v_accvgpr_read_b32 v9, a59
	v_lshl_add_u64 v[8:9], v[8:9], 0, s[24:25]
	v_accvgpr_write_b32 a59, v9
	v_accvgpr_write_b32 a58, v8
	v_accvgpr_read_b32 v8, a62
	v_accvgpr_read_b32 v9, a63
	v_lshl_add_u64 v[8:9], v[8:9], 0, s[24:25]
	v_accvgpr_write_b32 a63, v9
	v_accvgpr_write_b32 a62, v8
	v_accvgpr_read_b32 v8, a66
	v_accvgpr_read_b32 v9, a67
	v_lshl_add_u64 v[8:9], v[8:9], 0, s[24:25]
	v_accvgpr_write_b32 a67, v9
	v_accvgpr_write_b32 a66, v8
	v_accvgpr_read_b32 v8, a70
	v_accvgpr_read_b32 v9, a71
	v_lshl_add_u64 v[8:9], v[8:9], 0, s[24:25]
	v_accvgpr_write_b32 a71, v9
	v_accvgpr_write_b32 a70, v8
	v_accvgpr_read_b32 v8, a74
	v_accvgpr_read_b32 v9, a75
	v_lshl_add_u64 v[8:9], v[8:9], 0, s[24:25]
	v_accvgpr_write_b32 a75, v9
	v_accvgpr_write_b32 a74, v8
	v_accvgpr_read_b32 v8, a78
	v_accvgpr_read_b32 v9, a79
	v_lshl_add_u64 v[8:9], v[8:9], 0, s[24:25]
	v_accvgpr_write_b32 a79, v9
	v_accvgpr_write_b32 a78, v8
	v_accvgpr_read_b32 v8, a82
	v_accvgpr_read_b32 v9, a83
	v_lshl_add_u64 v[8:9], v[8:9], 0, s[24:25]
	v_accvgpr_write_b32 a83, v9
	v_accvgpr_write_b32 a82, v8
	v_accvgpr_read_b32 v8, a86
	v_accvgpr_read_b32 v9, a87
	v_lshl_add_u64 v[8:9], v[8:9], 0, s[24:25]
	v_accvgpr_write_b32 a87, v9
	v_accvgpr_write_b32 a86, v8
	v_accvgpr_read_b32 v8, a90
	v_accvgpr_read_b32 v9, a91
	v_lshl_add_u64 v[8:9], v[8:9], 0, s[24:25]
	v_accvgpr_write_b32 a91, v9
	v_accvgpr_write_b32 a90, v8
	v_accvgpr_read_b32 v8, a94
	v_accvgpr_read_b32 v9, a95
	v_lshl_add_u64 v[8:9], v[8:9], 0, s[24:25]
	v_accvgpr_write_b32 a95, v9
	v_accvgpr_write_b32 a94, v8
	v_accvgpr_read_b32 v8, a98
	v_accvgpr_read_b32 v9, a99
	v_lshl_add_u64 v[8:9], v[8:9], 0, s[24:25]
	v_accvgpr_write_b32 a99, v9
	v_accvgpr_write_b32 a98, v8
	v_accvgpr_read_b32 v8, a102
	v_accvgpr_read_b32 v9, a103
	v_lshl_add_u64 v[8:9], v[8:9], 0, s[24:25]
	v_accvgpr_write_b32 a103, v9
	v_accvgpr_write_b32 a102, v8
	v_accvgpr_read_b32 v8, a106
	v_accvgpr_read_b32 v9, a107
	v_lshl_add_u64 v[8:9], v[8:9], 0, s[24:25]
	v_accvgpr_write_b32 a107, v9
	v_accvgpr_write_b32 a106, v8
	v_accvgpr_read_b32 v8, a110
	v_accvgpr_read_b32 v9, a111
	v_lshl_add_u64 v[8:9], v[8:9], 0, s[24:25]
	v_accvgpr_write_b32 a111, v9
	v_accvgpr_write_b32 a110, v8
	v_accvgpr_read_b32 v8, a114
	v_accvgpr_read_b32 v9, a115
	v_lshl_add_u64 v[8:9], v[8:9], 0, s[24:25]
	v_accvgpr_write_b32 a115, v9
	v_accvgpr_write_b32 a114, v8
	v_accvgpr_read_b32 v8, a118
	v_accvgpr_read_b32 v9, a119
	s_add_u32 s26, s26, s4
	v_lshl_add_u64 v[130:131], v[130:131], 0, s[4:5]
	v_lshl_add_u64 v[90:91], v[90:91], 0, s[24:25]
	;; [unrolled: 1-line block ×86, first 2 shown]
	s_addc_u32 s27, s27, 0
	s_cbranch_vccnz .LBB120_228
; %bb.227:                              ;   in Loop: Header=BB120_150 Depth=1
	v_accvgpr_write_b32 a119, v9
	v_accvgpr_write_b32 a118, v8
	v_mov_b64_e32 v[8:9], v[6:7]
	s_branch .LBB120_150
.LBB120_228:
	s_mov_b32 s3, 0
	s_lshl_b64 s[2:3], s[2:3], 6
	v_and_b32_e32 v0, 0x3ff, v85
	v_or_b32_e32 v0, s2, v0
	v_mov_b32_e32 v1, s3
	s_waitcnt lgkmcnt(0)
	s_cmp_lg_u64 s[6:7], 0
	v_cmp_gt_i64_e32 vcc, s[14:15], v[0:1]
	s_cselect_b64 s[2:3], -1, 0
	s_and_b64 s[2:3], vcc, s[2:3]
	s_and_saveexec_b64 s[4:5], s[2:3]
	s_cbranch_execz .LBB120_230
; %bb.229:
	s_load_dword s0, s[0:1], 0x4c
	v_bfe_u32 v2, v85, 10, 10
	v_mov_b32_e32 v3, 0
	v_mov_b32_e32 v4, s8
	s_waitcnt lgkmcnt(0)
	s_lshr_b32 s0, s0, 16
	v_mad_u64_u32 v[2:3], s[0:1], s0, v4, v[2:3]
	v_mul_lo_u32 v4, v3, s14
	v_mul_lo_u32 v5, v2, s15
	v_mad_u64_u32 v[2:3], s[0:1], v2, s14, 0
	v_add3_u32 v3, v3, v5, v4
	v_lshl_add_u64 v[2:3], v[2:3], 3, s[6:7]
	v_lshl_add_u64 v[0:1], v[0:1], 3, v[2:3]
	global_store_dwordx2 v[0:1], v[6:7], off
.LBB120_230:
	s_endpgm
	.section	.rodata,"a",@progbits
	.p2align	6, 0x0
	.amdhsa_kernel _ZN2at6native12_GLOBAL__N_135GammaBetaBackwardCUDAKernelTemplateIddLj64ELj1ELj32ELb1ELb0ELb1EEEvllPKT_S5_PKT0_S8_PS3_S9_
		.amdhsa_group_segment_fixed_size 0
		.amdhsa_private_segment_fixed_size 0
		.amdhsa_kernarg_size 320
		.amdhsa_user_sgpr_count 2
		.amdhsa_user_sgpr_dispatch_ptr 0
		.amdhsa_user_sgpr_queue_ptr 0
		.amdhsa_user_sgpr_kernarg_segment_ptr 1
		.amdhsa_user_sgpr_dispatch_id 0
		.amdhsa_user_sgpr_kernarg_preload_length 0
		.amdhsa_user_sgpr_kernarg_preload_offset 0
		.amdhsa_user_sgpr_private_segment_size 0
		.amdhsa_uses_dynamic_stack 0
		.amdhsa_enable_private_segment 0
		.amdhsa_system_sgpr_workgroup_id_x 1
		.amdhsa_system_sgpr_workgroup_id_y 1
		.amdhsa_system_sgpr_workgroup_id_z 0
		.amdhsa_system_sgpr_workgroup_info 0
		.amdhsa_system_vgpr_workitem_id 1
		.amdhsa_next_free_vgpr 400
		.amdhsa_next_free_sgpr 38
		.amdhsa_accum_offset 256
		.amdhsa_reserve_vcc 1
		.amdhsa_float_round_mode_32 0
		.amdhsa_float_round_mode_16_64 0
		.amdhsa_float_denorm_mode_32 3
		.amdhsa_float_denorm_mode_16_64 3
		.amdhsa_dx10_clamp 1
		.amdhsa_ieee_mode 1
		.amdhsa_fp16_overflow 0
		.amdhsa_tg_split 0
		.amdhsa_exception_fp_ieee_invalid_op 0
		.amdhsa_exception_fp_denorm_src 0
		.amdhsa_exception_fp_ieee_div_zero 0
		.amdhsa_exception_fp_ieee_overflow 0
		.amdhsa_exception_fp_ieee_underflow 0
		.amdhsa_exception_fp_ieee_inexact 0
		.amdhsa_exception_int_div_zero 0
	.end_amdhsa_kernel
	.section	.text._ZN2at6native12_GLOBAL__N_135GammaBetaBackwardCUDAKernelTemplateIddLj64ELj1ELj32ELb1ELb0ELb1EEEvllPKT_S5_PKT0_S8_PS3_S9_,"axG",@progbits,_ZN2at6native12_GLOBAL__N_135GammaBetaBackwardCUDAKernelTemplateIddLj64ELj1ELj32ELb1ELb0ELb1EEEvllPKT_S5_PKT0_S8_PS3_S9_,comdat
.Lfunc_end120:
	.size	_ZN2at6native12_GLOBAL__N_135GammaBetaBackwardCUDAKernelTemplateIddLj64ELj1ELj32ELb1ELb0ELb1EEEvllPKT_S5_PKT0_S8_PS3_S9_, .Lfunc_end120-_ZN2at6native12_GLOBAL__N_135GammaBetaBackwardCUDAKernelTemplateIddLj64ELj1ELj32ELb1ELb0ELb1EEEvllPKT_S5_PKT0_S8_PS3_S9_
                                        ; -- End function
	.section	.AMDGPU.csdata,"",@progbits
; Kernel info:
; codeLenInByte = 24424
; NumSgprs: 44
; NumVgprs: 256
; NumAgprs: 144
; TotalNumVgprs: 400
; ScratchSize: 0
; MemoryBound: 1
; FloatMode: 240
; IeeeMode: 1
; LDSByteSize: 0 bytes/workgroup (compile time only)
; SGPRBlocks: 5
; VGPRBlocks: 49
; NumSGPRsForWavesPerEU: 44
; NumVGPRsForWavesPerEU: 400
; AccumOffset: 256
; Occupancy: 1
; WaveLimiterHint : 0
; COMPUTE_PGM_RSRC2:SCRATCH_EN: 0
; COMPUTE_PGM_RSRC2:USER_SGPR: 2
; COMPUTE_PGM_RSRC2:TRAP_HANDLER: 0
; COMPUTE_PGM_RSRC2:TGID_X_EN: 1
; COMPUTE_PGM_RSRC2:TGID_Y_EN: 1
; COMPUTE_PGM_RSRC2:TGID_Z_EN: 0
; COMPUTE_PGM_RSRC2:TIDIG_COMP_CNT: 1
; COMPUTE_PGM_RSRC3_GFX90A:ACCUM_OFFSET: 63
; COMPUTE_PGM_RSRC3_GFX90A:TG_SPLIT: 0
	.section	.text._ZN2at6native12_GLOBAL__N_135GammaBetaBackwardCUDAKernelTemplateIddLj64ELj1ELj8ELb1ELb1ELb1EEEvllPKT_S5_PKT0_S8_PS3_S9_,"axG",@progbits,_ZN2at6native12_GLOBAL__N_135GammaBetaBackwardCUDAKernelTemplateIddLj64ELj1ELj8ELb1ELb1ELb1EEEvllPKT_S5_PKT0_S8_PS3_S9_,comdat
	.globl	_ZN2at6native12_GLOBAL__N_135GammaBetaBackwardCUDAKernelTemplateIddLj64ELj1ELj8ELb1ELb1ELb1EEEvllPKT_S5_PKT0_S8_PS3_S9_ ; -- Begin function _ZN2at6native12_GLOBAL__N_135GammaBetaBackwardCUDAKernelTemplateIddLj64ELj1ELj8ELb1ELb1ELb1EEEvllPKT_S5_PKT0_S8_PS3_S9_
	.p2align	8
	.type	_ZN2at6native12_GLOBAL__N_135GammaBetaBackwardCUDAKernelTemplateIddLj64ELj1ELj8ELb1ELb1ELb1EEEvllPKT_S5_PKT0_S8_PS3_S9_,@function
_ZN2at6native12_GLOBAL__N_135GammaBetaBackwardCUDAKernelTemplateIddLj64ELj1ELj8ELb1ELb1ELb1EEEvllPKT_S5_PKT0_S8_PS3_S9_: ; @_ZN2at6native12_GLOBAL__N_135GammaBetaBackwardCUDAKernelTemplateIddLj64ELj1ELj8ELb1ELb1ELb1EEEvllPKT_S5_PKT0_S8_PS3_S9_
; %bb.0:
	s_load_dwordx4 s[8:11], s[0:1], 0x0
	s_load_dwordx2 s[16:17], s[0:1], 0x30
	s_lshl_b32 s18, s3, 3
	s_mov_b32 s19, 0
	s_mov_b32 s6, s3
	s_waitcnt lgkmcnt(0)
	v_mov_b64_e32 v[2:3], s[8:9]
	v_cmp_ge_i64_e32 vcc, s[18:19], v[2:3]
	v_mov_b64_e32 v[4:5], 0
	v_bfe_u32 v2, v0, 10, 10
	s_cbranch_vccnz .LBB121_7
; %bb.1:
	s_load_dword s3, s[0:1], 0x4c
	s_load_dword s7, s[0:1], 0x44
	s_load_dwordx4 s[12:15], s[0:1], 0x10
	s_load_dwordx2 s[22:23], s[0:1], 0x28
	v_and_b32_e32 v1, 0x3ff, v0
	s_waitcnt lgkmcnt(0)
	s_and_b32 s3, s3, 0xffff
	v_mad_u32_u24 v3, v2, s3, v1
	v_lshlrev_b32_e32 v6, 3, v2
	v_mov_b32_e32 v7, 0
	v_lshl_or_b32 v10, s2, 6, v1
	v_mbcnt_lo_u32_b32 v1, -1, 0
	v_and_b32_e32 v4, 63, v3
	v_mov_b32_e32 v5, v7
	v_mbcnt_hi_u32_b32 v1, -1, v1
	s_lshl_b32 s20, s7, 3
	v_lshl_add_u64 v[12:13], v[6:7], 0, s[18:19]
	v_cmp_gt_u32_e64 s[4:5], 8, v4
	v_mov_b32_e32 v11, v7
	v_lshlrev_b32_e32 v1, 2, v1
	v_lshl_add_u64 v[6:7], v[12:13], 0, v[4:5]
	v_mul_lo_u32 v14, s11, v12
	v_mul_lo_u32 v13, s10, v13
	v_mad_u64_u32 v[4:5], s[24:25], s10, v12, 0
	s_mul_i32 s3, s11, s20
	s_mul_hi_u32 s7, s10, s20
	v_and_b32_e32 v1, 0x100, v1
	s_mov_b32 s21, s19
	v_add3_u32 v5, v5, v13, v14
	v_lshlrev_b64 v[10:11], 3, v[10:11]
	s_add_i32 s25, s7, s3
	s_mul_i32 s24, s10, s20
	v_mov_b64_e32 v[12:13], 0
	v_or_b32_e32 v3, 4, v1
	v_or_b32_e32 v18, 8, v1
	;; [unrolled: 1-line block ×7, first 2 shown]
	v_lshl_add_u64 v[8:9], v[6:7], 3, s[22:23]
	s_lshl_b64 s[22:23], s[20:21], 3
	v_lshl_add_u64 v[10:11], v[4:5], 3, v[10:11]
	s_lshl_b64 s[24:25], s[24:25], 3
	s_lshl_b64 s[26:27], s[10:11], 3
	v_mov_b64_e32 v[14:15], s[8:9]
	v_mov_b64_e32 v[4:5], v[12:13]
	s_branch .LBB121_4
.LBB121_2:                              ;   in Loop: Header=BB121_4 Depth=1
	s_or_b64 exec, exec, s[30:31]
.LBB121_3:                              ;   in Loop: Header=BB121_4 Depth=1
	s_or_b64 exec, exec, s[28:29]
	v_lshl_add_u64 v[24:25], s[12:13], 0, v[10:11]
	v_lshl_add_u64 v[28:29], s[14:15], 0, v[10:11]
	global_load_dwordx2 v[26:27], v[24:25], off
	global_load_dwordx2 v[30:31], v[28:29], off
	v_lshl_add_u64 v[24:25], v[24:25], 0, s[26:27]
	v_lshl_add_u64 v[28:29], v[28:29], 0, s[26:27]
	global_load_dwordx2 v[32:33], v[24:25], off
	global_load_dwordx2 v[34:35], v[28:29], off
	;; [unrolled: 4-line block ×7, first 2 shown]
	v_lshl_add_u64 v[24:25], v[24:25], 0, s[26:27]
	v_lshl_add_u64 v[28:29], v[28:29], 0, s[26:27]
	global_load_dwordx2 v[24:25], v[24:25], off
	s_waitcnt vmcnt(15)
	ds_bpermute_b32 v56, v1, v16
	global_load_dwordx2 v[28:29], v[28:29], off
	ds_bpermute_b32 v57, v1, v17
	s_add_u32 s18, s18, s20
	s_addc_u32 s19, s19, 0
	v_cmp_lt_i64_e32 vcc, s[18:19], v[14:15]
	v_lshl_add_u64 v[8:9], v[8:9], 0, s[22:23]
	v_lshl_add_u64 v[6:7], v[6:7], 0, s[20:21]
	;; [unrolled: 1-line block ×3, first 2 shown]
	s_and_b64 vcc, exec, vcc
	s_waitcnt vmcnt(14)
	v_mul_f64 v[26:27], v[26:27], v[30:31]
	s_waitcnt lgkmcnt(0)
	v_fmac_f64_e32 v[4:5], v[26:27], v[56:57]
	ds_bpermute_b32 v26, v3, v16
	ds_bpermute_b32 v27, v3, v17
	s_waitcnt vmcnt(12)
	v_mul_f64 v[30:31], v[32:33], v[34:35]
	s_waitcnt lgkmcnt(0)
	v_fmac_f64_e32 v[4:5], v[30:31], v[26:27]
	ds_bpermute_b32 v26, v18, v16
	ds_bpermute_b32 v27, v18, v17
	;; [unrolled: 6-line block ×5, first 2 shown]
	s_waitcnt vmcnt(4)
	v_mul_f64 v[30:31], v[48:49], v[50:51]
	s_waitcnt vmcnt(0)
	v_mul_f64 v[24:25], v[24:25], v[28:29]
	s_waitcnt lgkmcnt(0)
	v_fmac_f64_e32 v[4:5], v[30:31], v[26:27]
	ds_bpermute_b32 v26, v22, v16
	ds_bpermute_b32 v27, v22, v17
	;; [unrolled: 1-line block ×4, first 2 shown]
	v_mul_f64 v[30:31], v[52:53], v[54:55]
	s_waitcnt lgkmcnt(2)
	v_fmac_f64_e32 v[4:5], v[30:31], v[26:27]
	s_waitcnt lgkmcnt(0)
	v_fmac_f64_e32 v[4:5], v[24:25], v[16:17]
	s_cbranch_vccz .LBB121_7
.LBB121_4:                              ; =>This Inner Loop Header: Depth=1
	v_mov_b64_e32 v[16:17], v[12:13]
	s_and_saveexec_b64 s[28:29], s[4:5]
	s_cbranch_execz .LBB121_3
; %bb.5:                                ;   in Loop: Header=BB121_4 Depth=1
	v_cmp_gt_i64_e32 vcc, s[8:9], v[6:7]
	v_mov_b64_e32 v[16:17], 0
	s_and_saveexec_b64 s[30:31], vcc
	s_cbranch_execz .LBB121_2
; %bb.6:                                ;   in Loop: Header=BB121_4 Depth=1
	global_load_dwordx2 v[16:17], v[8:9], off
	s_branch .LBB121_2
.LBB121_7:
	s_cmp_eq_u64 s[16:17], 0
	s_cbranch_scc1 .LBB121_9
; %bb.8:
	s_load_dword s0, s[0:1], 0x4c
	v_mov_b32_e32 v3, 0
	v_mov_b32_e32 v1, s6
	s_mov_b32 s3, 0
	v_and_b32_e32 v0, 0x3ff, v0
	s_waitcnt lgkmcnt(0)
	s_lshr_b32 s0, s0, 16
	v_mad_u64_u32 v[6:7], s[0:1], s0, v1, v[2:3]
	v_mul_lo_u32 v1, v7, s10
	v_mul_lo_u32 v2, v6, s11
	v_mad_u64_u32 v[6:7], s[0:1], v6, s10, 0
	s_lshl_b64 s[0:1], s[2:3], 9
	s_add_u32 s0, s0, s16
	v_add3_u32 v7, v7, v2, v1
	s_addc_u32 s1, s1, s17
	v_lshl_add_u64 v[6:7], v[6:7], 3, s[0:1]
	v_lshlrev_b32_e32 v2, 3, v0
	v_lshl_add_u64 v[0:1], v[6:7], 0, v[2:3]
	global_store_dwordx2 v[0:1], v[4:5], off
.LBB121_9:
	s_endpgm
	.section	.rodata,"a",@progbits
	.p2align	6, 0x0
	.amdhsa_kernel _ZN2at6native12_GLOBAL__N_135GammaBetaBackwardCUDAKernelTemplateIddLj64ELj1ELj8ELb1ELb1ELb1EEEvllPKT_S5_PKT0_S8_PS3_S9_
		.amdhsa_group_segment_fixed_size 0
		.amdhsa_private_segment_fixed_size 0
		.amdhsa_kernarg_size 320
		.amdhsa_user_sgpr_count 2
		.amdhsa_user_sgpr_dispatch_ptr 0
		.amdhsa_user_sgpr_queue_ptr 0
		.amdhsa_user_sgpr_kernarg_segment_ptr 1
		.amdhsa_user_sgpr_dispatch_id 0
		.amdhsa_user_sgpr_kernarg_preload_length 0
		.amdhsa_user_sgpr_kernarg_preload_offset 0
		.amdhsa_user_sgpr_private_segment_size 0
		.amdhsa_uses_dynamic_stack 0
		.amdhsa_enable_private_segment 0
		.amdhsa_system_sgpr_workgroup_id_x 1
		.amdhsa_system_sgpr_workgroup_id_y 1
		.amdhsa_system_sgpr_workgroup_id_z 0
		.amdhsa_system_sgpr_workgroup_info 0
		.amdhsa_system_vgpr_workitem_id 1
		.amdhsa_next_free_vgpr 58
		.amdhsa_next_free_sgpr 32
		.amdhsa_accum_offset 60
		.amdhsa_reserve_vcc 1
		.amdhsa_float_round_mode_32 0
		.amdhsa_float_round_mode_16_64 0
		.amdhsa_float_denorm_mode_32 3
		.amdhsa_float_denorm_mode_16_64 3
		.amdhsa_dx10_clamp 1
		.amdhsa_ieee_mode 1
		.amdhsa_fp16_overflow 0
		.amdhsa_tg_split 0
		.amdhsa_exception_fp_ieee_invalid_op 0
		.amdhsa_exception_fp_denorm_src 0
		.amdhsa_exception_fp_ieee_div_zero 0
		.amdhsa_exception_fp_ieee_overflow 0
		.amdhsa_exception_fp_ieee_underflow 0
		.amdhsa_exception_fp_ieee_inexact 0
		.amdhsa_exception_int_div_zero 0
	.end_amdhsa_kernel
	.section	.text._ZN2at6native12_GLOBAL__N_135GammaBetaBackwardCUDAKernelTemplateIddLj64ELj1ELj8ELb1ELb1ELb1EEEvllPKT_S5_PKT0_S8_PS3_S9_,"axG",@progbits,_ZN2at6native12_GLOBAL__N_135GammaBetaBackwardCUDAKernelTemplateIddLj64ELj1ELj8ELb1ELb1ELb1EEEvllPKT_S5_PKT0_S8_PS3_S9_,comdat
.Lfunc_end121:
	.size	_ZN2at6native12_GLOBAL__N_135GammaBetaBackwardCUDAKernelTemplateIddLj64ELj1ELj8ELb1ELb1ELb1EEEvllPKT_S5_PKT0_S8_PS3_S9_, .Lfunc_end121-_ZN2at6native12_GLOBAL__N_135GammaBetaBackwardCUDAKernelTemplateIddLj64ELj1ELj8ELb1ELb1ELb1EEEvllPKT_S5_PKT0_S8_PS3_S9_
                                        ; -- End function
	.section	.AMDGPU.csdata,"",@progbits
; Kernel info:
; codeLenInByte = 1096
; NumSgprs: 38
; NumVgprs: 58
; NumAgprs: 0
; TotalNumVgprs: 58
; ScratchSize: 0
; MemoryBound: 0
; FloatMode: 240
; IeeeMode: 1
; LDSByteSize: 0 bytes/workgroup (compile time only)
; SGPRBlocks: 4
; VGPRBlocks: 7
; NumSGPRsForWavesPerEU: 38
; NumVGPRsForWavesPerEU: 58
; AccumOffset: 60
; Occupancy: 8
; WaveLimiterHint : 0
; COMPUTE_PGM_RSRC2:SCRATCH_EN: 0
; COMPUTE_PGM_RSRC2:USER_SGPR: 2
; COMPUTE_PGM_RSRC2:TRAP_HANDLER: 0
; COMPUTE_PGM_RSRC2:TGID_X_EN: 1
; COMPUTE_PGM_RSRC2:TGID_Y_EN: 1
; COMPUTE_PGM_RSRC2:TGID_Z_EN: 0
; COMPUTE_PGM_RSRC2:TIDIG_COMP_CNT: 1
; COMPUTE_PGM_RSRC3_GFX90A:ACCUM_OFFSET: 14
; COMPUTE_PGM_RSRC3_GFX90A:TG_SPLIT: 0
	.section	.text._ZN2at6native12_GLOBAL__N_135GammaBetaBackwardCUDAKernelTemplateIddLj64ELj1ELj8ELb1ELb0ELb1EEEvllPKT_S5_PKT0_S8_PS3_S9_,"axG",@progbits,_ZN2at6native12_GLOBAL__N_135GammaBetaBackwardCUDAKernelTemplateIddLj64ELj1ELj8ELb1ELb0ELb1EEEvllPKT_S5_PKT0_S8_PS3_S9_,comdat
	.globl	_ZN2at6native12_GLOBAL__N_135GammaBetaBackwardCUDAKernelTemplateIddLj64ELj1ELj8ELb1ELb0ELb1EEEvllPKT_S5_PKT0_S8_PS3_S9_ ; -- Begin function _ZN2at6native12_GLOBAL__N_135GammaBetaBackwardCUDAKernelTemplateIddLj64ELj1ELj8ELb1ELb0ELb1EEEvllPKT_S5_PKT0_S8_PS3_S9_
	.p2align	8
	.type	_ZN2at6native12_GLOBAL__N_135GammaBetaBackwardCUDAKernelTemplateIddLj64ELj1ELj8ELb1ELb0ELb1EEEvllPKT_S5_PKT0_S8_PS3_S9_,@function
_ZN2at6native12_GLOBAL__N_135GammaBetaBackwardCUDAKernelTemplateIddLj64ELj1ELj8ELb1ELb0ELb1EEEvllPKT_S5_PKT0_S8_PS3_S9_: ; @_ZN2at6native12_GLOBAL__N_135GammaBetaBackwardCUDAKernelTemplateIddLj64ELj1ELj8ELb1ELb0ELb1EEEvllPKT_S5_PKT0_S8_PS3_S9_
; %bb.0:
	s_load_dwordx8 s[36:43], s[0:1], 0x0
	s_load_dwordx2 s[10:11], s[0:1], 0x28
	s_mov_b32 s8, s3
	s_lshl_b32 s3, s2, 6
	s_or_b32 s28, s3, 63
	s_mov_b32 s29, 0
	s_waitcnt lgkmcnt(0)
	v_mov_b64_e32 v[2:3], s[38:39]
	v_cmp_ge_i64_e32 vcc, s[28:29], v[2:3]
	s_lshl_b32 s28, s8, 3
	v_mov_b64_e32 v[2:3], s[36:37]
	v_cmp_lt_i64_e64 s[4:5], s[28:29], v[2:3]
	s_nop 1
	v_cndmask_b32_e64 v1, 0, 1, s[4:5]
	v_cmp_ne_u32_e64 s[4:5], 1, v1
	s_cbranch_vccz .LBB122_49
; %bb.1:
	s_and_b64 vcc, exec, s[4:5]
	v_mov_b64_e32 v[2:3], 0
	s_cbranch_vccnz .LBB122_50
; %bb.2:
	v_mov_b32_e32 v5, 0
	v_bfe_u32 v92, v0, 10, 10
	s_load_dword s9, s[0:1], 0x44
	v_lshlrev_b32_e32 v50, 3, v92
	v_mov_b32_e32 v51, v5
	v_and_b32_e32 v1, 0x3ff, v0
	v_lshl_add_u64 v[2:3], v[50:51], 0, s[28:29]
	v_add_u32_e32 v4, s3, v1
	v_lshl_add_u64 v[6:7], v[2:3], 0, 7
	s_add_u32 s30, s0, 64
	v_cmp_gt_i64_e64 s[6:7], s[38:39], v[4:5]
	v_lshlrev_b64 v[52:53], 3, v[4:5]
	v_mul_lo_u32 v4, s39, v6
	v_mul_lo_u32 v8, s38, v7
	v_mad_u64_u32 v[6:7], s[14:15], s38, v6, 0
	s_addc_u32 s31, s1, 0
	s_waitcnt lgkmcnt(0)
	s_lshl_b32 s34, s9, 3
	v_add3_u32 v7, v7, v8, v4
	v_lshlrev_b64 v[6:7], 3, v[6:7]
	s_mul_i32 s9, s39, s34
	s_mul_hi_u32 s13, s38, s34
	v_lshl_add_u64 v[54:55], s[40:41], 0, v[6:7]
	s_add_i32 s15, s13, s9
	s_mul_i32 s14, s38, s34
	v_lshl_add_u64 v[56:57], s[42:43], 0, v[6:7]
	v_lshl_add_u64 v[6:7], v[2:3], 0, 6
	s_lshl_b64 s[46:47], s[14:15], 3
	v_mul_lo_u32 v4, s39, v6
	v_mul_lo_u32 v8, s38, v7
	v_mad_u64_u32 v[6:7], s[14:15], s38, v6, 0
	v_add3_u32 v7, v7, v8, v4
	v_lshlrev_b64 v[6:7], 3, v[6:7]
	v_lshl_add_u64 v[58:59], s[40:41], 0, v[6:7]
	v_lshl_add_u64 v[60:61], s[42:43], 0, v[6:7]
	v_lshl_add_u64 v[6:7], v[2:3], 0, 5
	v_mul_lo_u32 v4, s39, v6
	v_mul_lo_u32 v8, s38, v7
	v_mad_u64_u32 v[6:7], s[14:15], s38, v6, 0
	v_add3_u32 v7, v7, v8, v4
	v_lshlrev_b64 v[6:7], 3, v[6:7]
	v_lshl_add_u64 v[62:63], s[40:41], 0, v[6:7]
	v_lshl_add_u64 v[64:65], s[42:43], 0, v[6:7]
	v_lshl_add_u64 v[6:7], v[2:3], 0, 4
	;; [unrolled: 8-line block ×4, first 2 shown]
	v_mul_lo_u32 v4, s39, v6
	v_mul_lo_u32 v8, s38, v7
	v_mad_u64_u32 v[6:7], s[14:15], s38, v6, 0
	v_add3_u32 v7, v7, v8, v4
	v_lshlrev_b64 v[6:7], 3, v[6:7]
	v_lshl_add_u64 v[74:75], s[40:41], 0, v[6:7]
	v_lshl_add_u64 v[76:77], s[42:43], 0, v[6:7]
	v_mov_b64_e32 v[6:7], s[38:39]
	v_mad_u64_u32 v[6:7], s[14:15], s38, v2, v[6:7]
	v_mul_lo_u32 v4, s38, v3
	v_mul_lo_u32 v8, s39, v2
	v_mad_u64_u32 v[2:3], s[14:15], s38, v2, 0
	v_add3_u32 v3, v3, v4, v8
	v_lshlrev_b64 v[2:3], 3, v[2:3]
	v_lshl_add_u64 v[82:83], s[40:41], 0, v[2:3]
	v_lshl_add_u64 v[84:85], s[42:43], 0, v[2:3]
	v_mbcnt_lo_u32_b32 v2, -1, 0
	v_add3_u32 v7, v8, v7, v4
	v_mbcnt_hi_u32_b32 v2, -1, v2
	s_mov_b32 s12, 0
	v_lshlrev_b64 v[6:7], 3, v[6:7]
	v_lshlrev_b32_e32 v2, 2, v2
	s_mov_b32 s35, s12
	s_mov_b64 s[44:45], 7
	v_lshl_add_u64 v[78:79], s[40:41], 0, v[6:7]
	v_lshl_add_u64 v[80:81], s[42:43], 0, v[6:7]
	v_mov_b64_e32 v[86:87], 0
	v_and_b32_e32 v93, 0x100, v2
	s_mov_b64 s[48:49], s[28:29]
.LBB122_3:                              ; =>This Inner Loop Header: Depth=1
	s_add_u32 s14, s28, s44
	s_addc_u32 s15, 0, s45
	v_mov_b64_e32 v[2:3], s[36:37]
	v_cmp_ge_i64_e32 vcc, s[14:15], v[2:3]
	v_lshl_add_u64 v[88:89], s[28:29], 0, v[50:51]
	s_cbranch_vccz .LBB122_25
; %bb.4:                                ;   in Loop: Header=BB122_3 Depth=1
	s_load_dword s9, s[30:31], 0xc
	v_mov_b64_e32 v[90:91], 0
	s_waitcnt lgkmcnt(0)
	s_and_b32 s9, s9, 0xffff
	v_mad_u32_u24 v2, v92, s9, v1
	v_and_b32_e32 v4, 63, v2
	v_cmp_gt_u32_e32 vcc, 8, v4
	s_and_saveexec_b64 s[14:15], vcc
	s_cbranch_execz .LBB122_8
; %bb.5:                                ;   in Loop: Header=BB122_3 Depth=1
	v_lshl_add_u64 v[2:3], v[88:89], 0, v[4:5]
	v_cmp_gt_i64_e32 vcc, s[36:37], v[2:3]
	v_mov_b64_e32 v[90:91], 0
	s_and_saveexec_b64 s[16:17], vcc
	s_cbranch_execz .LBB122_7
; %bb.6:                                ;   in Loop: Header=BB122_3 Depth=1
	v_lshl_add_u64 v[2:3], v[2:3], 3, s[10:11]
	global_load_dwordx2 v[90:91], v[2:3], off
.LBB122_7:                              ;   in Loop: Header=BB122_3 Depth=1
	s_or_b64 exec, exec, s[16:17]
.LBB122_8:                              ;   in Loop: Header=BB122_3 Depth=1
	s_or_b64 exec, exec, s[14:15]
	s_mov_b32 s26, s12
	s_mov_b32 s27, s12
	s_mov_b32 s13, s12
	s_mov_b32 s14, s12
	s_mov_b32 s15, s12
	s_mov_b32 s16, s12
	s_mov_b32 s17, s12
	s_mov_b32 s18, s12
	s_mov_b32 s19, s12
	s_mov_b32 s20, s12
	s_mov_b32 s21, s12
	s_mov_b32 s22, s12
	s_mov_b32 s23, s12
	s_mov_b32 s24, s12
	s_mov_b32 s25, s12
	v_mov_b64_e32 v[32:33], s[26:27]
	v_cmp_gt_i64_e32 vcc, s[36:37], v[88:89]
	v_mov_b64_e32 v[30:31], s[24:25]
	v_mov_b64_e32 v[28:29], s[22:23]
	;; [unrolled: 1-line block ×8, first 2 shown]
	s_and_b64 s[50:51], s[6:7], vcc
	v_mov_b64_e32 v[46:47], v[30:31]
	v_mov_b64_e32 v[44:45], v[28:29]
	;; [unrolled: 1-line block ×7, first 2 shown]
	s_and_saveexec_b64 s[14:15], s[50:51]
	s_cbranch_execz .LBB122_10
; %bb.9:                                ;   in Loop: Header=BB122_3 Depth=1
	v_lshl_add_u64 v[2:3], v[82:83], 0, v[52:53]
	global_load_dwordx2 v[2:3], v[2:3], off
	v_lshl_add_u64 v[6:7], v[84:85], 0, v[52:53]
	global_load_dwordx2 v[18:19], v[6:7], off
	v_mov_b32_e32 v16, v5
	v_mov_b32_e32 v17, v5
	;; [unrolled: 1-line block ×13, first 2 shown]
	s_waitcnt vmcnt(1)
	v_mov_b64_e32 v[48:49], v[16:17]
	v_mov_b32_e32 v20, v5
	v_mov_b32_e32 v21, v5
	;; [unrolled: 1-line block ×14, first 2 shown]
	v_mov_b64_e32 v[46:47], v[14:15]
	v_mov_b64_e32 v[44:45], v[12:13]
	;; [unrolled: 1-line block ×7, first 2 shown]
.LBB122_10:                             ;   in Loop: Header=BB122_3 Depth=1
	s_or_b64 exec, exec, s[14:15]
	v_lshl_add_u64 v[2:3], v[88:89], 0, 1
	v_cmp_gt_i64_e32 vcc, s[36:37], v[2:3]
	s_and_b64 s[16:17], s[6:7], vcc
	s_and_saveexec_b64 s[14:15], s[16:17]
	s_cbranch_execz .LBB122_12
; %bb.11:                               ;   in Loop: Header=BB122_3 Depth=1
	v_lshl_add_u64 v[2:3], v[78:79], 0, v[52:53]
	global_load_dwordx2 v[36:37], v[2:3], off
	v_lshl_add_u64 v[2:3], v[80:81], 0, v[52:53]
	global_load_dwordx2 v[20:21], v[2:3], off
.LBB122_12:                             ;   in Loop: Header=BB122_3 Depth=1
	s_or_b64 exec, exec, s[14:15]
	v_lshl_add_u64 v[2:3], v[88:89], 0, 2
	v_cmp_gt_i64_e32 vcc, s[36:37], v[2:3]
	s_and_b64 s[16:17], s[6:7], vcc
	s_and_saveexec_b64 s[14:15], s[16:17]
	s_cbranch_execz .LBB122_14
; %bb.13:                               ;   in Loop: Header=BB122_3 Depth=1
	v_lshl_add_u64 v[2:3], v[74:75], 0, v[52:53]
	global_load_dwordx2 v[38:39], v[2:3], off
	v_lshl_add_u64 v[2:3], v[76:77], 0, v[52:53]
	global_load_dwordx2 v[22:23], v[2:3], off
.LBB122_14:                             ;   in Loop: Header=BB122_3 Depth=1
	;; [unrolled: 12-line block ×7, first 2 shown]
	s_or_b64 exec, exec, s[14:15]
	s_waitcnt vmcnt(0)
	ds_bpermute_b32 v2, v93, v90
	ds_bpermute_b32 v3, v93, v91
	ds_bpermute_b32 v6, v93, v90 offset:4
	ds_bpermute_b32 v7, v93, v91 offset:4
	v_mul_f64 v[8:9], v[18:19], v[34:35]
	ds_bpermute_b32 v10, v93, v90 offset:12
	s_waitcnt lgkmcnt(3)
	v_fma_f64 v[2:3], v[8:9], v[2:3], v[86:87]
	v_mul_f64 v[8:9], v[20:21], v[36:37]
	s_waitcnt lgkmcnt(1)
	v_fmac_f64_e32 v[2:3], v[8:9], v[6:7]
	ds_bpermute_b32 v6, v93, v90 offset:8
	ds_bpermute_b32 v7, v93, v91 offset:8
	;; [unrolled: 1-line block ×5, first 2 shown]
	v_mul_f64 v[8:9], v[22:23], v[38:39]
	s_waitcnt lgkmcnt(3)
	v_fmac_f64_e32 v[2:3], v[8:9], v[6:7]
	v_mul_f64 v[6:7], v[24:25], v[40:41]
	s_waitcnt lgkmcnt(2)
	v_fmac_f64_e32 v[2:3], v[6:7], v[10:11]
	v_mul_f64 v[6:7], v[26:27], v[42:43]
	ds_bpermute_b32 v8, v93, v90 offset:20
	ds_bpermute_b32 v9, v93, v91 offset:20
	s_waitcnt lgkmcnt(2)
	v_fmac_f64_e32 v[2:3], v[6:7], v[12:13]
	ds_bpermute_b32 v12, v93, v90 offset:24
	ds_bpermute_b32 v13, v93, v91 offset:24
	;; [unrolled: 1-line block ×4, first 2 shown]
	v_mul_f64 v[10:11], v[28:29], v[44:45]
	s_waitcnt lgkmcnt(4)
	v_fmac_f64_e32 v[2:3], v[10:11], v[8:9]
	v_mul_f64 v[8:9], v[30:31], v[46:47]
	s_waitcnt lgkmcnt(2)
	v_fmac_f64_e32 v[2:3], v[8:9], v[12:13]
	s_branch .LBB122_40
.LBB122_25:                             ;   in Loop: Header=BB122_3 Depth=1
                                        ; implicit-def: $vgpr2_vgpr3
                                        ; implicit-def: $vgpr18_vgpr19_vgpr20_vgpr21_vgpr22_vgpr23_vgpr24_vgpr25_vgpr26_vgpr27_vgpr28_vgpr29_vgpr30_vgpr31_vgpr32_vgpr33
                                        ; implicit-def: $vgpr34_vgpr35_vgpr36_vgpr37_vgpr38_vgpr39_vgpr40_vgpr41_vgpr42_vgpr43_vgpr44_vgpr45_vgpr46_vgpr47_vgpr48_vgpr49
                                        ; implicit-def: $vgpr6
	s_cbranch_execz .LBB122_40
; %bb.26:                               ;   in Loop: Header=BB122_3 Depth=1
	s_load_dword s9, s[30:31], 0x0
	v_mov_b64_e32 v[90:91], 0
	s_waitcnt lgkmcnt(0)
	s_cmp_lt_u32 s2, s9
	s_cselect_b32 s9, 12, 18
	s_add_u32 s14, s30, s9
	s_addc_u32 s15, s31, 0
	global_load_ushort v2, v5, s[14:15]
	s_waitcnt vmcnt(0)
	v_mad_u32_u24 v2, v92, v2, v1
	v_and_b32_e32 v4, 63, v2
	v_cmp_gt_u32_e32 vcc, 8, v4
	s_and_saveexec_b64 s[14:15], vcc
	s_cbranch_execz .LBB122_30
; %bb.27:                               ;   in Loop: Header=BB122_3 Depth=1
	v_lshl_add_u64 v[2:3], v[88:89], 0, v[4:5]
	v_cmp_gt_i64_e32 vcc, s[36:37], v[2:3]
	v_mov_b64_e32 v[90:91], 0
	s_and_saveexec_b64 s[16:17], vcc
	s_cbranch_execz .LBB122_29
; %bb.28:                               ;   in Loop: Header=BB122_3 Depth=1
	v_lshl_add_u64 v[2:3], v[2:3], 3, s[10:11]
	global_load_dwordx2 v[90:91], v[2:3], off
.LBB122_29:                             ;   in Loop: Header=BB122_3 Depth=1
	s_or_b64 exec, exec, s[16:17]
.LBB122_30:                             ;   in Loop: Header=BB122_3 Depth=1
	s_or_b64 exec, exec, s[14:15]
	s_mov_b32 s26, s12
	s_mov_b32 s27, s12
	;; [unrolled: 1-line block ×15, first 2 shown]
	v_mov_b64_e32 v[32:33], s[26:27]
	v_mov_b64_e32 v[30:31], s[24:25]
	;; [unrolled: 1-line block ×16, first 2 shown]
	s_and_saveexec_b64 s[14:15], s[6:7]
	s_cbranch_execnz .LBB122_42
; %bb.31:                               ;   in Loop: Header=BB122_3 Depth=1
	s_or_b64 exec, exec, s[14:15]
	s_and_saveexec_b64 s[14:15], s[6:7]
	s_cbranch_execnz .LBB122_43
.LBB122_32:                             ;   in Loop: Header=BB122_3 Depth=1
	s_or_b64 exec, exec, s[14:15]
	s_and_saveexec_b64 s[14:15], s[6:7]
	s_cbranch_execnz .LBB122_44
.LBB122_33:                             ;   in Loop: Header=BB122_3 Depth=1
	s_or_b64 exec, exec, s[14:15]
	s_and_saveexec_b64 s[14:15], s[6:7]
	s_cbranch_execnz .LBB122_45
.LBB122_34:                             ;   in Loop: Header=BB122_3 Depth=1
	s_or_b64 exec, exec, s[14:15]
	s_and_saveexec_b64 s[14:15], s[6:7]
	s_cbranch_execnz .LBB122_46
.LBB122_35:                             ;   in Loop: Header=BB122_3 Depth=1
	s_or_b64 exec, exec, s[14:15]
	s_and_saveexec_b64 s[14:15], s[6:7]
	s_cbranch_execnz .LBB122_47
.LBB122_36:                             ;   in Loop: Header=BB122_3 Depth=1
	s_or_b64 exec, exec, s[14:15]
	s_and_saveexec_b64 s[14:15], s[6:7]
	s_cbranch_execnz .LBB122_48
.LBB122_37:                             ;   in Loop: Header=BB122_3 Depth=1
	s_or_b64 exec, exec, s[14:15]
	s_and_saveexec_b64 s[14:15], s[6:7]
	s_cbranch_execz .LBB122_39
.LBB122_38:                             ;   in Loop: Header=BB122_3 Depth=1
	v_lshl_add_u64 v[2:3], v[54:55], 0, v[52:53]
	global_load_dwordx2 v[48:49], v[2:3], off
	v_lshl_add_u64 v[2:3], v[56:57], 0, v[52:53]
	global_load_dwordx2 v[32:33], v[2:3], off
.LBB122_39:                             ;   in Loop: Header=BB122_3 Depth=1
	s_or_b64 exec, exec, s[14:15]
	s_waitcnt vmcnt(0)
	ds_bpermute_b32 v2, v93, v90
	ds_bpermute_b32 v3, v93, v91
	ds_bpermute_b32 v6, v93, v90 offset:4
	ds_bpermute_b32 v7, v93, v91 offset:4
	v_mul_f64 v[8:9], v[18:19], v[34:35]
	ds_bpermute_b32 v10, v93, v90 offset:16
	s_waitcnt lgkmcnt(3)
	v_fmac_f64_e32 v[86:87], v[8:9], v[2:3]
	v_mul_f64 v[2:3], v[20:21], v[36:37]
	s_waitcnt lgkmcnt(1)
	v_fmac_f64_e32 v[86:87], v[2:3], v[6:7]
	ds_bpermute_b32 v2, v93, v90 offset:8
	ds_bpermute_b32 v3, v93, v91 offset:8
	;; [unrolled: 1-line block ×5, first 2 shown]
	v_mul_f64 v[6:7], v[22:23], v[38:39]
	s_waitcnt lgkmcnt(3)
	v_fmac_f64_e32 v[86:87], v[6:7], v[2:3]
	v_mul_f64 v[2:3], v[24:25], v[40:41]
	s_waitcnt lgkmcnt(1)
	v_fmac_f64_e32 v[86:87], v[2:3], v[8:9]
	;; [unrolled: 3-line block ×3, first 2 shown]
	ds_bpermute_b32 v2, v93, v90 offset:20
	ds_bpermute_b32 v3, v93, v91 offset:20
	;; [unrolled: 1-line block ×4, first 2 shown]
	v_mul_f64 v[8:9], v[28:29], v[44:45]
	ds_bpermute_b32 v6, v93, v90 offset:28
	s_waitcnt lgkmcnt(3)
	v_fmac_f64_e32 v[86:87], v[8:9], v[2:3]
	v_mul_f64 v[2:3], v[30:31], v[46:47]
	s_waitcnt lgkmcnt(1)
	v_fmac_f64_e32 v[86:87], v[2:3], v[10:11]
	ds_bpermute_b32 v7, v93, v91 offset:28
	v_mov_b64_e32 v[2:3], v[86:87]
.LBB122_40:                             ;   in Loop: Header=BB122_3 Depth=1
	v_mul_f64 v[8:9], v[48:49], v[32:33]
	s_add_u32 s48, s48, s34
	s_waitcnt lgkmcnt(0)
	v_fmac_f64_e32 v[2:3], v[8:9], v[6:7]
	s_addc_u32 s49, s49, 0
	v_mov_b64_e32 v[6:7], s[36:37]
	s_add_u32 s44, s44, s34
	v_cmp_lt_i64_e32 vcc, s[48:49], v[6:7]
	v_lshl_add_u64 v[54:55], v[54:55], 0, s[46:47]
	v_lshl_add_u64 v[56:57], v[56:57], 0, s[46:47]
	v_lshl_add_u64 v[58:59], v[58:59], 0, s[46:47]
	v_lshl_add_u64 v[60:61], v[60:61], 0, s[46:47]
	v_lshl_add_u64 v[62:63], v[62:63], 0, s[46:47]
	v_lshl_add_u64 v[64:65], v[64:65], 0, s[46:47]
	v_lshl_add_u64 v[66:67], v[66:67], 0, s[46:47]
	v_lshl_add_u64 v[68:69], v[68:69], 0, s[46:47]
	v_lshl_add_u64 v[70:71], v[70:71], 0, s[46:47]
	v_lshl_add_u64 v[72:73], v[72:73], 0, s[46:47]
	v_lshl_add_u64 v[74:75], v[74:75], 0, s[46:47]
	v_lshl_add_u64 v[76:77], v[76:77], 0, s[46:47]
	v_lshl_add_u64 v[78:79], v[78:79], 0, s[46:47]
	v_lshl_add_u64 v[80:81], v[80:81], 0, s[46:47]
	v_lshl_add_u64 v[50:51], v[50:51], 0, s[34:35]
	v_lshl_add_u64 v[82:83], v[82:83], 0, s[46:47]
	v_lshl_add_u64 v[84:85], v[84:85], 0, s[46:47]
	s_addc_u32 s45, s45, 0
	s_cbranch_vccz .LBB122_50
; %bb.41:                               ;   in Loop: Header=BB122_3 Depth=1
	v_mov_b64_e32 v[86:87], v[2:3]
	s_branch .LBB122_3
.LBB122_42:                             ;   in Loop: Header=BB122_3 Depth=1
	v_lshl_add_u64 v[2:3], v[82:83], 0, v[52:53]
	global_load_dwordx2 v[2:3], v[2:3], off
	v_lshl_add_u64 v[6:7], v[84:85], 0, v[52:53]
	global_load_dwordx2 v[18:19], v[6:7], off
	v_mov_b32_e32 v16, v5
	v_mov_b32_e32 v17, v5
	;; [unrolled: 1-line block ×13, first 2 shown]
	s_waitcnt vmcnt(1)
	v_mov_b64_e32 v[48:49], v[16:17]
	v_mov_b32_e32 v20, v5
	v_mov_b32_e32 v21, v5
	v_mov_b32_e32 v22, v5
	v_mov_b32_e32 v23, v5
	v_mov_b32_e32 v24, v5
	v_mov_b32_e32 v25, v5
	v_mov_b32_e32 v26, v5
	v_mov_b32_e32 v27, v5
	v_mov_b32_e32 v28, v5
	v_mov_b32_e32 v29, v5
	v_mov_b32_e32 v30, v5
	v_mov_b32_e32 v31, v5
	v_mov_b32_e32 v32, v5
	v_mov_b32_e32 v33, v5
	v_mov_b64_e32 v[46:47], v[14:15]
	v_mov_b64_e32 v[44:45], v[12:13]
	;; [unrolled: 1-line block ×7, first 2 shown]
	s_or_b64 exec, exec, s[14:15]
	s_and_saveexec_b64 s[14:15], s[6:7]
	s_cbranch_execz .LBB122_32
.LBB122_43:                             ;   in Loop: Header=BB122_3 Depth=1
	v_lshl_add_u64 v[2:3], v[78:79], 0, v[52:53]
	global_load_dwordx2 v[36:37], v[2:3], off
	v_lshl_add_u64 v[2:3], v[80:81], 0, v[52:53]
	global_load_dwordx2 v[20:21], v[2:3], off
	s_or_b64 exec, exec, s[14:15]
	s_and_saveexec_b64 s[14:15], s[6:7]
	s_cbranch_execz .LBB122_33
.LBB122_44:                             ;   in Loop: Header=BB122_3 Depth=1
	v_lshl_add_u64 v[2:3], v[74:75], 0, v[52:53]
	global_load_dwordx2 v[38:39], v[2:3], off
	v_lshl_add_u64 v[2:3], v[76:77], 0, v[52:53]
	global_load_dwordx2 v[22:23], v[2:3], off
	s_or_b64 exec, exec, s[14:15]
	s_and_saveexec_b64 s[14:15], s[6:7]
	s_cbranch_execz .LBB122_34
.LBB122_45:                             ;   in Loop: Header=BB122_3 Depth=1
	v_lshl_add_u64 v[2:3], v[70:71], 0, v[52:53]
	global_load_dwordx2 v[40:41], v[2:3], off
	v_lshl_add_u64 v[2:3], v[72:73], 0, v[52:53]
	global_load_dwordx2 v[24:25], v[2:3], off
	s_or_b64 exec, exec, s[14:15]
	s_and_saveexec_b64 s[14:15], s[6:7]
	s_cbranch_execz .LBB122_35
.LBB122_46:                             ;   in Loop: Header=BB122_3 Depth=1
	v_lshl_add_u64 v[2:3], v[66:67], 0, v[52:53]
	global_load_dwordx2 v[42:43], v[2:3], off
	v_lshl_add_u64 v[2:3], v[68:69], 0, v[52:53]
	global_load_dwordx2 v[26:27], v[2:3], off
	s_or_b64 exec, exec, s[14:15]
	s_and_saveexec_b64 s[14:15], s[6:7]
	s_cbranch_execz .LBB122_36
.LBB122_47:                             ;   in Loop: Header=BB122_3 Depth=1
	v_lshl_add_u64 v[2:3], v[62:63], 0, v[52:53]
	global_load_dwordx2 v[44:45], v[2:3], off
	v_lshl_add_u64 v[2:3], v[64:65], 0, v[52:53]
	global_load_dwordx2 v[28:29], v[2:3], off
	s_or_b64 exec, exec, s[14:15]
	s_and_saveexec_b64 s[14:15], s[6:7]
	s_cbranch_execz .LBB122_37
.LBB122_48:                             ;   in Loop: Header=BB122_3 Depth=1
	v_lshl_add_u64 v[2:3], v[58:59], 0, v[52:53]
	global_load_dwordx2 v[46:47], v[2:3], off
	v_lshl_add_u64 v[2:3], v[60:61], 0, v[52:53]
	global_load_dwordx2 v[30:31], v[2:3], off
	s_or_b64 exec, exec, s[14:15]
	s_and_saveexec_b64 s[14:15], s[6:7]
	s_cbranch_execnz .LBB122_38
	s_branch .LBB122_39
.LBB122_49:
                                        ; implicit-def: $vgpr2_vgpr3
	s_load_dwordx2 s[6:7], s[0:1], 0x30
	s_branch .LBB122_51
.LBB122_50:
	s_load_dwordx2 s[6:7], s[0:1], 0x30
	s_cbranch_execnz .LBB122_83
.LBB122_51:
	s_and_b64 vcc, exec, s[4:5]
	v_mov_b64_e32 v[2:3], 0
	s_cbranch_vccnz .LBB122_83
; %bb.52:
	v_and_b32_e32 v1, 0x3ff, v0
	v_add_u32_e32 v4, s3, v1
	v_mov_b32_e32 v5, 0
	v_bfe_u32 v120, v0, 10, 10
	v_lshlrev_b64 v[52:53], 3, v[4:5]
	v_lshlrev_b32_e32 v4, 6, v120
	v_lshl_add_u64 v[2:3], s[28:29], 3, v[4:5]
	v_lshl_add_u64 v[6:7], v[2:3], 0, 8
	v_mov_b64_e32 v[8:9], s[40:41]
	v_mov_b64_e32 v[18:19], s[42:43]
	v_mad_u64_u32 v[54:55], s[4:5], s38, v6, v[8:9]
	v_mul_lo_u32 v4, s38, v7
	v_mul_lo_u32 v7, s39, v6
	v_mad_u64_u32 v[64:65], s[4:5], s38, v6, v[18:19]
	v_lshlrev_b32_e32 v50, 3, v120
	v_mov_b32_e32 v51, v5
	v_add3_u32 v55, v7, v55, v4
	v_lshl_add_u64 v[10:11], v[2:3], 0, 16
	v_lshl_add_u64 v[12:13], v[2:3], 0, 24
	;; [unrolled: 1-line block ×4, first 2 shown]
	v_add3_u32 v65, v7, v65, v4
	v_lshl_add_u64 v[6:7], v[2:3], 0, 48
	v_lshl_add_u64 v[2:3], v[2:3], 0, 56
	v_mad_u64_u32 v[56:57], s[4:5], s38, v10, v[8:9]
	v_mul_lo_u32 v20, s39, v10
	v_mad_u64_u32 v[58:59], s[4:5], s38, v12, v[8:9]
	v_mad_u64_u32 v[60:61], s[4:5], s38, v14, v[8:9]
	;; [unrolled: 1-line block ×6, first 2 shown]
	v_mul_lo_u32 v3, s38, v3
	v_mul_lo_u32 v10, s39, v2
	v_lshl_add_u64 v[8:9], v[50:51], 0, s[28:29]
	v_mad_u64_u32 v[80:81], s[4:5], s38, v2, v[18:19]
	v_mul_lo_u32 v4, s38, v7
	v_mul_lo_u32 v7, s39, v6
	v_add3_u32 v73, v10, v73, v3
	v_mad_u64_u32 v[78:79], s[4:5], s38, v6, v[18:19]
	v_add3_u32 v81, v10, v81, v3
	v_lshl_add_u64 v[2:3], v[8:9], 0, 7
	v_add3_u32 v69, v7, v69, v4
	v_add3_u32 v79, v7, v79, v4
	v_mul_lo_u32 v4, s39, v2
	v_mul_lo_u32 v6, s38, v3
	v_mad_u64_u32 v[2:3], s[4:5], s38, v2, 0
	v_add3_u32 v3, v3, v6, v4
	v_lshl_add_u64 v[6:7], v[8:9], 0, 6
	v_mul_lo_u32 v11, s38, v11
	v_mul_lo_u32 v4, s39, v6
	;; [unrolled: 1-line block ×3, first 2 shown]
	v_mad_u64_u32 v[6:7], s[4:5], s38, v6, 0
	v_add3_u32 v57, v20, v57, v11
	v_add3_u32 v67, v20, v67, v11
	v_add3_u32 v7, v7, v10, v4
	v_lshl_add_u64 v[10:11], v[8:9], 0, 5
	v_mul_lo_u32 v13, s38, v13
	v_mul_lo_u32 v21, s39, v12
	v_mad_u64_u32 v[70:71], s[4:5], s38, v12, v[18:19]
	v_mul_lo_u32 v4, s39, v10
	v_mul_lo_u32 v12, s38, v11
	v_mad_u64_u32 v[10:11], s[4:5], s38, v10, 0
	v_add3_u32 v59, v21, v59, v13
	v_add3_u32 v71, v21, v71, v13
	v_add3_u32 v11, v11, v12, v4
	v_lshl_add_u64 v[12:13], v[8:9], 0, 4
	v_mul_lo_u32 v15, s38, v15
	v_mul_lo_u32 v22, s39, v14
	v_mad_u64_u32 v[74:75], s[4:5], s38, v14, v[18:19]
	v_mul_lo_u32 v4, s39, v12
	v_mul_lo_u32 v14, s38, v13
	;; [unrolled: 10-line block ×3, first 2 shown]
	v_mad_u64_u32 v[14:15], s[4:5], s38, v14, 0
	v_lshlrev_b64 v[2:3], 3, v[2:3]
	v_add3_u32 v63, v23, v63, v17
	v_add3_u32 v77, v23, v77, v17
	v_add3_u32 v15, v15, v16, v4
	v_lshl_add_u64 v[16:17], v[8:9], 0, 2
	v_lshl_add_u64 v[86:87], s[40:41], 0, v[2:3]
	;; [unrolled: 1-line block ×3, first 2 shown]
	v_lshlrev_b64 v[2:3], 3, v[6:7]
	v_mul_lo_u32 v4, s39, v16
	v_mul_lo_u32 v18, s38, v17
	v_mad_u64_u32 v[16:17], s[4:5], s38, v16, 0
	s_load_dword s3, s[0:1], 0x44
	v_lshl_add_u64 v[90:91], s[40:41], 0, v[2:3]
	v_lshl_add_u64 v[92:93], s[42:43], 0, v[2:3]
	v_lshlrev_b64 v[2:3], 3, v[10:11]
	v_add3_u32 v17, v17, v18, v4
	v_mov_b64_e32 v[18:19], s[38:39]
	v_lshl_add_u64 v[94:95], s[40:41], 0, v[2:3]
	v_lshl_add_u64 v[96:97], s[42:43], 0, v[2:3]
	v_lshlrev_b64 v[2:3], 3, v[12:13]
	v_mad_u64_u32 v[18:19], s[4:5], s38, v8, v[18:19]
	v_mul_lo_u32 v4, s39, v8
	v_mul_lo_u32 v20, s38, v9
	v_lshl_add_u64 v[98:99], s[40:41], 0, v[2:3]
	v_lshl_add_u64 v[100:101], s[42:43], 0, v[2:3]
	v_lshlrev_b64 v[2:3], 3, v[14:15]
	v_mad_u64_u32 v[8:9], s[4:5], s38, v8, 0
	v_add3_u32 v19, v4, v19, v20
	v_lshl_add_u64 v[102:103], s[40:41], 0, v[2:3]
	v_lshl_add_u64 v[104:105], s[42:43], 0, v[2:3]
	v_lshlrev_b64 v[2:3], 3, v[16:17]
	s_add_u32 s4, s0, 64
	v_lshl_add_u64 v[106:107], s[40:41], 0, v[2:3]
	v_lshl_add_u64 v[108:109], s[42:43], 0, v[2:3]
	v_lshlrev_b64 v[2:3], 3, v[18:19]
	s_addc_u32 s5, s1, 0
	s_waitcnt lgkmcnt(0)
	s_lshl_b32 s30, s3, 3
	v_lshl_add_u64 v[110:111], s[40:41], 0, v[2:3]
	v_lshl_add_u64 v[112:113], s[42:43], 0, v[2:3]
	v_mbcnt_lo_u32_b32 v2, -1, 0
	v_add3_u32 v9, v9, v20, v4
	s_mul_i32 s3, s39, s30
	s_mul_hi_u32 s9, s38, s30
	v_mbcnt_hi_u32_b32 v2, -1, v2
	s_mov_b32 s12, 0
	s_add_i32 s15, s9, s3
	s_mul_i32 s14, s38, s30
	v_lshlrev_b64 v[8:9], 3, v[8:9]
	v_lshlrev_b32_e32 v2, 2, v2
	s_mov_b32 s31, s12
	s_lshl_b64 s[34:35], s[14:15], 3
	v_lshl_add_u64 v[82:83], s[40:41], 0, v[8:9]
	v_lshl_add_u64 v[84:85], s[42:43], 0, v[8:9]
	s_mov_b64 s[44:45], 7
	v_and_b32_e32 v121, 0x100, v2
	s_mov_b64 s[40:41], s[28:29]
	v_mov_b64_e32 v[114:115], 0
.LBB122_53:                             ; =>This Inner Loop Header: Depth=1
	s_add_u32 s14, s28, s44
	s_addc_u32 s15, 0, s45
	v_mov_b64_e32 v[2:3], s[36:37]
	v_cmp_ge_i64_e32 vcc, s[14:15], v[2:3]
	v_lshl_add_u64 v[116:117], s[28:29], 0, v[50:51]
	s_cbranch_vccz .LBB122_75
; %bb.54:                               ;   in Loop: Header=BB122_53 Depth=1
	s_load_dword s3, s[4:5], 0xc
	v_mov_b64_e32 v[118:119], 0
	s_waitcnt lgkmcnt(0)
	s_and_b32 s3, s3, 0xffff
	v_mad_u32_u24 v2, v120, s3, v1
	v_and_b32_e32 v4, 63, v2
	v_cmp_gt_u32_e32 vcc, 8, v4
	s_and_saveexec_b64 s[14:15], vcc
	s_cbranch_execz .LBB122_58
; %bb.55:                               ;   in Loop: Header=BB122_53 Depth=1
	v_lshl_add_u64 v[2:3], v[116:117], 0, v[4:5]
	v_cmp_gt_i64_e32 vcc, s[36:37], v[2:3]
	v_mov_b64_e32 v[118:119], 0
	s_and_saveexec_b64 s[16:17], vcc
	s_cbranch_execz .LBB122_57
; %bb.56:                               ;   in Loop: Header=BB122_53 Depth=1
	v_lshl_add_u64 v[2:3], v[2:3], 3, s[10:11]
	global_load_dwordx2 v[118:119], v[2:3], off
.LBB122_57:                             ;   in Loop: Header=BB122_53 Depth=1
	s_or_b64 exec, exec, s[16:17]
.LBB122_58:                             ;   in Loop: Header=BB122_53 Depth=1
	s_or_b64 exec, exec, s[14:15]
	s_mov_b32 s26, s12
	s_mov_b32 s27, s12
	;; [unrolled: 1-line block ×15, first 2 shown]
	v_mov_b64_e32 v[32:33], s[26:27]
	v_mov_b64_e32 v[30:31], s[24:25]
	;; [unrolled: 1-line block ×9, first 2 shown]
	v_cmp_gt_i64_e32 vcc, s[36:37], v[116:117]
	v_mov_b64_e32 v[46:47], v[30:31]
	v_mov_b64_e32 v[44:45], v[28:29]
	;; [unrolled: 1-line block ×7, first 2 shown]
	s_and_saveexec_b64 s[14:15], vcc
	s_cbranch_execz .LBB122_60
; %bb.59:                               ;   in Loop: Header=BB122_53 Depth=1
	v_lshl_add_u64 v[2:3], v[82:83], 0, v[52:53]
	global_load_dwordx2 v[2:3], v[2:3], off
	v_lshl_add_u64 v[6:7], v[84:85], 0, v[52:53]
	global_load_dwordx2 v[18:19], v[6:7], off
	v_mov_b32_e32 v16, v5
	v_mov_b32_e32 v17, v5
	;; [unrolled: 1-line block ×13, first 2 shown]
	s_waitcnt vmcnt(1)
	v_mov_b64_e32 v[48:49], v[16:17]
	v_mov_b32_e32 v20, v5
	v_mov_b32_e32 v21, v5
	;; [unrolled: 1-line block ×14, first 2 shown]
	v_mov_b64_e32 v[46:47], v[14:15]
	v_mov_b64_e32 v[44:45], v[12:13]
	;; [unrolled: 1-line block ×7, first 2 shown]
.LBB122_60:                             ;   in Loop: Header=BB122_53 Depth=1
	s_or_b64 exec, exec, s[14:15]
	v_lshl_add_u64 v[2:3], v[116:117], 0, 1
	v_cmp_gt_i64_e32 vcc, s[36:37], v[2:3]
	s_and_saveexec_b64 s[14:15], vcc
	s_cbranch_execz .LBB122_62
; %bb.61:                               ;   in Loop: Header=BB122_53 Depth=1
	v_lshl_add_u64 v[2:3], v[110:111], 0, v[52:53]
	global_load_dwordx2 v[36:37], v[2:3], off
	v_lshl_add_u64 v[2:3], v[112:113], 0, v[52:53]
	global_load_dwordx2 v[20:21], v[2:3], off
.LBB122_62:                             ;   in Loop: Header=BB122_53 Depth=1
	s_or_b64 exec, exec, s[14:15]
	v_lshl_add_u64 v[2:3], v[116:117], 0, 2
	v_cmp_gt_i64_e32 vcc, s[36:37], v[2:3]
	s_and_saveexec_b64 s[14:15], vcc
	s_cbranch_execz .LBB122_64
; %bb.63:                               ;   in Loop: Header=BB122_53 Depth=1
	v_lshl_add_u64 v[2:3], v[106:107], 0, v[52:53]
	global_load_dwordx2 v[38:39], v[2:3], off
	v_lshl_add_u64 v[2:3], v[108:109], 0, v[52:53]
	global_load_dwordx2 v[22:23], v[2:3], off
.LBB122_64:                             ;   in Loop: Header=BB122_53 Depth=1
	;; [unrolled: 11-line block ×7, first 2 shown]
	s_or_b64 exec, exec, s[14:15]
	s_waitcnt vmcnt(0)
	ds_bpermute_b32 v2, v121, v118
	ds_bpermute_b32 v3, v121, v119
	ds_bpermute_b32 v6, v121, v118 offset:4
	ds_bpermute_b32 v7, v121, v119 offset:4
	v_mul_f64 v[8:9], v[18:19], v[34:35]
	ds_bpermute_b32 v10, v121, v118 offset:12
	s_waitcnt lgkmcnt(3)
	v_fma_f64 v[2:3], v[8:9], v[2:3], v[114:115]
	v_mul_f64 v[8:9], v[20:21], v[36:37]
	s_waitcnt lgkmcnt(1)
	v_fmac_f64_e32 v[2:3], v[8:9], v[6:7]
	ds_bpermute_b32 v6, v121, v118 offset:8
	ds_bpermute_b32 v7, v121, v119 offset:8
	;; [unrolled: 1-line block ×5, first 2 shown]
	v_mul_f64 v[8:9], v[22:23], v[38:39]
	s_waitcnt lgkmcnt(3)
	v_fmac_f64_e32 v[2:3], v[8:9], v[6:7]
	v_mul_f64 v[6:7], v[24:25], v[40:41]
	s_waitcnt lgkmcnt(2)
	v_fmac_f64_e32 v[2:3], v[6:7], v[10:11]
	;; [unrolled: 3-line block ×3, first 2 shown]
	ds_bpermute_b32 v6, v121, v118 offset:20
	ds_bpermute_b32 v7, v121, v119 offset:20
	;; [unrolled: 1-line block ×6, first 2 shown]
	v_mul_f64 v[8:9], v[28:29], v[44:45]
	s_waitcnt lgkmcnt(4)
	v_fmac_f64_e32 v[2:3], v[8:9], v[6:7]
	v_mul_f64 v[6:7], v[30:31], v[46:47]
	s_waitcnt lgkmcnt(2)
	v_fmac_f64_e32 v[2:3], v[6:7], v[10:11]
	v_mul_f64 v[6:7], v[32:33], v[48:49]
	s_waitcnt lgkmcnt(0)
	v_fmac_f64_e32 v[2:3], v[6:7], v[12:13]
	s_branch .LBB122_81
.LBB122_75:                             ;   in Loop: Header=BB122_53 Depth=1
                                        ; implicit-def: $vgpr2_vgpr3
	s_cbranch_execz .LBB122_81
; %bb.76:                               ;   in Loop: Header=BB122_53 Depth=1
	s_load_dword s3, s[4:5], 0x0
	s_waitcnt lgkmcnt(0)
	s_cmp_lt_u32 s2, s3
	s_cselect_b32 s3, 12, 18
	s_add_u32 s14, s4, s3
	s_addc_u32 s15, s5, 0
	global_load_ushort v2, v5, s[14:15]
	s_waitcnt vmcnt(0)
	v_mad_u32_u24 v2, v120, v2, v1
	v_and_b32_e32 v4, 63, v2
	v_cmp_gt_u32_e32 vcc, 8, v4
	v_mov_b64_e32 v[2:3], 0
	s_and_saveexec_b64 s[14:15], vcc
	s_cbranch_execz .LBB122_80
; %bb.77:                               ;   in Loop: Header=BB122_53 Depth=1
	v_lshl_add_u64 v[6:7], v[116:117], 0, v[4:5]
	v_cmp_gt_i64_e32 vcc, s[36:37], v[6:7]
	v_mov_b64_e32 v[2:3], 0
	s_and_saveexec_b64 s[16:17], vcc
	s_cbranch_execz .LBB122_79
; %bb.78:                               ;   in Loop: Header=BB122_53 Depth=1
	v_lshl_add_u64 v[2:3], v[6:7], 3, s[10:11]
	global_load_dwordx2 v[2:3], v[2:3], off
.LBB122_79:                             ;   in Loop: Header=BB122_53 Depth=1
	s_or_b64 exec, exec, s[16:17]
.LBB122_80:                             ;   in Loop: Header=BB122_53 Depth=1
	s_or_b64 exec, exec, s[14:15]
	v_lshl_add_u64 v[6:7], v[82:83], 0, v[52:53]
	v_lshl_add_u64 v[8:9], v[84:85], 0, v[52:53]
	global_load_dwordx2 v[6:7], v[6:7], off
	v_lshl_add_u64 v[10:11], v[54:55], 0, v[52:53]
	global_load_dwordx2 v[8:9], v[8:9], off
	;; [unrolled: 2-line block ×10, first 2 shown]
	v_lshl_add_u64 v[28:29], v[76:77], 0, v[52:53]
	v_lshl_add_u64 v[30:31], v[68:69], 0, v[52:53]
	;; [unrolled: 1-line block ×3, first 2 shown]
	global_load_dwordx2 v[34:35], v[26:27], off
	global_load_dwordx2 v[36:37], v[28:29], off
	;; [unrolled: 1-line block ×4, first 2 shown]
	v_lshl_add_u64 v[26:27], v[72:73], 0, v[52:53]
	v_lshl_add_u64 v[28:29], v[80:81], 0, v[52:53]
	global_load_dwordx2 v[30:31], v[26:27], off
	global_load_dwordx2 v[32:33], v[28:29], off
	s_waitcnt vmcnt(16)
	ds_bpermute_b32 v26, v121, v2
	ds_bpermute_b32 v27, v121, v3
	ds_bpermute_b32 v28, v121, v2 offset:4
	ds_bpermute_b32 v29, v121, v3 offset:4
	;; [unrolled: 1-line block ×14, first 2 shown]
	s_waitcnt vmcnt(14)
	v_mul_f64 v[6:7], v[6:7], v[8:9]
	s_waitcnt lgkmcnt(14)
	v_fmac_f64_e32 v[114:115], v[6:7], v[26:27]
	s_waitcnt vmcnt(12)
	v_mul_f64 v[8:9], v[10:11], v[12:13]
	s_waitcnt lgkmcnt(12)
	v_fmac_f64_e32 v[114:115], v[8:9], v[28:29]
	;; [unrolled: 4-line block ×8, first 2 shown]
	v_mov_b64_e32 v[2:3], v[114:115]
.LBB122_81:                             ;   in Loop: Header=BB122_53 Depth=1
	s_add_u32 s40, s40, s30
	s_addc_u32 s41, s41, 0
	v_mov_b64_e32 v[6:7], s[36:37]
	s_add_u32 s44, s44, s30
	v_cmp_ge_i64_e32 vcc, s[40:41], v[6:7]
	v_lshl_add_u64 v[50:51], v[50:51], 0, s[30:31]
	v_lshl_add_u64 v[54:55], v[54:55], 0, s[34:35]
	;; [unrolled: 1-line block ×31, first 2 shown]
	s_addc_u32 s45, s45, 0
	s_cbranch_vccnz .LBB122_83
; %bb.82:                               ;   in Loop: Header=BB122_53 Depth=1
	v_mov_b64_e32 v[114:115], v[2:3]
	s_branch .LBB122_53
.LBB122_83:
	s_mov_b32 s3, 0
	s_lshl_b64 s[2:3], s[2:3], 6
	v_and_b32_e32 v1, 0x3ff, v0
	v_or_b32_e32 v4, s2, v1
	v_mov_b32_e32 v5, s3
	s_waitcnt lgkmcnt(0)
	s_cmp_lg_u64 s[6:7], 0
	v_cmp_gt_i64_e32 vcc, s[38:39], v[4:5]
	s_cselect_b64 s[2:3], -1, 0
	s_and_b64 s[2:3], vcc, s[2:3]
	s_and_saveexec_b64 s[4:5], s[2:3]
	s_cbranch_execz .LBB122_85
; %bb.84:
	s_load_dword s0, s[0:1], 0x4c
	v_bfe_u32 v0, v0, 10, 10
	v_mov_b32_e32 v1, 0
	v_mov_b32_e32 v6, s8
	s_waitcnt lgkmcnt(0)
	s_lshr_b32 s0, s0, 16
	v_mad_u64_u32 v[0:1], s[0:1], s0, v6, v[0:1]
	v_mul_lo_u32 v6, v1, s38
	v_mul_lo_u32 v7, v0, s39
	v_mad_u64_u32 v[0:1], s[0:1], v0, s38, 0
	v_add3_u32 v1, v1, v7, v6
	v_lshl_add_u64 v[0:1], v[0:1], 3, s[6:7]
	v_lshl_add_u64 v[0:1], v[4:5], 3, v[0:1]
	global_store_dwordx2 v[0:1], v[2:3], off
.LBB122_85:
	s_endpgm
	.section	.rodata,"a",@progbits
	.p2align	6, 0x0
	.amdhsa_kernel _ZN2at6native12_GLOBAL__N_135GammaBetaBackwardCUDAKernelTemplateIddLj64ELj1ELj8ELb1ELb0ELb1EEEvllPKT_S5_PKT0_S8_PS3_S9_
		.amdhsa_group_segment_fixed_size 0
		.amdhsa_private_segment_fixed_size 0
		.amdhsa_kernarg_size 320
		.amdhsa_user_sgpr_count 2
		.amdhsa_user_sgpr_dispatch_ptr 0
		.amdhsa_user_sgpr_queue_ptr 0
		.amdhsa_user_sgpr_kernarg_segment_ptr 1
		.amdhsa_user_sgpr_dispatch_id 0
		.amdhsa_user_sgpr_kernarg_preload_length 0
		.amdhsa_user_sgpr_kernarg_preload_offset 0
		.amdhsa_user_sgpr_private_segment_size 0
		.amdhsa_uses_dynamic_stack 0
		.amdhsa_enable_private_segment 0
		.amdhsa_system_sgpr_workgroup_id_x 1
		.amdhsa_system_sgpr_workgroup_id_y 1
		.amdhsa_system_sgpr_workgroup_id_z 0
		.amdhsa_system_sgpr_workgroup_info 0
		.amdhsa_system_vgpr_workitem_id 1
		.amdhsa_next_free_vgpr 122
		.amdhsa_next_free_sgpr 52
		.amdhsa_accum_offset 124
		.amdhsa_reserve_vcc 1
		.amdhsa_float_round_mode_32 0
		.amdhsa_float_round_mode_16_64 0
		.amdhsa_float_denorm_mode_32 3
		.amdhsa_float_denorm_mode_16_64 3
		.amdhsa_dx10_clamp 1
		.amdhsa_ieee_mode 1
		.amdhsa_fp16_overflow 0
		.amdhsa_tg_split 0
		.amdhsa_exception_fp_ieee_invalid_op 0
		.amdhsa_exception_fp_denorm_src 0
		.amdhsa_exception_fp_ieee_div_zero 0
		.amdhsa_exception_fp_ieee_overflow 0
		.amdhsa_exception_fp_ieee_underflow 0
		.amdhsa_exception_fp_ieee_inexact 0
		.amdhsa_exception_int_div_zero 0
	.end_amdhsa_kernel
	.section	.text._ZN2at6native12_GLOBAL__N_135GammaBetaBackwardCUDAKernelTemplateIddLj64ELj1ELj8ELb1ELb0ELb1EEEvllPKT_S5_PKT0_S8_PS3_S9_,"axG",@progbits,_ZN2at6native12_GLOBAL__N_135GammaBetaBackwardCUDAKernelTemplateIddLj64ELj1ELj8ELb1ELb0ELb1EEEvllPKT_S5_PKT0_S8_PS3_S9_,comdat
.Lfunc_end122:
	.size	_ZN2at6native12_GLOBAL__N_135GammaBetaBackwardCUDAKernelTemplateIddLj64ELj1ELj8ELb1ELb0ELb1EEEvllPKT_S5_PKT0_S8_PS3_S9_, .Lfunc_end122-_ZN2at6native12_GLOBAL__N_135GammaBetaBackwardCUDAKernelTemplateIddLj64ELj1ELj8ELb1ELb0ELb1EEEvllPKT_S5_PKT0_S8_PS3_S9_
                                        ; -- End function
	.section	.AMDGPU.csdata,"",@progbits
; Kernel info:
; codeLenInByte = 6388
; NumSgprs: 58
; NumVgprs: 122
; NumAgprs: 0
; TotalNumVgprs: 122
; ScratchSize: 0
; MemoryBound: 1
; FloatMode: 240
; IeeeMode: 1
; LDSByteSize: 0 bytes/workgroup (compile time only)
; SGPRBlocks: 7
; VGPRBlocks: 15
; NumSGPRsForWavesPerEU: 58
; NumVGPRsForWavesPerEU: 122
; AccumOffset: 124
; Occupancy: 4
; WaveLimiterHint : 0
; COMPUTE_PGM_RSRC2:SCRATCH_EN: 0
; COMPUTE_PGM_RSRC2:USER_SGPR: 2
; COMPUTE_PGM_RSRC2:TRAP_HANDLER: 0
; COMPUTE_PGM_RSRC2:TGID_X_EN: 1
; COMPUTE_PGM_RSRC2:TGID_Y_EN: 1
; COMPUTE_PGM_RSRC2:TGID_Z_EN: 0
; COMPUTE_PGM_RSRC2:TIDIG_COMP_CNT: 1
; COMPUTE_PGM_RSRC3_GFX90A:ACCUM_OFFSET: 30
; COMPUTE_PGM_RSRC3_GFX90A:TG_SPLIT: 0
	.section	.text._ZN2at6native12_GLOBAL__N_135GammaBetaBackwardCUDAKernelTemplateIddLj64ELj8ELj64ELb0ELb1ELb1EEEvllPKT_S5_PKT0_S8_PS3_S9_,"axG",@progbits,_ZN2at6native12_GLOBAL__N_135GammaBetaBackwardCUDAKernelTemplateIddLj64ELj8ELj64ELb0ELb1ELb1EEEvllPKT_S5_PKT0_S8_PS3_S9_,comdat
	.globl	_ZN2at6native12_GLOBAL__N_135GammaBetaBackwardCUDAKernelTemplateIddLj64ELj8ELj64ELb0ELb1ELb1EEEvllPKT_S5_PKT0_S8_PS3_S9_ ; -- Begin function _ZN2at6native12_GLOBAL__N_135GammaBetaBackwardCUDAKernelTemplateIddLj64ELj8ELj64ELb0ELb1ELb1EEEvllPKT_S5_PKT0_S8_PS3_S9_
	.p2align	8
	.type	_ZN2at6native12_GLOBAL__N_135GammaBetaBackwardCUDAKernelTemplateIddLj64ELj8ELj64ELb0ELb1ELb1EEEvllPKT_S5_PKT0_S8_PS3_S9_,@function
_ZN2at6native12_GLOBAL__N_135GammaBetaBackwardCUDAKernelTemplateIddLj64ELj8ELj64ELb0ELb1ELb1EEEvllPKT_S5_PKT0_S8_PS3_S9_: ; @_ZN2at6native12_GLOBAL__N_135GammaBetaBackwardCUDAKernelTemplateIddLj64ELj8ELj64ELb0ELb1ELb1EEEvllPKT_S5_PKT0_S8_PS3_S9_
; %bb.0:
	s_load_dwordx4 s[4:7], s[0:1], 0x0
	s_lshl_b32 s14, s3, 6
	s_mov_b32 s15, 0
	v_bfe_u32 v16, v0, 10, 10
	s_waitcnt lgkmcnt(0)
	v_mov_b64_e32 v[2:3], s[4:5]
	v_cmp_lt_i64_e32 vcc, s[14:15], v[2:3]
	s_cbranch_vccnz .LBB123_2
; %bb.1:
	s_mov_b64 s[8:9], 0
	s_mov_b64 s[10:11], 0
	v_bfe_u32 v2, v0, 10, 10
	s_branch .LBB123_3
.LBB123_2:
	s_mov_b64 s[8:9], -1
                                        ; implicit-def: $sgpr10_sgpr11
                                        ; implicit-def: $vgpr2
.LBB123_3:
	s_load_dwordx2 s[12:13], s[0:1], 0x30
	v_and_b32_e32 v14, 0x3ff, v0
	s_andn2_b64 vcc, exec, s[8:9]
	v_mov_b64_e32 v[4:5], s[10:11]
	v_mbcnt_lo_u32_b32 v15, -1, 0
	s_cbranch_vccnz .LBB123_11
; %bb.4:
	s_load_dword s3, s[0:1], 0x4c
	s_load_dword s16, s[0:1], 0x44
	s_load_dwordx2 s[18:19], s[0:1], 0x28
	s_load_dwordx4 s[8:11], s[0:1], 0x10
	v_mbcnt_hi_u32_b32 v6, -1, v15
	s_waitcnt lgkmcnt(0)
	s_and_b32 s0, s3, 0xffff
	v_mad_u32_u24 v1, v16, s0, v14
	v_lshlrev_b32_e32 v0, 3, v16
	v_and_b32_e32 v2, 63, v1
	v_mov_b32_e32 v1, 0
	v_lshlrev_b32_e32 v6, 2, v6
	v_mov_b32_e32 v3, v1
	v_and_b32_e32 v17, 0x100, v6
	v_lshl_add_u64 v[6:7], v[0:1], 0, s[14:15]
	v_mov_b32_e32 v5, v1
	s_lshl_b32 s16, s16, 6
	v_lshl_add_u64 v[0:1], v[6:7], 0, v[2:3]
	v_mul_lo_u32 v8, s7, v6
	v_mul_lo_u32 v9, s6, v7
	v_mad_u64_u32 v[6:7], s[20:21], s6, v6, 0
	v_lshl_add_u32 v4, s2, 6, v14
	s_mul_i32 s3, s7, s16
	s_mul_hi_u32 s20, s6, s16
	s_mov_b32 s17, 0
	v_add3_u32 v7, v7, v9, v8
	v_lshlrev_b64 v[4:5], 3, v[4:5]
	s_add_i32 s21, s20, s3
	s_mul_i32 s20, s6, s16
	v_mov_b64_e32 v[8:9], 0
	v_cmp_gt_u32_e64 s[0:1], 8, v2
	v_or_b32_e32 v18, 4, v17
	v_or_b32_e32 v19, 8, v17
	;; [unrolled: 1-line block ×7, first 2 shown]
	v_lshl_add_u64 v[2:3], v[0:1], 3, s[18:19]
	s_lshl_b64 s[18:19], s[16:17], 3
	v_lshl_add_u64 v[6:7], v[6:7], 3, v[4:5]
	s_lshl_b64 s[20:21], s[20:21], 3
	s_lshl_b64 s[6:7], s[6:7], 3
	v_mov_b64_e32 v[10:11], s[4:5]
	v_mov_b64_e32 v[4:5], v[8:9]
	s_branch .LBB123_7
.LBB123_5:                              ;   in Loop: Header=BB123_7 Depth=1
	s_or_b64 exec, exec, s[24:25]
.LBB123_6:                              ;   in Loop: Header=BB123_7 Depth=1
	s_or_b64 exec, exec, s[22:23]
	v_lshl_add_u64 v[26:27], s[8:9], 0, v[6:7]
	v_lshl_add_u64 v[30:31], s[10:11], 0, v[6:7]
	global_load_dwordx2 v[28:29], v[26:27], off
	global_load_dwordx2 v[32:33], v[30:31], off
	v_lshl_add_u64 v[26:27], v[26:27], 0, s[6:7]
	v_lshl_add_u64 v[30:31], v[30:31], 0, s[6:7]
	global_load_dwordx2 v[34:35], v[26:27], off
	global_load_dwordx2 v[36:37], v[30:31], off
	v_lshl_add_u64 v[26:27], v[26:27], 0, s[6:7]
	v_lshl_add_u64 v[30:31], v[30:31], 0, s[6:7]
	global_load_dwordx2 v[38:39], v[26:27], off
	global_load_dwordx2 v[40:41], v[30:31], off
	v_lshl_add_u64 v[26:27], v[26:27], 0, s[6:7]
	v_lshl_add_u64 v[30:31], v[30:31], 0, s[6:7]
	global_load_dwordx2 v[42:43], v[26:27], off
	global_load_dwordx2 v[44:45], v[30:31], off
	v_lshl_add_u64 v[26:27], v[26:27], 0, s[6:7]
	v_lshl_add_u64 v[30:31], v[30:31], 0, s[6:7]
	global_load_dwordx2 v[46:47], v[26:27], off
	global_load_dwordx2 v[48:49], v[30:31], off
	v_lshl_add_u64 v[26:27], v[26:27], 0, s[6:7]
	v_lshl_add_u64 v[30:31], v[30:31], 0, s[6:7]
	global_load_dwordx2 v[50:51], v[26:27], off
	global_load_dwordx2 v[52:53], v[30:31], off
	v_lshl_add_u64 v[26:27], v[26:27], 0, s[6:7]
	v_lshl_add_u64 v[30:31], v[30:31], 0, s[6:7]
	global_load_dwordx2 v[54:55], v[26:27], off
	global_load_dwordx2 v[56:57], v[30:31], off
	v_lshl_add_u64 v[26:27], v[26:27], 0, s[6:7]
	v_lshl_add_u64 v[30:31], v[30:31], 0, s[6:7]
	global_load_dwordx2 v[26:27], v[26:27], off
	s_waitcnt vmcnt(15)
	ds_bpermute_b32 v58, v17, v12
	global_load_dwordx2 v[30:31], v[30:31], off
	ds_bpermute_b32 v59, v17, v13
	s_add_u32 s14, s14, s16
	s_addc_u32 s15, s15, 0
	v_cmp_lt_i64_e32 vcc, s[14:15], v[10:11]
	v_lshl_add_u64 v[2:3], v[2:3], 0, s[18:19]
	v_lshl_add_u64 v[0:1], v[0:1], 0, s[16:17]
	;; [unrolled: 1-line block ×3, first 2 shown]
	s_and_b64 vcc, exec, vcc
	s_waitcnt vmcnt(14)
	v_mul_f64 v[28:29], v[28:29], v[32:33]
	s_waitcnt lgkmcnt(0)
	v_fmac_f64_e32 v[4:5], v[28:29], v[58:59]
	ds_bpermute_b32 v28, v18, v12
	ds_bpermute_b32 v29, v18, v13
	s_waitcnt vmcnt(12)
	v_mul_f64 v[32:33], v[34:35], v[36:37]
	s_waitcnt lgkmcnt(0)
	v_fmac_f64_e32 v[4:5], v[32:33], v[28:29]
	ds_bpermute_b32 v28, v19, v12
	ds_bpermute_b32 v29, v19, v13
	;; [unrolled: 6-line block ×5, first 2 shown]
	s_waitcnt vmcnt(4)
	v_mul_f64 v[32:33], v[50:51], v[52:53]
	s_waitcnt vmcnt(0)
	v_mul_f64 v[26:27], v[26:27], v[30:31]
	s_waitcnt lgkmcnt(0)
	v_fmac_f64_e32 v[4:5], v[32:33], v[28:29]
	ds_bpermute_b32 v28, v23, v12
	ds_bpermute_b32 v29, v23, v13
	;; [unrolled: 1-line block ×4, first 2 shown]
	v_mul_f64 v[32:33], v[54:55], v[56:57]
	s_waitcnt lgkmcnt(2)
	v_fmac_f64_e32 v[4:5], v[32:33], v[28:29]
	s_waitcnt lgkmcnt(0)
	v_fmac_f64_e32 v[4:5], v[26:27], v[12:13]
	s_cbranch_vccz .LBB123_10
.LBB123_7:                              ; =>This Inner Loop Header: Depth=1
	v_mov_b64_e32 v[12:13], v[8:9]
	s_and_saveexec_b64 s[22:23], s[0:1]
	s_cbranch_execz .LBB123_6
; %bb.8:                                ;   in Loop: Header=BB123_7 Depth=1
	v_cmp_gt_i64_e32 vcc, s[4:5], v[0:1]
	v_mov_b64_e32 v[12:13], 0
	s_and_saveexec_b64 s[24:25], vcc
	s_cbranch_execz .LBB123_5
; %bb.9:                                ;   in Loop: Header=BB123_7 Depth=1
	global_load_dwordx2 v[12:13], v[2:3], off
	s_branch .LBB123_5
.LBB123_10:
	v_mov_b32_e32 v2, v16
.LBB123_11:
	s_movk_i32 s0, 0x41
	v_mad_u32_u24 v0, v2, s0, v14
	v_lshl_add_u32 v3, v0, 3, 0
	v_mov_b32_e32 v0, 0
	ds_write_b64 v3, v[4:5]
	v_mov_b32_e32 v1, v0
	v_lshrrev_b32_e32 v4, 6, v14
	ds_write_b64 v3, v[0:1] offset:4160
	v_add_u32_e32 v1, v4, v2
	s_mov_b32 s3, 0
	v_cmp_gt_u32_e32 vcc, 64, v1
	s_waitcnt lgkmcnt(0)
	s_barrier
	s_and_saveexec_b64 s[0:1], vcc
	s_cbranch_execz .LBB123_18
; %bb.12:
	v_mbcnt_hi_u32_b32 v5, -1, v15
	v_and_b32_e32 v6, 64, v5
	s_cmp_lg_u64 s[12:13], 0
	v_add_u32_e32 v8, 64, v6
	v_cmp_eq_u32_e64 s[0:1], 0, v14
	s_cselect_b64 s[6:7], -1, 0
	v_xor_b32_e32 v6, 4, v5
	s_and_b64 s[6:7], s[0:1], s[6:7]
	v_cmp_lt_i32_e64 s[0:1], v6, v8
	v_xor_b32_e32 v7, 2, v5
	v_xor_b32_e32 v9, 1, v5
	v_cndmask_b32_e64 v6, v5, v6, s[0:1]
	v_cmp_lt_i32_e64 s[0:1], v7, v8
	v_and_b32_e32 v3, 63, v14
	v_cmp_gt_u32_e32 vcc, 8, v3
	v_cndmask_b32_e64 v7, v5, v7, s[0:1]
	v_cmp_lt_i32_e64 s[0:1], v9, v8
	v_mul_u32_u24_e32 v3, 0x208, v3
	v_add_u32_e32 v10, -8, v1
	v_cndmask_b32_e64 v5, v5, v9, s[0:1]
	v_lshlrev_b32_e32 v8, 2, v5
	s_lshl_b64 s[0:1], s[2:3], 9
	v_lshlrev_b32_e32 v5, 3, v1
	v_add3_u32 v9, v3, v5, 0
	v_mov_b32_e32 v5, v0
	v_mov_b32_e32 v3, v0
	s_add_u32 s0, s12, s0
	v_lshl_add_u64 v[0:1], v[4:5], 0, v[2:3]
	s_addc_u32 s1, s13, s1
	s_mov_b64 s[4:5], 0
	v_lshlrev_b32_e32 v6, 2, v6
	v_lshlrev_b32_e32 v7, 2, v7
	v_lshl_add_u64 v[0:1], v[0:1], 3, s[0:1]
                                        ; implicit-def: $vgpr2_vgpr3
	s_branch .LBB123_14
.LBB123_13:                             ;   in Loop: Header=BB123_14 Depth=1
	s_or_b64 exec, exec, s[0:1]
	v_add_u32_e32 v10, 8, v10
	v_cmp_lt_u32_e64 s[0:1], 55, v10
	v_add_u32_e32 v9, 64, v9
	s_or_b64 s[4:5], s[0:1], s[4:5]
	v_lshl_add_u64 v[0:1], v[0:1], 0, 64
	s_andn2_b64 exec, exec, s[4:5]
	s_cbranch_execz .LBB123_18
.LBB123_14:                             ; =>This Inner Loop Header: Depth=1
	s_and_saveexec_b64 s[0:1], vcc
	s_cbranch_execz .LBB123_16
; %bb.15:                               ;   in Loop: Header=BB123_14 Depth=1
	ds_read_b64 v[2:3], v9
.LBB123_16:                             ;   in Loop: Header=BB123_14 Depth=1
	s_or_b64 exec, exec, s[0:1]
	s_waitcnt lgkmcnt(0)
	ds_bpermute_b32 v4, v6, v2
	ds_bpermute_b32 v5, v6, v3
	s_waitcnt lgkmcnt(0)
	v_add_f64 v[2:3], v[2:3], v[4:5]
	ds_bpermute_b32 v4, v7, v2
	ds_bpermute_b32 v5, v7, v3
	s_waitcnt lgkmcnt(0)
	v_add_f64 v[2:3], v[2:3], v[4:5]
	;; [unrolled: 4-line block ×3, first 2 shown]
	s_and_saveexec_b64 s[0:1], s[6:7]
	s_cbranch_execz .LBB123_13
; %bb.17:                               ;   in Loop: Header=BB123_14 Depth=1
	global_store_dwordx2 v[0:1], v[2:3], off
	s_branch .LBB123_13
.LBB123_18:
	s_endpgm
	.section	.rodata,"a",@progbits
	.p2align	6, 0x0
	.amdhsa_kernel _ZN2at6native12_GLOBAL__N_135GammaBetaBackwardCUDAKernelTemplateIddLj64ELj8ELj64ELb0ELb1ELb1EEEvllPKT_S5_PKT0_S8_PS3_S9_
		.amdhsa_group_segment_fixed_size 0
		.amdhsa_private_segment_fixed_size 0
		.amdhsa_kernarg_size 320
		.amdhsa_user_sgpr_count 2
		.amdhsa_user_sgpr_dispatch_ptr 0
		.amdhsa_user_sgpr_queue_ptr 0
		.amdhsa_user_sgpr_kernarg_segment_ptr 1
		.amdhsa_user_sgpr_dispatch_id 0
		.amdhsa_user_sgpr_kernarg_preload_length 0
		.amdhsa_user_sgpr_kernarg_preload_offset 0
		.amdhsa_user_sgpr_private_segment_size 0
		.amdhsa_uses_dynamic_stack 0
		.amdhsa_enable_private_segment 0
		.amdhsa_system_sgpr_workgroup_id_x 1
		.amdhsa_system_sgpr_workgroup_id_y 1
		.amdhsa_system_sgpr_workgroup_id_z 0
		.amdhsa_system_sgpr_workgroup_info 0
		.amdhsa_system_vgpr_workitem_id 1
		.amdhsa_next_free_vgpr 60
		.amdhsa_next_free_sgpr 26
		.amdhsa_accum_offset 60
		.amdhsa_reserve_vcc 1
		.amdhsa_float_round_mode_32 0
		.amdhsa_float_round_mode_16_64 0
		.amdhsa_float_denorm_mode_32 3
		.amdhsa_float_denorm_mode_16_64 3
		.amdhsa_dx10_clamp 1
		.amdhsa_ieee_mode 1
		.amdhsa_fp16_overflow 0
		.amdhsa_tg_split 0
		.amdhsa_exception_fp_ieee_invalid_op 0
		.amdhsa_exception_fp_denorm_src 0
		.amdhsa_exception_fp_ieee_div_zero 0
		.amdhsa_exception_fp_ieee_overflow 0
		.amdhsa_exception_fp_ieee_underflow 0
		.amdhsa_exception_fp_ieee_inexact 0
		.amdhsa_exception_int_div_zero 0
	.end_amdhsa_kernel
	.section	.text._ZN2at6native12_GLOBAL__N_135GammaBetaBackwardCUDAKernelTemplateIddLj64ELj8ELj64ELb0ELb1ELb1EEEvllPKT_S5_PKT0_S8_PS3_S9_,"axG",@progbits,_ZN2at6native12_GLOBAL__N_135GammaBetaBackwardCUDAKernelTemplateIddLj64ELj8ELj64ELb0ELb1ELb1EEEvllPKT_S5_PKT0_S8_PS3_S9_,comdat
.Lfunc_end123:
	.size	_ZN2at6native12_GLOBAL__N_135GammaBetaBackwardCUDAKernelTemplateIddLj64ELj8ELj64ELb0ELb1ELb1EEEvllPKT_S5_PKT0_S8_PS3_S9_, .Lfunc_end123-_ZN2at6native12_GLOBAL__N_135GammaBetaBackwardCUDAKernelTemplateIddLj64ELj8ELj64ELb0ELb1ELb1EEEvllPKT_S5_PKT0_S8_PS3_S9_
                                        ; -- End function
	.section	.AMDGPU.csdata,"",@progbits
; Kernel info:
; codeLenInByte = 1432
; NumSgprs: 32
; NumVgprs: 60
; NumAgprs: 0
; TotalNumVgprs: 60
; ScratchSize: 0
; MemoryBound: 0
; FloatMode: 240
; IeeeMode: 1
; LDSByteSize: 0 bytes/workgroup (compile time only)
; SGPRBlocks: 3
; VGPRBlocks: 7
; NumSGPRsForWavesPerEU: 32
; NumVGPRsForWavesPerEU: 60
; AccumOffset: 60
; Occupancy: 8
; WaveLimiterHint : 0
; COMPUTE_PGM_RSRC2:SCRATCH_EN: 0
; COMPUTE_PGM_RSRC2:USER_SGPR: 2
; COMPUTE_PGM_RSRC2:TRAP_HANDLER: 0
; COMPUTE_PGM_RSRC2:TGID_X_EN: 1
; COMPUTE_PGM_RSRC2:TGID_Y_EN: 1
; COMPUTE_PGM_RSRC2:TGID_Z_EN: 0
; COMPUTE_PGM_RSRC2:TIDIG_COMP_CNT: 1
; COMPUTE_PGM_RSRC3_GFX90A:ACCUM_OFFSET: 14
; COMPUTE_PGM_RSRC3_GFX90A:TG_SPLIT: 0
	.section	.text._ZN2at6native12_GLOBAL__N_135GammaBetaBackwardCUDAKernelTemplateIddLj64ELj8ELj64ELb0ELb0ELb1EEEvllPKT_S5_PKT0_S8_PS3_S9_,"axG",@progbits,_ZN2at6native12_GLOBAL__N_135GammaBetaBackwardCUDAKernelTemplateIddLj64ELj8ELj64ELb0ELb0ELb1EEEvllPKT_S5_PKT0_S8_PS3_S9_,comdat
	.globl	_ZN2at6native12_GLOBAL__N_135GammaBetaBackwardCUDAKernelTemplateIddLj64ELj8ELj64ELb0ELb0ELb1EEEvllPKT_S5_PKT0_S8_PS3_S9_ ; -- Begin function _ZN2at6native12_GLOBAL__N_135GammaBetaBackwardCUDAKernelTemplateIddLj64ELj8ELj64ELb0ELb0ELb1EEEvllPKT_S5_PKT0_S8_PS3_S9_
	.p2align	8
	.type	_ZN2at6native12_GLOBAL__N_135GammaBetaBackwardCUDAKernelTemplateIddLj64ELj8ELj64ELb0ELb0ELb1EEEvllPKT_S5_PKT0_S8_PS3_S9_,@function
_ZN2at6native12_GLOBAL__N_135GammaBetaBackwardCUDAKernelTemplateIddLj64ELj8ELj64ELb0ELb0ELb1EEEvllPKT_S5_PKT0_S8_PS3_S9_: ; @_ZN2at6native12_GLOBAL__N_135GammaBetaBackwardCUDAKernelTemplateIddLj64ELj8ELj64ELb0ELb0ELb1EEEvllPKT_S5_PKT0_S8_PS3_S9_
; %bb.0:
	s_load_dwordx8 s[24:31], s[0:1], 0x0
	s_load_dwordx2 s[34:35], s[0:1], 0x28
	s_lshl_b32 s33, s2, 6
	s_or_b32 s36, s33, 63
	s_mov_b32 s37, 0
	s_waitcnt lgkmcnt(0)
	v_mov_b64_e32 v[2:3], s[26:27]
	v_cmp_ge_i64_e32 vcc, s[36:37], v[2:3]
	s_lshl_b32 s36, s3, 6
	v_mov_b64_e32 v[2:3], s[24:25]
	v_cmp_lt_i64_e64 s[4:5], s[36:37], v[2:3]
	s_nop 1
	v_cndmask_b32_e64 v1, 0, 1, s[4:5]
	v_cmp_ne_u32_e64 s[4:5], 1, v1
	s_cbranch_vccz .LBB124_49
; %bb.1:
	s_and_b64 vcc, exec, s[4:5]
	v_mov_b64_e32 v[2:3], 0
	s_cbranch_vccnz .LBB124_50
; %bb.2:
	v_mov_b32_e32 v5, 0
	v_bfe_u32 v92, v0, 10, 10
	s_load_dword s3, s[0:1], 0x44
	v_lshlrev_b32_e32 v50, 3, v92
	v_mov_b32_e32 v51, v5
	v_and_b32_e32 v1, 0x3ff, v0
	v_lshl_add_u64 v[2:3], v[50:51], 0, s[36:37]
	v_add_u32_e32 v4, s33, v1
	v_lshl_add_u64 v[6:7], v[2:3], 0, 7
	s_add_u32 s38, s0, 64
	v_cmp_gt_i64_e64 s[6:7], s[26:27], v[4:5]
	v_lshlrev_b64 v[52:53], 3, v[4:5]
	v_mul_lo_u32 v4, s27, v6
	v_mul_lo_u32 v8, s26, v7
	v_mad_u64_u32 v[6:7], s[10:11], s26, v6, 0
	s_addc_u32 s39, s1, 0
	s_waitcnt lgkmcnt(0)
	s_lshl_b32 s3, s3, 6
	v_add3_u32 v7, v7, v8, v4
	v_lshlrev_b64 v[6:7], 3, v[6:7]
	s_mul_i32 s9, s27, s3
	s_mul_hi_u32 s10, s26, s3
	v_lshl_add_u64 v[54:55], s[28:29], 0, v[6:7]
	s_add_i32 s11, s10, s9
	s_mul_i32 s10, s26, s3
	v_lshl_add_u64 v[56:57], s[30:31], 0, v[6:7]
	v_lshl_add_u64 v[6:7], v[2:3], 0, 6
	s_lshl_b64 s[40:41], s[10:11], 3
	v_mul_lo_u32 v4, s27, v6
	v_mul_lo_u32 v8, s26, v7
	v_mad_u64_u32 v[6:7], s[10:11], s26, v6, 0
	v_add3_u32 v7, v7, v8, v4
	v_lshlrev_b64 v[6:7], 3, v[6:7]
	v_lshl_add_u64 v[58:59], s[28:29], 0, v[6:7]
	v_lshl_add_u64 v[60:61], s[30:31], 0, v[6:7]
	v_lshl_add_u64 v[6:7], v[2:3], 0, 5
	v_mul_lo_u32 v4, s27, v6
	v_mul_lo_u32 v8, s26, v7
	v_mad_u64_u32 v[6:7], s[10:11], s26, v6, 0
	v_add3_u32 v7, v7, v8, v4
	v_lshlrev_b64 v[6:7], 3, v[6:7]
	v_lshl_add_u64 v[62:63], s[28:29], 0, v[6:7]
	v_lshl_add_u64 v[64:65], s[30:31], 0, v[6:7]
	v_lshl_add_u64 v[6:7], v[2:3], 0, 4
	;; [unrolled: 8-line block ×4, first 2 shown]
	v_mul_lo_u32 v4, s27, v6
	v_mul_lo_u32 v8, s26, v7
	v_mad_u64_u32 v[6:7], s[10:11], s26, v6, 0
	v_add3_u32 v7, v7, v8, v4
	v_lshlrev_b64 v[6:7], 3, v[6:7]
	v_lshl_add_u64 v[74:75], s[28:29], 0, v[6:7]
	v_lshl_add_u64 v[76:77], s[30:31], 0, v[6:7]
	v_mov_b64_e32 v[6:7], s[26:27]
	v_mad_u64_u32 v[6:7], s[10:11], s26, v2, v[6:7]
	v_mul_lo_u32 v4, s26, v3
	v_mul_lo_u32 v8, s27, v2
	v_mad_u64_u32 v[2:3], s[10:11], s26, v2, 0
	v_add3_u32 v3, v3, v4, v8
	v_lshlrev_b64 v[2:3], 3, v[2:3]
	v_lshl_add_u64 v[82:83], s[28:29], 0, v[2:3]
	v_lshl_add_u64 v[84:85], s[30:31], 0, v[2:3]
	v_mbcnt_lo_u32_b32 v2, -1, 0
	v_add3_u32 v7, v8, v7, v4
	v_mbcnt_hi_u32_b32 v2, -1, v2
	v_lshlrev_b64 v[6:7], 3, v[6:7]
	s_add_u32 s42, s36, 63
	s_movk_i32 s44, 0xffc1
	s_movk_i32 s46, 0xffc2
	;; [unrolled: 1-line block ×8, first 2 shown]
	v_lshlrev_b32_e32 v2, 2, v2
	s_mov_b32 s8, 0
	v_lshl_add_u64 v[78:79], s[28:29], 0, v[6:7]
	v_lshl_add_u64 v[80:81], s[30:31], 0, v[6:7]
	s_addc_u32 s43, 0, 0
	v_mov_b64_e32 v[86:87], 0
	s_mov_b32 s45, -1
	s_mov_b32 s47, -1
	;; [unrolled: 1-line block ×8, first 2 shown]
	v_and_b32_e32 v93, 0x100, v2
	s_mov_b64 s[60:61], s[36:37]
.LBB124_3:                              ; =>This Inner Loop Header: Depth=1
	v_mov_b64_e32 v[2:3], s[24:25]
	v_cmp_ge_i64_e32 vcc, s[42:43], v[2:3]
	v_lshl_add_u64 v[88:89], v[50:51], 0, s[42:43]
	s_cbranch_vccz .LBB124_25
; %bb.4:                                ;   in Loop: Header=BB124_3 Depth=1
	s_load_dword s9, s[38:39], 0xc
	v_mov_b64_e32 v[90:91], 0
	s_waitcnt lgkmcnt(0)
	s_and_b32 s9, s9, 0xffff
	v_mad_u32_u24 v2, v92, s9, v1
	v_and_b32_e32 v4, 63, v2
	v_cmp_gt_u32_e32 vcc, 8, v4
	s_and_saveexec_b64 s[10:11], vcc
	s_cbranch_execz .LBB124_8
; %bb.5:                                ;   in Loop: Header=BB124_3 Depth=1
	v_lshl_add_u64 v[2:3], v[88:89], 0, v[4:5]
	v_lshl_add_u64 v[2:3], v[2:3], 0, s[44:45]
	v_cmp_gt_i64_e32 vcc, s[24:25], v[2:3]
	v_mov_b64_e32 v[90:91], 0
	s_and_saveexec_b64 s[12:13], vcc
	s_cbranch_execz .LBB124_7
; %bb.6:                                ;   in Loop: Header=BB124_3 Depth=1
	v_lshl_add_u64 v[2:3], v[2:3], 3, s[34:35]
	global_load_dwordx2 v[90:91], v[2:3], off
.LBB124_7:                              ;   in Loop: Header=BB124_3 Depth=1
	s_or_b64 exec, exec, s[12:13]
.LBB124_8:                              ;   in Loop: Header=BB124_3 Depth=1
	s_or_b64 exec, exec, s[10:11]
	s_mov_b32 s22, s8
	s_mov_b32 s23, s8
	v_lshl_add_u64 v[2:3], v[88:89], 0, s[44:45]
	s_mov_b32 s9, s8
	s_mov_b32 s10, s8
	;; [unrolled: 1-line block ×13, first 2 shown]
	v_mov_b64_e32 v[32:33], s[22:23]
	v_cmp_gt_i64_e32 vcc, s[24:25], v[2:3]
	v_mov_b64_e32 v[30:31], s[20:21]
	v_mov_b64_e32 v[28:29], s[18:19]
	;; [unrolled: 1-line block ×8, first 2 shown]
	s_and_b64 s[62:63], s[6:7], vcc
	v_mov_b64_e32 v[46:47], v[30:31]
	v_mov_b64_e32 v[44:45], v[28:29]
	;; [unrolled: 1-line block ×7, first 2 shown]
	s_and_saveexec_b64 s[10:11], s[62:63]
	s_cbranch_execz .LBB124_10
; %bb.9:                                ;   in Loop: Header=BB124_3 Depth=1
	v_lshl_add_u64 v[2:3], v[82:83], 0, v[52:53]
	global_load_dwordx2 v[2:3], v[2:3], off
	v_lshl_add_u64 v[6:7], v[84:85], 0, v[52:53]
	global_load_dwordx2 v[18:19], v[6:7], off
	v_mov_b32_e32 v16, v5
	v_mov_b32_e32 v17, v5
	;; [unrolled: 1-line block ×13, first 2 shown]
	s_waitcnt vmcnt(1)
	v_mov_b64_e32 v[48:49], v[16:17]
	v_mov_b32_e32 v20, v5
	v_mov_b32_e32 v21, v5
	;; [unrolled: 1-line block ×14, first 2 shown]
	v_mov_b64_e32 v[46:47], v[14:15]
	v_mov_b64_e32 v[44:45], v[12:13]
	;; [unrolled: 1-line block ×7, first 2 shown]
.LBB124_10:                             ;   in Loop: Header=BB124_3 Depth=1
	s_or_b64 exec, exec, s[10:11]
	v_lshl_add_u64 v[2:3], v[88:89], 0, s[46:47]
	v_cmp_gt_i64_e32 vcc, s[24:25], v[2:3]
	s_and_b64 s[12:13], s[6:7], vcc
	s_and_saveexec_b64 s[10:11], s[12:13]
	s_cbranch_execz .LBB124_12
; %bb.11:                               ;   in Loop: Header=BB124_3 Depth=1
	v_lshl_add_u64 v[2:3], v[78:79], 0, v[52:53]
	global_load_dwordx2 v[36:37], v[2:3], off
	v_lshl_add_u64 v[2:3], v[80:81], 0, v[52:53]
	global_load_dwordx2 v[20:21], v[2:3], off
.LBB124_12:                             ;   in Loop: Header=BB124_3 Depth=1
	s_or_b64 exec, exec, s[10:11]
	v_lshl_add_u64 v[2:3], v[88:89], 0, s[48:49]
	v_cmp_gt_i64_e32 vcc, s[24:25], v[2:3]
	s_and_b64 s[12:13], s[6:7], vcc
	s_and_saveexec_b64 s[10:11], s[12:13]
	s_cbranch_execz .LBB124_14
; %bb.13:                               ;   in Loop: Header=BB124_3 Depth=1
	v_lshl_add_u64 v[2:3], v[74:75], 0, v[52:53]
	global_load_dwordx2 v[38:39], v[2:3], off
	v_lshl_add_u64 v[2:3], v[76:77], 0, v[52:53]
	global_load_dwordx2 v[22:23], v[2:3], off
.LBB124_14:                             ;   in Loop: Header=BB124_3 Depth=1
	s_or_b64 exec, exec, s[10:11]
	v_lshl_add_u64 v[2:3], v[88:89], 0, s[50:51]
	v_cmp_gt_i64_e32 vcc, s[24:25], v[2:3]
	s_and_b64 s[12:13], s[6:7], vcc
	s_and_saveexec_b64 s[10:11], s[12:13]
	s_cbranch_execz .LBB124_16
; %bb.15:                               ;   in Loop: Header=BB124_3 Depth=1
	v_lshl_add_u64 v[2:3], v[70:71], 0, v[52:53]
	global_load_dwordx2 v[40:41], v[2:3], off
	v_lshl_add_u64 v[2:3], v[72:73], 0, v[52:53]
	global_load_dwordx2 v[24:25], v[2:3], off
.LBB124_16:                             ;   in Loop: Header=BB124_3 Depth=1
	s_or_b64 exec, exec, s[10:11]
	v_lshl_add_u64 v[2:3], v[88:89], 0, s[52:53]
	v_cmp_gt_i64_e32 vcc, s[24:25], v[2:3]
	s_and_b64 s[12:13], s[6:7], vcc
	s_and_saveexec_b64 s[10:11], s[12:13]
	s_cbranch_execz .LBB124_18
; %bb.17:                               ;   in Loop: Header=BB124_3 Depth=1
	v_lshl_add_u64 v[2:3], v[66:67], 0, v[52:53]
	global_load_dwordx2 v[42:43], v[2:3], off
	v_lshl_add_u64 v[2:3], v[68:69], 0, v[52:53]
	global_load_dwordx2 v[26:27], v[2:3], off
.LBB124_18:                             ;   in Loop: Header=BB124_3 Depth=1
	s_or_b64 exec, exec, s[10:11]
	v_lshl_add_u64 v[2:3], v[88:89], 0, s[54:55]
	v_cmp_gt_i64_e32 vcc, s[24:25], v[2:3]
	s_and_b64 s[12:13], s[6:7], vcc
	s_and_saveexec_b64 s[10:11], s[12:13]
	s_cbranch_execz .LBB124_20
; %bb.19:                               ;   in Loop: Header=BB124_3 Depth=1
	v_lshl_add_u64 v[2:3], v[62:63], 0, v[52:53]
	global_load_dwordx2 v[44:45], v[2:3], off
	v_lshl_add_u64 v[2:3], v[64:65], 0, v[52:53]
	global_load_dwordx2 v[28:29], v[2:3], off
.LBB124_20:                             ;   in Loop: Header=BB124_3 Depth=1
	s_or_b64 exec, exec, s[10:11]
	v_lshl_add_u64 v[2:3], v[88:89], 0, s[56:57]
	v_cmp_gt_i64_e32 vcc, s[24:25], v[2:3]
	s_and_b64 s[12:13], s[6:7], vcc
	s_and_saveexec_b64 s[10:11], s[12:13]
	s_cbranch_execz .LBB124_22
; %bb.21:                               ;   in Loop: Header=BB124_3 Depth=1
	v_lshl_add_u64 v[2:3], v[58:59], 0, v[52:53]
	global_load_dwordx2 v[46:47], v[2:3], off
	v_lshl_add_u64 v[2:3], v[60:61], 0, v[52:53]
	global_load_dwordx2 v[30:31], v[2:3], off
.LBB124_22:                             ;   in Loop: Header=BB124_3 Depth=1
	s_or_b64 exec, exec, s[10:11]
	v_lshl_add_u64 v[2:3], v[88:89], 0, s[58:59]
	v_cmp_gt_i64_e32 vcc, s[24:25], v[2:3]
	s_and_b64 s[12:13], s[6:7], vcc
	s_and_saveexec_b64 s[10:11], s[12:13]
	s_cbranch_execz .LBB124_24
; %bb.23:                               ;   in Loop: Header=BB124_3 Depth=1
	v_lshl_add_u64 v[2:3], v[54:55], 0, v[52:53]
	global_load_dwordx2 v[48:49], v[2:3], off
	v_lshl_add_u64 v[2:3], v[56:57], 0, v[52:53]
	global_load_dwordx2 v[32:33], v[2:3], off
.LBB124_24:                             ;   in Loop: Header=BB124_3 Depth=1
	s_or_b64 exec, exec, s[10:11]
	s_waitcnt vmcnt(0)
	ds_bpermute_b32 v2, v93, v90
	ds_bpermute_b32 v3, v93, v91
	ds_bpermute_b32 v6, v93, v90 offset:4
	ds_bpermute_b32 v7, v93, v91 offset:4
	v_mul_f64 v[8:9], v[18:19], v[34:35]
	ds_bpermute_b32 v10, v93, v90 offset:12
	s_waitcnt lgkmcnt(3)
	v_fma_f64 v[2:3], v[8:9], v[2:3], v[86:87]
	v_mul_f64 v[8:9], v[20:21], v[36:37]
	s_waitcnt lgkmcnt(1)
	v_fmac_f64_e32 v[2:3], v[8:9], v[6:7]
	ds_bpermute_b32 v6, v93, v90 offset:8
	ds_bpermute_b32 v7, v93, v91 offset:8
	;; [unrolled: 1-line block ×5, first 2 shown]
	v_mul_f64 v[8:9], v[22:23], v[38:39]
	s_waitcnt lgkmcnt(3)
	v_fmac_f64_e32 v[2:3], v[8:9], v[6:7]
	v_mul_f64 v[6:7], v[24:25], v[40:41]
	s_waitcnt lgkmcnt(2)
	v_fmac_f64_e32 v[2:3], v[6:7], v[10:11]
	v_mul_f64 v[6:7], v[26:27], v[42:43]
	ds_bpermute_b32 v8, v93, v90 offset:20
	ds_bpermute_b32 v9, v93, v91 offset:20
	s_waitcnt lgkmcnt(2)
	v_fmac_f64_e32 v[2:3], v[6:7], v[12:13]
	ds_bpermute_b32 v12, v93, v90 offset:24
	ds_bpermute_b32 v13, v93, v91 offset:24
	;; [unrolled: 1-line block ×4, first 2 shown]
	v_mul_f64 v[10:11], v[28:29], v[44:45]
	s_waitcnt lgkmcnt(4)
	v_fmac_f64_e32 v[2:3], v[10:11], v[8:9]
	v_mul_f64 v[8:9], v[30:31], v[46:47]
	s_waitcnt lgkmcnt(2)
	v_fmac_f64_e32 v[2:3], v[8:9], v[12:13]
	s_branch .LBB124_40
.LBB124_25:                             ;   in Loop: Header=BB124_3 Depth=1
                                        ; implicit-def: $vgpr2_vgpr3
                                        ; implicit-def: $vgpr18_vgpr19_vgpr20_vgpr21_vgpr22_vgpr23_vgpr24_vgpr25_vgpr26_vgpr27_vgpr28_vgpr29_vgpr30_vgpr31_vgpr32_vgpr33
                                        ; implicit-def: $vgpr34_vgpr35_vgpr36_vgpr37_vgpr38_vgpr39_vgpr40_vgpr41_vgpr42_vgpr43_vgpr44_vgpr45_vgpr46_vgpr47_vgpr48_vgpr49
                                        ; implicit-def: $vgpr6
	s_cbranch_execz .LBB124_40
; %bb.26:                               ;   in Loop: Header=BB124_3 Depth=1
	s_load_dword s9, s[38:39], 0x0
	v_mov_b64_e32 v[90:91], 0
	s_waitcnt lgkmcnt(0)
	s_cmp_lt_u32 s2, s9
	s_cselect_b32 s9, 12, 18
	s_add_u32 s10, s38, s9
	s_addc_u32 s11, s39, 0
	global_load_ushort v2, v5, s[10:11]
	s_waitcnt vmcnt(0)
	v_mad_u32_u24 v2, v92, v2, v1
	v_and_b32_e32 v4, 63, v2
	v_cmp_gt_u32_e32 vcc, 8, v4
	s_and_saveexec_b64 s[10:11], vcc
	s_cbranch_execz .LBB124_30
; %bb.27:                               ;   in Loop: Header=BB124_3 Depth=1
	v_lshl_add_u64 v[2:3], v[88:89], 0, v[4:5]
	v_lshl_add_u64 v[2:3], v[2:3], 0, s[44:45]
	v_cmp_gt_i64_e32 vcc, s[24:25], v[2:3]
	v_mov_b64_e32 v[90:91], 0
	s_and_saveexec_b64 s[12:13], vcc
	s_cbranch_execz .LBB124_29
; %bb.28:                               ;   in Loop: Header=BB124_3 Depth=1
	v_lshl_add_u64 v[2:3], v[2:3], 3, s[34:35]
	global_load_dwordx2 v[90:91], v[2:3], off
.LBB124_29:                             ;   in Loop: Header=BB124_3 Depth=1
	s_or_b64 exec, exec, s[12:13]
.LBB124_30:                             ;   in Loop: Header=BB124_3 Depth=1
	s_or_b64 exec, exec, s[10:11]
	s_mov_b32 s22, s8
	s_mov_b32 s23, s8
	;; [unrolled: 1-line block ×15, first 2 shown]
	v_mov_b64_e32 v[32:33], s[22:23]
	v_mov_b64_e32 v[30:31], s[20:21]
	;; [unrolled: 1-line block ×16, first 2 shown]
	s_and_saveexec_b64 s[10:11], s[6:7]
	s_cbranch_execnz .LBB124_42
; %bb.31:                               ;   in Loop: Header=BB124_3 Depth=1
	s_or_b64 exec, exec, s[10:11]
	s_and_saveexec_b64 s[10:11], s[6:7]
	s_cbranch_execnz .LBB124_43
.LBB124_32:                             ;   in Loop: Header=BB124_3 Depth=1
	s_or_b64 exec, exec, s[10:11]
	s_and_saveexec_b64 s[10:11], s[6:7]
	s_cbranch_execnz .LBB124_44
.LBB124_33:                             ;   in Loop: Header=BB124_3 Depth=1
	s_or_b64 exec, exec, s[10:11]
	s_and_saveexec_b64 s[10:11], s[6:7]
	s_cbranch_execnz .LBB124_45
.LBB124_34:                             ;   in Loop: Header=BB124_3 Depth=1
	s_or_b64 exec, exec, s[10:11]
	s_and_saveexec_b64 s[10:11], s[6:7]
	s_cbranch_execnz .LBB124_46
.LBB124_35:                             ;   in Loop: Header=BB124_3 Depth=1
	s_or_b64 exec, exec, s[10:11]
	s_and_saveexec_b64 s[10:11], s[6:7]
	s_cbranch_execnz .LBB124_47
.LBB124_36:                             ;   in Loop: Header=BB124_3 Depth=1
	s_or_b64 exec, exec, s[10:11]
	s_and_saveexec_b64 s[10:11], s[6:7]
	s_cbranch_execnz .LBB124_48
.LBB124_37:                             ;   in Loop: Header=BB124_3 Depth=1
	s_or_b64 exec, exec, s[10:11]
	s_and_saveexec_b64 s[10:11], s[6:7]
	s_cbranch_execz .LBB124_39
.LBB124_38:                             ;   in Loop: Header=BB124_3 Depth=1
	v_lshl_add_u64 v[2:3], v[54:55], 0, v[52:53]
	global_load_dwordx2 v[48:49], v[2:3], off
	v_lshl_add_u64 v[2:3], v[56:57], 0, v[52:53]
	global_load_dwordx2 v[32:33], v[2:3], off
.LBB124_39:                             ;   in Loop: Header=BB124_3 Depth=1
	s_or_b64 exec, exec, s[10:11]
	s_waitcnt vmcnt(0)
	ds_bpermute_b32 v2, v93, v90
	ds_bpermute_b32 v3, v93, v91
	ds_bpermute_b32 v6, v93, v90 offset:4
	ds_bpermute_b32 v7, v93, v91 offset:4
	v_mul_f64 v[8:9], v[18:19], v[34:35]
	ds_bpermute_b32 v10, v93, v90 offset:16
	s_waitcnt lgkmcnt(3)
	v_fmac_f64_e32 v[86:87], v[8:9], v[2:3]
	v_mul_f64 v[2:3], v[20:21], v[36:37]
	s_waitcnt lgkmcnt(1)
	v_fmac_f64_e32 v[86:87], v[2:3], v[6:7]
	ds_bpermute_b32 v2, v93, v90 offset:8
	ds_bpermute_b32 v3, v93, v91 offset:8
	;; [unrolled: 1-line block ×5, first 2 shown]
	v_mul_f64 v[6:7], v[22:23], v[38:39]
	s_waitcnt lgkmcnt(3)
	v_fmac_f64_e32 v[86:87], v[6:7], v[2:3]
	v_mul_f64 v[2:3], v[24:25], v[40:41]
	s_waitcnt lgkmcnt(1)
	v_fmac_f64_e32 v[86:87], v[2:3], v[8:9]
	;; [unrolled: 3-line block ×3, first 2 shown]
	ds_bpermute_b32 v2, v93, v90 offset:20
	ds_bpermute_b32 v3, v93, v91 offset:20
	ds_bpermute_b32 v10, v93, v90 offset:24
	ds_bpermute_b32 v11, v93, v91 offset:24
	v_mul_f64 v[8:9], v[28:29], v[44:45]
	ds_bpermute_b32 v6, v93, v90 offset:28
	s_waitcnt lgkmcnt(3)
	v_fmac_f64_e32 v[86:87], v[8:9], v[2:3]
	v_mul_f64 v[2:3], v[30:31], v[46:47]
	s_waitcnt lgkmcnt(1)
	v_fmac_f64_e32 v[86:87], v[2:3], v[10:11]
	ds_bpermute_b32 v7, v93, v91 offset:28
	v_mov_b64_e32 v[2:3], v[86:87]
.LBB124_40:                             ;   in Loop: Header=BB124_3 Depth=1
	v_mul_f64 v[8:9], v[48:49], v[32:33]
	s_add_u32 s60, s60, s3
	s_waitcnt lgkmcnt(0)
	v_fmac_f64_e32 v[2:3], v[8:9], v[6:7]
	s_addc_u32 s61, s61, 0
	v_mov_b64_e32 v[6:7], s[24:25]
	s_add_u32 s42, s42, s3
	v_cmp_lt_i64_e32 vcc, s[60:61], v[6:7]
	v_lshl_add_u64 v[54:55], v[54:55], 0, s[40:41]
	v_lshl_add_u64 v[56:57], v[56:57], 0, s[40:41]
	;; [unrolled: 1-line block ×14, first 2 shown]
	s_addc_u32 s43, s43, 0
	v_lshl_add_u64 v[82:83], v[82:83], 0, s[40:41]
	v_lshl_add_u64 v[84:85], v[84:85], 0, s[40:41]
	s_cbranch_vccz .LBB124_50
; %bb.41:                               ;   in Loop: Header=BB124_3 Depth=1
	v_mov_b64_e32 v[86:87], v[2:3]
	s_branch .LBB124_3
.LBB124_42:                             ;   in Loop: Header=BB124_3 Depth=1
	v_lshl_add_u64 v[2:3], v[82:83], 0, v[52:53]
	global_load_dwordx2 v[2:3], v[2:3], off
	v_lshl_add_u64 v[6:7], v[84:85], 0, v[52:53]
	global_load_dwordx2 v[18:19], v[6:7], off
	v_mov_b32_e32 v16, v5
	v_mov_b32_e32 v17, v5
	v_mov_b32_e32 v4, v5
	v_mov_b32_e32 v6, v5
	v_mov_b32_e32 v7, v5
	v_mov_b32_e32 v8, v5
	v_mov_b32_e32 v9, v5
	v_mov_b32_e32 v10, v5
	v_mov_b32_e32 v11, v5
	v_mov_b32_e32 v12, v5
	v_mov_b32_e32 v13, v5
	v_mov_b32_e32 v14, v5
	v_mov_b32_e32 v15, v5
	s_waitcnt vmcnt(1)
	v_mov_b64_e32 v[48:49], v[16:17]
	v_mov_b32_e32 v20, v5
	v_mov_b32_e32 v21, v5
	;; [unrolled: 1-line block ×14, first 2 shown]
	v_mov_b64_e32 v[46:47], v[14:15]
	v_mov_b64_e32 v[44:45], v[12:13]
	;; [unrolled: 1-line block ×7, first 2 shown]
	s_or_b64 exec, exec, s[10:11]
	s_and_saveexec_b64 s[10:11], s[6:7]
	s_cbranch_execz .LBB124_32
.LBB124_43:                             ;   in Loop: Header=BB124_3 Depth=1
	v_lshl_add_u64 v[2:3], v[78:79], 0, v[52:53]
	global_load_dwordx2 v[36:37], v[2:3], off
	v_lshl_add_u64 v[2:3], v[80:81], 0, v[52:53]
	global_load_dwordx2 v[20:21], v[2:3], off
	s_or_b64 exec, exec, s[10:11]
	s_and_saveexec_b64 s[10:11], s[6:7]
	s_cbranch_execz .LBB124_33
.LBB124_44:                             ;   in Loop: Header=BB124_3 Depth=1
	v_lshl_add_u64 v[2:3], v[74:75], 0, v[52:53]
	global_load_dwordx2 v[38:39], v[2:3], off
	v_lshl_add_u64 v[2:3], v[76:77], 0, v[52:53]
	global_load_dwordx2 v[22:23], v[2:3], off
	s_or_b64 exec, exec, s[10:11]
	s_and_saveexec_b64 s[10:11], s[6:7]
	s_cbranch_execz .LBB124_34
.LBB124_45:                             ;   in Loop: Header=BB124_3 Depth=1
	v_lshl_add_u64 v[2:3], v[70:71], 0, v[52:53]
	global_load_dwordx2 v[40:41], v[2:3], off
	v_lshl_add_u64 v[2:3], v[72:73], 0, v[52:53]
	global_load_dwordx2 v[24:25], v[2:3], off
	s_or_b64 exec, exec, s[10:11]
	s_and_saveexec_b64 s[10:11], s[6:7]
	s_cbranch_execz .LBB124_35
.LBB124_46:                             ;   in Loop: Header=BB124_3 Depth=1
	v_lshl_add_u64 v[2:3], v[66:67], 0, v[52:53]
	global_load_dwordx2 v[42:43], v[2:3], off
	v_lshl_add_u64 v[2:3], v[68:69], 0, v[52:53]
	global_load_dwordx2 v[26:27], v[2:3], off
	s_or_b64 exec, exec, s[10:11]
	s_and_saveexec_b64 s[10:11], s[6:7]
	s_cbranch_execz .LBB124_36
.LBB124_47:                             ;   in Loop: Header=BB124_3 Depth=1
	v_lshl_add_u64 v[2:3], v[62:63], 0, v[52:53]
	global_load_dwordx2 v[44:45], v[2:3], off
	v_lshl_add_u64 v[2:3], v[64:65], 0, v[52:53]
	global_load_dwordx2 v[28:29], v[2:3], off
	s_or_b64 exec, exec, s[10:11]
	s_and_saveexec_b64 s[10:11], s[6:7]
	s_cbranch_execz .LBB124_37
.LBB124_48:                             ;   in Loop: Header=BB124_3 Depth=1
	v_lshl_add_u64 v[2:3], v[58:59], 0, v[52:53]
	global_load_dwordx2 v[46:47], v[2:3], off
	v_lshl_add_u64 v[2:3], v[60:61], 0, v[52:53]
	global_load_dwordx2 v[30:31], v[2:3], off
	s_or_b64 exec, exec, s[10:11]
	s_and_saveexec_b64 s[10:11], s[6:7]
	s_cbranch_execnz .LBB124_38
	s_branch .LBB124_39
.LBB124_49:
                                        ; implicit-def: $vgpr2_vgpr3
	s_branch .LBB124_51
.LBB124_50:
	s_cbranch_execnz .LBB124_83
.LBB124_51:
	s_and_b64 vcc, exec, s[4:5]
	v_mov_b64_e32 v[2:3], 0
	s_cbranch_vccnz .LBB124_83
; %bb.52:
	v_and_b32_e32 v1, 0x3ff, v0
	v_add_u32_e32 v4, s33, v1
	v_mov_b32_e32 v5, 0
	v_bfe_u32 v120, v0, 10, 10
	v_lshlrev_b64 v[52:53], 3, v[4:5]
	v_lshlrev_b32_e32 v4, 6, v120
	v_lshl_add_u64 v[2:3], s[36:37], 3, v[4:5]
	v_lshl_add_u64 v[6:7], v[2:3], 0, 8
	v_mov_b64_e32 v[8:9], s[28:29]
	v_mov_b64_e32 v[18:19], s[30:31]
	v_mad_u64_u32 v[54:55], s[4:5], s26, v6, v[8:9]
	v_mul_lo_u32 v4, s26, v7
	v_mul_lo_u32 v7, s27, v6
	v_mad_u64_u32 v[64:65], s[4:5], s26, v6, v[18:19]
	v_lshlrev_b32_e32 v50, 3, v120
	v_mov_b32_e32 v51, v5
	v_add3_u32 v55, v7, v55, v4
	v_lshl_add_u64 v[10:11], v[2:3], 0, 16
	v_lshl_add_u64 v[12:13], v[2:3], 0, 24
	;; [unrolled: 1-line block ×4, first 2 shown]
	v_add3_u32 v65, v7, v65, v4
	v_lshl_add_u64 v[6:7], v[2:3], 0, 48
	v_lshl_add_u64 v[2:3], v[2:3], 0, 56
	v_mad_u64_u32 v[56:57], s[4:5], s26, v10, v[8:9]
	v_mul_lo_u32 v20, s27, v10
	v_mad_u64_u32 v[58:59], s[4:5], s26, v12, v[8:9]
	v_mad_u64_u32 v[60:61], s[4:5], s26, v14, v[8:9]
	;; [unrolled: 1-line block ×6, first 2 shown]
	v_mul_lo_u32 v3, s26, v3
	v_mul_lo_u32 v10, s27, v2
	v_lshl_add_u64 v[8:9], v[50:51], 0, s[36:37]
	v_mad_u64_u32 v[80:81], s[4:5], s26, v2, v[18:19]
	v_mul_lo_u32 v4, s26, v7
	v_mul_lo_u32 v7, s27, v6
	v_add3_u32 v73, v10, v73, v3
	v_mad_u64_u32 v[78:79], s[4:5], s26, v6, v[18:19]
	v_add3_u32 v81, v10, v81, v3
	v_lshl_add_u64 v[2:3], v[8:9], 0, 7
	v_add3_u32 v69, v7, v69, v4
	v_add3_u32 v79, v7, v79, v4
	v_mul_lo_u32 v4, s27, v2
	v_mul_lo_u32 v6, s26, v3
	v_mad_u64_u32 v[2:3], s[4:5], s26, v2, 0
	v_add3_u32 v3, v3, v6, v4
	v_lshl_add_u64 v[6:7], v[8:9], 0, 6
	v_mul_lo_u32 v11, s26, v11
	v_mul_lo_u32 v4, s27, v6
	v_mul_lo_u32 v10, s26, v7
	v_mad_u64_u32 v[6:7], s[4:5], s26, v6, 0
	v_add3_u32 v57, v20, v57, v11
	v_add3_u32 v67, v20, v67, v11
	v_add3_u32 v7, v7, v10, v4
	v_lshl_add_u64 v[10:11], v[8:9], 0, 5
	v_mul_lo_u32 v13, s26, v13
	v_mul_lo_u32 v21, s27, v12
	v_mad_u64_u32 v[70:71], s[4:5], s26, v12, v[18:19]
	v_mul_lo_u32 v4, s27, v10
	v_mul_lo_u32 v12, s26, v11
	v_mad_u64_u32 v[10:11], s[4:5], s26, v10, 0
	v_add3_u32 v59, v21, v59, v13
	v_add3_u32 v71, v21, v71, v13
	v_add3_u32 v11, v11, v12, v4
	v_lshl_add_u64 v[12:13], v[8:9], 0, 4
	v_mul_lo_u32 v15, s26, v15
	v_mul_lo_u32 v22, s27, v14
	v_mad_u64_u32 v[74:75], s[4:5], s26, v14, v[18:19]
	v_mul_lo_u32 v4, s27, v12
	v_mul_lo_u32 v14, s26, v13
	;; [unrolled: 10-line block ×3, first 2 shown]
	v_mad_u64_u32 v[14:15], s[4:5], s26, v14, 0
	v_lshlrev_b64 v[2:3], 3, v[2:3]
	v_add3_u32 v63, v23, v63, v17
	v_add3_u32 v77, v23, v77, v17
	;; [unrolled: 1-line block ×3, first 2 shown]
	v_lshl_add_u64 v[16:17], v[8:9], 0, 2
	v_lshl_add_u64 v[86:87], s[28:29], 0, v[2:3]
	;; [unrolled: 1-line block ×3, first 2 shown]
	v_lshlrev_b64 v[2:3], 3, v[6:7]
	v_mul_lo_u32 v4, s27, v16
	v_mul_lo_u32 v18, s26, v17
	v_mad_u64_u32 v[16:17], s[4:5], s26, v16, 0
	s_load_dword s3, s[0:1], 0x44
	v_lshl_add_u64 v[90:91], s[28:29], 0, v[2:3]
	v_lshl_add_u64 v[92:93], s[30:31], 0, v[2:3]
	v_lshlrev_b64 v[2:3], 3, v[10:11]
	v_add3_u32 v17, v17, v18, v4
	v_mov_b64_e32 v[18:19], s[26:27]
	v_lshl_add_u64 v[94:95], s[28:29], 0, v[2:3]
	v_lshl_add_u64 v[96:97], s[30:31], 0, v[2:3]
	v_lshlrev_b64 v[2:3], 3, v[12:13]
	v_mad_u64_u32 v[18:19], s[4:5], s26, v8, v[18:19]
	v_mul_lo_u32 v4, s27, v8
	v_mul_lo_u32 v20, s26, v9
	v_lshl_add_u64 v[98:99], s[28:29], 0, v[2:3]
	v_lshl_add_u64 v[100:101], s[30:31], 0, v[2:3]
	v_lshlrev_b64 v[2:3], 3, v[14:15]
	v_add3_u32 v19, v4, v19, v20
	v_lshl_add_u64 v[102:103], s[28:29], 0, v[2:3]
	v_lshl_add_u64 v[104:105], s[30:31], 0, v[2:3]
	v_lshlrev_b64 v[2:3], 3, v[16:17]
	v_mad_u64_u32 v[8:9], s[4:5], s26, v8, 0
	s_add_u32 s20, s0, 64
	v_lshl_add_u64 v[106:107], s[28:29], 0, v[2:3]
	v_lshl_add_u64 v[108:109], s[30:31], 0, v[2:3]
	v_lshlrev_b64 v[2:3], 3, v[18:19]
	v_add3_u32 v9, v9, v20, v4
	s_addc_u32 s21, s1, 0
	s_waitcnt lgkmcnt(0)
	s_lshl_b32 s3, s3, 6
	v_lshl_add_u64 v[110:111], s[28:29], 0, v[2:3]
	v_lshl_add_u64 v[112:113], s[30:31], 0, v[2:3]
	v_mbcnt_lo_u32_b32 v2, -1, 0
	s_add_u32 s22, s36, 63
	s_mul_i32 s5, s27, s3
	s_mul_hi_u32 s6, s26, s3
	v_lshlrev_b64 v[8:9], 3, v[8:9]
	v_mbcnt_hi_u32_b32 v2, -1, v2
	s_addc_u32 s23, 0, 0
	s_add_i32 s7, s6, s5
	s_mul_i32 s6, s26, s3
	v_lshl_add_u64 v[82:83], s[28:29], 0, v[8:9]
	v_lshl_add_u64 v[84:85], s[30:31], 0, v[8:9]
	s_movk_i32 s28, 0xffc1
	s_movk_i32 s30, 0xffc2
	;; [unrolled: 1-line block ×8, first 2 shown]
	v_lshlrev_b32_e32 v2, 2, v2
	s_mov_b32 s4, 0
	s_lshl_b64 s[38:39], s[6:7], 3
	s_mov_b32 s29, -1
	s_mov_b32 s31, -1
	;; [unrolled: 1-line block ×8, first 2 shown]
	v_and_b32_e32 v121, 0x100, v2
	v_mov_b64_e32 v[114:115], 0
.LBB124_53:                             ; =>This Inner Loop Header: Depth=1
	v_mov_b64_e32 v[2:3], s[24:25]
	v_cmp_ge_i64_e32 vcc, s[22:23], v[2:3]
	v_lshl_add_u64 v[116:117], v[50:51], 0, s[22:23]
	s_cbranch_vccz .LBB124_75
; %bb.54:                               ;   in Loop: Header=BB124_53 Depth=1
	s_load_dword s5, s[20:21], 0xc
	v_mov_b64_e32 v[118:119], 0
	s_waitcnt lgkmcnt(0)
	s_and_b32 s5, s5, 0xffff
	v_mad_u32_u24 v2, v120, s5, v1
	v_and_b32_e32 v4, 63, v2
	v_cmp_gt_u32_e32 vcc, 8, v4
	s_and_saveexec_b64 s[6:7], vcc
	s_cbranch_execz .LBB124_58
; %bb.55:                               ;   in Loop: Header=BB124_53 Depth=1
	v_lshl_add_u64 v[2:3], v[116:117], 0, v[4:5]
	v_lshl_add_u64 v[2:3], v[2:3], 0, s[28:29]
	v_cmp_gt_i64_e32 vcc, s[24:25], v[2:3]
	v_mov_b64_e32 v[118:119], 0
	s_and_saveexec_b64 s[8:9], vcc
	s_cbranch_execz .LBB124_57
; %bb.56:                               ;   in Loop: Header=BB124_53 Depth=1
	v_lshl_add_u64 v[2:3], v[2:3], 3, s[34:35]
	global_load_dwordx2 v[118:119], v[2:3], off
.LBB124_57:                             ;   in Loop: Header=BB124_53 Depth=1
	s_or_b64 exec, exec, s[8:9]
.LBB124_58:                             ;   in Loop: Header=BB124_53 Depth=1
	s_or_b64 exec, exec, s[6:7]
	s_mov_b32 s18, s4
	s_mov_b32 s19, s4
	s_mov_b32 s5, s4
	s_mov_b32 s6, s4
	s_mov_b32 s7, s4
	s_mov_b32 s8, s4
	s_mov_b32 s9, s4
	s_mov_b32 s10, s4
	s_mov_b32 s11, s4
	s_mov_b32 s12, s4
	s_mov_b32 s13, s4
	s_mov_b32 s14, s4
	s_mov_b32 s15, s4
	s_mov_b32 s16, s4
	s_mov_b32 s17, s4
	v_mov_b64_e32 v[32:33], s[18:19]
	v_lshl_add_u64 v[2:3], v[116:117], 0, s[28:29]
	v_mov_b64_e32 v[30:31], s[16:17]
	v_mov_b64_e32 v[28:29], s[14:15]
	;; [unrolled: 1-line block ×8, first 2 shown]
	v_cmp_gt_i64_e32 vcc, s[24:25], v[2:3]
	v_mov_b64_e32 v[46:47], v[30:31]
	v_mov_b64_e32 v[44:45], v[28:29]
	;; [unrolled: 1-line block ×7, first 2 shown]
	s_and_saveexec_b64 s[6:7], vcc
	s_cbranch_execz .LBB124_60
; %bb.59:                               ;   in Loop: Header=BB124_53 Depth=1
	v_lshl_add_u64 v[2:3], v[82:83], 0, v[52:53]
	global_load_dwordx2 v[2:3], v[2:3], off
	v_lshl_add_u64 v[6:7], v[84:85], 0, v[52:53]
	global_load_dwordx2 v[18:19], v[6:7], off
	v_mov_b32_e32 v16, v5
	v_mov_b32_e32 v17, v5
	;; [unrolled: 1-line block ×13, first 2 shown]
	s_waitcnt vmcnt(1)
	v_mov_b64_e32 v[48:49], v[16:17]
	v_mov_b32_e32 v20, v5
	v_mov_b32_e32 v21, v5
	;; [unrolled: 1-line block ×14, first 2 shown]
	v_mov_b64_e32 v[46:47], v[14:15]
	v_mov_b64_e32 v[44:45], v[12:13]
	;; [unrolled: 1-line block ×7, first 2 shown]
.LBB124_60:                             ;   in Loop: Header=BB124_53 Depth=1
	s_or_b64 exec, exec, s[6:7]
	v_lshl_add_u64 v[2:3], v[116:117], 0, s[30:31]
	v_cmp_gt_i64_e32 vcc, s[24:25], v[2:3]
	s_and_saveexec_b64 s[6:7], vcc
	s_cbranch_execz .LBB124_62
; %bb.61:                               ;   in Loop: Header=BB124_53 Depth=1
	v_lshl_add_u64 v[2:3], v[110:111], 0, v[52:53]
	global_load_dwordx2 v[36:37], v[2:3], off
	v_lshl_add_u64 v[2:3], v[112:113], 0, v[52:53]
	global_load_dwordx2 v[20:21], v[2:3], off
.LBB124_62:                             ;   in Loop: Header=BB124_53 Depth=1
	s_or_b64 exec, exec, s[6:7]
	v_lshl_add_u64 v[2:3], v[116:117], 0, s[40:41]
	v_cmp_gt_i64_e32 vcc, s[24:25], v[2:3]
	s_and_saveexec_b64 s[6:7], vcc
	s_cbranch_execz .LBB124_64
; %bb.63:                               ;   in Loop: Header=BB124_53 Depth=1
	v_lshl_add_u64 v[2:3], v[106:107], 0, v[52:53]
	global_load_dwordx2 v[38:39], v[2:3], off
	v_lshl_add_u64 v[2:3], v[108:109], 0, v[52:53]
	global_load_dwordx2 v[22:23], v[2:3], off
.LBB124_64:                             ;   in Loop: Header=BB124_53 Depth=1
	;; [unrolled: 11-line block ×7, first 2 shown]
	s_or_b64 exec, exec, s[6:7]
	s_waitcnt vmcnt(0)
	ds_bpermute_b32 v2, v121, v118
	ds_bpermute_b32 v3, v121, v119
	ds_bpermute_b32 v6, v121, v118 offset:4
	ds_bpermute_b32 v7, v121, v119 offset:4
	v_mul_f64 v[8:9], v[18:19], v[34:35]
	ds_bpermute_b32 v10, v121, v118 offset:12
	s_waitcnt lgkmcnt(3)
	v_fma_f64 v[2:3], v[8:9], v[2:3], v[114:115]
	v_mul_f64 v[8:9], v[20:21], v[36:37]
	s_waitcnt lgkmcnt(1)
	v_fmac_f64_e32 v[2:3], v[8:9], v[6:7]
	ds_bpermute_b32 v6, v121, v118 offset:8
	ds_bpermute_b32 v7, v121, v119 offset:8
	;; [unrolled: 1-line block ×5, first 2 shown]
	v_mul_f64 v[8:9], v[22:23], v[38:39]
	s_waitcnt lgkmcnt(3)
	v_fmac_f64_e32 v[2:3], v[8:9], v[6:7]
	v_mul_f64 v[6:7], v[24:25], v[40:41]
	s_waitcnt lgkmcnt(2)
	v_fmac_f64_e32 v[2:3], v[6:7], v[10:11]
	;; [unrolled: 3-line block ×3, first 2 shown]
	ds_bpermute_b32 v6, v121, v118 offset:20
	ds_bpermute_b32 v7, v121, v119 offset:20
	;; [unrolled: 1-line block ×6, first 2 shown]
	v_mul_f64 v[8:9], v[28:29], v[44:45]
	s_waitcnt lgkmcnt(4)
	v_fmac_f64_e32 v[2:3], v[8:9], v[6:7]
	v_mul_f64 v[6:7], v[30:31], v[46:47]
	s_waitcnt lgkmcnt(2)
	v_fmac_f64_e32 v[2:3], v[6:7], v[10:11]
	;; [unrolled: 3-line block ×3, first 2 shown]
	s_branch .LBB124_81
.LBB124_75:                             ;   in Loop: Header=BB124_53 Depth=1
                                        ; implicit-def: $vgpr2_vgpr3
	s_cbranch_execz .LBB124_81
; %bb.76:                               ;   in Loop: Header=BB124_53 Depth=1
	s_load_dword s5, s[20:21], 0x0
	s_waitcnt lgkmcnt(0)
	s_cmp_lt_u32 s2, s5
	s_cselect_b32 s5, 12, 18
	s_add_u32 s6, s20, s5
	s_addc_u32 s7, s21, 0
	global_load_ushort v2, v5, s[6:7]
	s_waitcnt vmcnt(0)
	v_mad_u32_u24 v2, v120, v2, v1
	v_and_b32_e32 v4, 63, v2
	v_cmp_gt_u32_e32 vcc, 8, v4
	v_mov_b64_e32 v[2:3], 0
	s_and_saveexec_b64 s[6:7], vcc
	s_cbranch_execz .LBB124_80
; %bb.77:                               ;   in Loop: Header=BB124_53 Depth=1
	v_lshl_add_u64 v[2:3], v[116:117], 0, v[4:5]
	v_lshl_add_u64 v[6:7], v[2:3], 0, s[28:29]
	v_cmp_gt_i64_e32 vcc, s[24:25], v[6:7]
	v_mov_b64_e32 v[2:3], 0
	s_and_saveexec_b64 s[8:9], vcc
	s_cbranch_execz .LBB124_79
; %bb.78:                               ;   in Loop: Header=BB124_53 Depth=1
	v_lshl_add_u64 v[2:3], v[6:7], 3, s[34:35]
	global_load_dwordx2 v[2:3], v[2:3], off
.LBB124_79:                             ;   in Loop: Header=BB124_53 Depth=1
	s_or_b64 exec, exec, s[8:9]
.LBB124_80:                             ;   in Loop: Header=BB124_53 Depth=1
	s_or_b64 exec, exec, s[6:7]
	v_lshl_add_u64 v[6:7], v[82:83], 0, v[52:53]
	v_lshl_add_u64 v[8:9], v[84:85], 0, v[52:53]
	global_load_dwordx2 v[6:7], v[6:7], off
	v_lshl_add_u64 v[10:11], v[54:55], 0, v[52:53]
	global_load_dwordx2 v[8:9], v[8:9], off
	;; [unrolled: 2-line block ×10, first 2 shown]
	v_lshl_add_u64 v[28:29], v[76:77], 0, v[52:53]
	v_lshl_add_u64 v[30:31], v[68:69], 0, v[52:53]
	;; [unrolled: 1-line block ×3, first 2 shown]
	global_load_dwordx2 v[34:35], v[26:27], off
	global_load_dwordx2 v[36:37], v[28:29], off
	;; [unrolled: 1-line block ×4, first 2 shown]
	v_lshl_add_u64 v[26:27], v[72:73], 0, v[52:53]
	v_lshl_add_u64 v[28:29], v[80:81], 0, v[52:53]
	global_load_dwordx2 v[30:31], v[26:27], off
	global_load_dwordx2 v[32:33], v[28:29], off
	s_waitcnt vmcnt(16)
	ds_bpermute_b32 v26, v121, v2
	ds_bpermute_b32 v27, v121, v3
	ds_bpermute_b32 v28, v121, v2 offset:4
	ds_bpermute_b32 v29, v121, v3 offset:4
	;; [unrolled: 1-line block ×14, first 2 shown]
	s_waitcnt vmcnt(14)
	v_mul_f64 v[6:7], v[6:7], v[8:9]
	s_waitcnt lgkmcnt(14)
	v_fmac_f64_e32 v[114:115], v[6:7], v[26:27]
	s_waitcnt vmcnt(12)
	v_mul_f64 v[8:9], v[10:11], v[12:13]
	s_waitcnt lgkmcnt(12)
	v_fmac_f64_e32 v[114:115], v[8:9], v[28:29]
	s_waitcnt vmcnt(10)
	v_mul_f64 v[10:11], v[14:15], v[16:17]
	s_waitcnt lgkmcnt(10)
	v_fmac_f64_e32 v[114:115], v[10:11], v[42:43]
	s_waitcnt vmcnt(8)
	v_mul_f64 v[12:13], v[18:19], v[20:21]
	s_waitcnt lgkmcnt(8)
	v_fmac_f64_e32 v[114:115], v[12:13], v[44:45]
	s_waitcnt vmcnt(6)
	v_mul_f64 v[14:15], v[22:23], v[24:25]
	s_waitcnt lgkmcnt(6)
	v_fmac_f64_e32 v[114:115], v[14:15], v[46:47]
	s_waitcnt vmcnt(4)
	v_mul_f64 v[16:17], v[34:35], v[36:37]
	s_waitcnt lgkmcnt(4)
	v_fmac_f64_e32 v[114:115], v[16:17], v[48:49]
	s_waitcnt vmcnt(2)
	v_mul_f64 v[18:19], v[38:39], v[40:41]
	s_waitcnt lgkmcnt(2)
	v_fmac_f64_e32 v[114:115], v[18:19], v[116:117]
	s_waitcnt vmcnt(0)
	v_mul_f64 v[6:7], v[30:31], v[32:33]
	s_waitcnt lgkmcnt(0)
	v_fmac_f64_e32 v[114:115], v[6:7], v[2:3]
	v_mov_b64_e32 v[2:3], v[114:115]
.LBB124_81:                             ;   in Loop: Header=BB124_53 Depth=1
	s_add_u32 s36, s36, s3
	s_addc_u32 s37, s37, 0
	v_mov_b64_e32 v[6:7], s[24:25]
	s_add_u32 s22, s22, s3
	v_cmp_ge_i64_e32 vcc, s[36:37], v[6:7]
	s_addc_u32 s23, s23, 0
	v_lshl_add_u64 v[54:55], v[54:55], 0, s[38:39]
	v_lshl_add_u64 v[56:57], v[56:57], 0, s[38:39]
	;; [unrolled: 1-line block ×30, first 2 shown]
	s_cbranch_vccnz .LBB124_83
; %bb.82:                               ;   in Loop: Header=BB124_53 Depth=1
	v_mov_b64_e32 v[114:115], v[2:3]
	s_branch .LBB124_53
.LBB124_83:
	v_bfe_u32 v4, v0, 10, 10
	v_and_b32_e32 v5, 0x3ff, v0
	s_movk_i32 s3, 0x41
	v_mad_u32_u24 v0, v4, s3, v5
	v_lshl_add_u32 v6, v0, 3, 0
	v_mov_b32_e32 v0, 0
	ds_write_b64 v6, v[2:3]
	v_mov_b32_e32 v1, v0
	v_lshrrev_b32_e32 v2, 6, v5
	ds_write_b64 v6, v[0:1] offset:4160
	v_add_u32_e32 v1, v2, v4
	s_mov_b32 s3, 0
	v_cmp_gt_u32_e32 vcc, 64, v1
	s_waitcnt lgkmcnt(0)
	s_barrier
	s_and_saveexec_b64 s[4:5], vcc
	s_cbranch_execz .LBB124_90
; %bb.84:
	v_mbcnt_lo_u32_b32 v6, -1, 0
	v_mbcnt_hi_u32_b32 v8, -1, v6
	v_and_b32_e32 v6, 64, v8
	s_load_dwordx2 s[10:11], s[0:1], 0x30
	v_and_b32_e32 v3, 63, v5
	v_add_u32_e32 v9, 64, v6
	v_cmp_ne_u32_e64 s[0:1], 0, v5
	v_xor_b32_e32 v5, 4, v8
	s_lshl_b64 s[4:5], s[2:3], 6
	v_cmp_lt_i32_e64 s[2:3], v5, v9
	v_cmp_gt_u32_e32 vcc, 8, v3
	v_mul_u32_u24_e32 v3, 0x208, v3
	v_cndmask_b32_e64 v5, v8, v5, s[2:3]
	v_lshlrev_b32_e32 v6, 2, v5
	v_xor_b32_e32 v5, 2, v8
	v_cmp_lt_i32_e64 s[2:3], v5, v9
	v_lshlrev_b32_e32 v1, 3, v1
	s_waitcnt lgkmcnt(0)
	s_cmp_eq_u64 s[10:11], 0
	v_cndmask_b32_e64 v5, v8, v5, s[2:3]
	v_lshlrev_b32_e32 v7, 2, v5
	v_xor_b32_e32 v5, 1, v8
	v_cmp_lt_i32_e64 s[2:3], v5, v9
	v_add3_u32 v9, v3, v1, 0
	v_mov_b32_e32 v3, v0
	v_cndmask_b32_e64 v5, v8, v5, s[2:3]
	v_lshlrev_b32_e32 v8, 2, v5
	v_mov_b32_e32 v5, v0
	v_lshl_add_u64 v[0:1], v[2:3], 0, v[4:5]
	v_lshl_add_u64 v[2:3], v[0:1], 0, s[4:5]
	s_mov_b64 s[6:7], 0
	s_cselect_b64 s[8:9], -1, 0
	v_lshl_add_u64 v[2:3], v[2:3], 3, s[10:11]
                                        ; implicit-def: $vgpr4_vgpr5
	s_branch .LBB124_86
.LBB124_85:                             ;   in Loop: Header=BB124_86 Depth=1
	s_or_b64 exec, exec, s[2:3]
	v_lshl_add_u64 v[0:1], v[0:1], 0, 8
	v_add_u32_e32 v10, -8, v0
	v_cmp_lt_u32_e64 s[2:3], 55, v10
	v_add_u32_e32 v9, 64, v9
	s_or_b64 s[6:7], s[2:3], s[6:7]
	v_lshl_add_u64 v[2:3], v[2:3], 0, 64
	s_andn2_b64 exec, exec, s[6:7]
	s_cbranch_execz .LBB124_90
.LBB124_86:                             ; =>This Inner Loop Header: Depth=1
	s_and_saveexec_b64 s[2:3], vcc
	s_cbranch_execz .LBB124_88
; %bb.87:                               ;   in Loop: Header=BB124_86 Depth=1
	ds_read_b64 v[4:5], v9
.LBB124_88:                             ;   in Loop: Header=BB124_86 Depth=1
	s_or_b64 exec, exec, s[2:3]
	s_waitcnt lgkmcnt(0)
	ds_bpermute_b32 v10, v6, v4
	ds_bpermute_b32 v11, v6, v5
	v_lshl_add_u64 v[12:13], s[4:5], 0, v[0:1]
	v_cmp_le_i64_e64 s[2:3], s[26:27], v[12:13]
	s_or_b64 s[2:3], s[0:1], s[2:3]
	s_or_b64 s[2:3], s[8:9], s[2:3]
	s_waitcnt lgkmcnt(0)
	v_add_f64 v[4:5], v[4:5], v[10:11]
	ds_bpermute_b32 v10, v7, v4
	ds_bpermute_b32 v11, v7, v5
	s_xor_b64 s[10:11], s[2:3], -1
	s_waitcnt lgkmcnt(0)
	v_add_f64 v[4:5], v[4:5], v[10:11]
	ds_bpermute_b32 v10, v8, v4
	ds_bpermute_b32 v11, v8, v5
	s_waitcnt lgkmcnt(0)
	v_add_f64 v[4:5], v[4:5], v[10:11]
	s_and_saveexec_b64 s[2:3], s[10:11]
	s_cbranch_execz .LBB124_85
; %bb.89:                               ;   in Loop: Header=BB124_86 Depth=1
	global_store_dwordx2 v[2:3], v[4:5], off
	s_branch .LBB124_85
.LBB124_90:
	s_endpgm
	.section	.rodata,"a",@progbits
	.p2align	6, 0x0
	.amdhsa_kernel _ZN2at6native12_GLOBAL__N_135GammaBetaBackwardCUDAKernelTemplateIddLj64ELj8ELj64ELb0ELb0ELb1EEEvllPKT_S5_PKT0_S8_PS3_S9_
		.amdhsa_group_segment_fixed_size 0
		.amdhsa_private_segment_fixed_size 0
		.amdhsa_kernarg_size 320
		.amdhsa_user_sgpr_count 2
		.amdhsa_user_sgpr_dispatch_ptr 0
		.amdhsa_user_sgpr_queue_ptr 0
		.amdhsa_user_sgpr_kernarg_segment_ptr 1
		.amdhsa_user_sgpr_dispatch_id 0
		.amdhsa_user_sgpr_kernarg_preload_length 0
		.amdhsa_user_sgpr_kernarg_preload_offset 0
		.amdhsa_user_sgpr_private_segment_size 0
		.amdhsa_uses_dynamic_stack 0
		.amdhsa_enable_private_segment 0
		.amdhsa_system_sgpr_workgroup_id_x 1
		.amdhsa_system_sgpr_workgroup_id_y 1
		.amdhsa_system_sgpr_workgroup_id_z 0
		.amdhsa_system_sgpr_workgroup_info 0
		.amdhsa_system_vgpr_workitem_id 1
		.amdhsa_next_free_vgpr 122
		.amdhsa_next_free_sgpr 64
		.amdhsa_accum_offset 124
		.amdhsa_reserve_vcc 1
		.amdhsa_float_round_mode_32 0
		.amdhsa_float_round_mode_16_64 0
		.amdhsa_float_denorm_mode_32 3
		.amdhsa_float_denorm_mode_16_64 3
		.amdhsa_dx10_clamp 1
		.amdhsa_ieee_mode 1
		.amdhsa_fp16_overflow 0
		.amdhsa_tg_split 0
		.amdhsa_exception_fp_ieee_invalid_op 0
		.amdhsa_exception_fp_denorm_src 0
		.amdhsa_exception_fp_ieee_div_zero 0
		.amdhsa_exception_fp_ieee_overflow 0
		.amdhsa_exception_fp_ieee_underflow 0
		.amdhsa_exception_fp_ieee_inexact 0
		.amdhsa_exception_int_div_zero 0
	.end_amdhsa_kernel
	.section	.text._ZN2at6native12_GLOBAL__N_135GammaBetaBackwardCUDAKernelTemplateIddLj64ELj8ELj64ELb0ELb0ELb1EEEvllPKT_S5_PKT0_S8_PS3_S9_,"axG",@progbits,_ZN2at6native12_GLOBAL__N_135GammaBetaBackwardCUDAKernelTemplateIddLj64ELj8ELj64ELb0ELb0ELb1EEEvllPKT_S5_PKT0_S8_PS3_S9_,comdat
.Lfunc_end124:
	.size	_ZN2at6native12_GLOBAL__N_135GammaBetaBackwardCUDAKernelTemplateIddLj64ELj8ELj64ELb0ELb0ELb1EEEvllPKT_S5_PKT0_S8_PS3_S9_, .Lfunc_end124-_ZN2at6native12_GLOBAL__N_135GammaBetaBackwardCUDAKernelTemplateIddLj64ELj8ELj64ELb0ELb0ELb1EEEvllPKT_S5_PKT0_S8_PS3_S9_
                                        ; -- End function
	.section	.AMDGPU.csdata,"",@progbits
; Kernel info:
; codeLenInByte = 6852
; NumSgprs: 70
; NumVgprs: 122
; NumAgprs: 0
; TotalNumVgprs: 122
; ScratchSize: 0
; MemoryBound: 1
; FloatMode: 240
; IeeeMode: 1
; LDSByteSize: 0 bytes/workgroup (compile time only)
; SGPRBlocks: 8
; VGPRBlocks: 15
; NumSGPRsForWavesPerEU: 70
; NumVGPRsForWavesPerEU: 122
; AccumOffset: 124
; Occupancy: 4
; WaveLimiterHint : 0
; COMPUTE_PGM_RSRC2:SCRATCH_EN: 0
; COMPUTE_PGM_RSRC2:USER_SGPR: 2
; COMPUTE_PGM_RSRC2:TRAP_HANDLER: 0
; COMPUTE_PGM_RSRC2:TGID_X_EN: 1
; COMPUTE_PGM_RSRC2:TGID_Y_EN: 1
; COMPUTE_PGM_RSRC2:TGID_Z_EN: 0
; COMPUTE_PGM_RSRC2:TIDIG_COMP_CNT: 1
; COMPUTE_PGM_RSRC3_GFX90A:ACCUM_OFFSET: 30
; COMPUTE_PGM_RSRC3_GFX90A:TG_SPLIT: 0
	.section	.text._ZN2at6native12_GLOBAL__N_135GammaBetaBackwardCUDAKernelTemplateIddLj64ELj16ELj128ELb0ELb1ELb1EEEvllPKT_S5_PKT0_S8_PS3_S9_,"axG",@progbits,_ZN2at6native12_GLOBAL__N_135GammaBetaBackwardCUDAKernelTemplateIddLj64ELj16ELj128ELb0ELb1ELb1EEEvllPKT_S5_PKT0_S8_PS3_S9_,comdat
	.globl	_ZN2at6native12_GLOBAL__N_135GammaBetaBackwardCUDAKernelTemplateIddLj64ELj16ELj128ELb0ELb1ELb1EEEvllPKT_S5_PKT0_S8_PS3_S9_ ; -- Begin function _ZN2at6native12_GLOBAL__N_135GammaBetaBackwardCUDAKernelTemplateIddLj64ELj16ELj128ELb0ELb1ELb1EEEvllPKT_S5_PKT0_S8_PS3_S9_
	.p2align	8
	.type	_ZN2at6native12_GLOBAL__N_135GammaBetaBackwardCUDAKernelTemplateIddLj64ELj16ELj128ELb0ELb1ELb1EEEvllPKT_S5_PKT0_S8_PS3_S9_,@function
_ZN2at6native12_GLOBAL__N_135GammaBetaBackwardCUDAKernelTemplateIddLj64ELj16ELj128ELb0ELb1ELb1EEEvllPKT_S5_PKT0_S8_PS3_S9_: ; @_ZN2at6native12_GLOBAL__N_135GammaBetaBackwardCUDAKernelTemplateIddLj64ELj16ELj128ELb0ELb1ELb1EEEvllPKT_S5_PKT0_S8_PS3_S9_
; %bb.0:
	s_load_dwordx4 s[4:7], s[0:1], 0x0
	s_lshl_b32 s14, s3, 7
	s_mov_b32 s15, 0
	v_bfe_u32 v16, v0, 10, 10
	s_waitcnt lgkmcnt(0)
	v_mov_b64_e32 v[2:3], s[4:5]
	v_cmp_lt_i64_e32 vcc, s[14:15], v[2:3]
	s_cbranch_vccnz .LBB125_2
; %bb.1:
	s_mov_b64 s[8:9], 0
	s_mov_b64 s[10:11], 0
	v_bfe_u32 v2, v0, 10, 10
	s_branch .LBB125_3
.LBB125_2:
	s_mov_b64 s[8:9], -1
                                        ; implicit-def: $sgpr10_sgpr11
                                        ; implicit-def: $vgpr2
.LBB125_3:
	s_load_dwordx2 s[12:13], s[0:1], 0x30
	v_and_b32_e32 v14, 0x3ff, v0
	s_andn2_b64 vcc, exec, s[8:9]
	v_mov_b64_e32 v[4:5], s[10:11]
	v_mbcnt_lo_u32_b32 v15, -1, 0
	s_cbranch_vccnz .LBB125_11
; %bb.4:
	s_load_dword s3, s[0:1], 0x4c
	s_load_dword s16, s[0:1], 0x44
	s_load_dwordx2 s[18:19], s[0:1], 0x28
	s_load_dwordx4 s[8:11], s[0:1], 0x10
	v_mbcnt_hi_u32_b32 v6, -1, v15
	s_waitcnt lgkmcnt(0)
	s_and_b32 s0, s3, 0xffff
	v_mad_u32_u24 v1, v16, s0, v14
	v_lshlrev_b32_e32 v0, 3, v16
	v_and_b32_e32 v2, 63, v1
	v_mov_b32_e32 v1, 0
	v_lshlrev_b32_e32 v6, 2, v6
	v_mov_b32_e32 v3, v1
	v_and_b32_e32 v17, 0x100, v6
	v_lshl_add_u64 v[6:7], v[0:1], 0, s[14:15]
	v_mov_b32_e32 v5, v1
	s_lshl_b32 s16, s16, 7
	v_lshl_add_u64 v[0:1], v[6:7], 0, v[2:3]
	v_mul_lo_u32 v8, s7, v6
	v_mul_lo_u32 v9, s6, v7
	v_mad_u64_u32 v[6:7], s[20:21], s6, v6, 0
	v_lshl_add_u32 v4, s2, 6, v14
	s_mul_i32 s3, s7, s16
	s_mul_hi_u32 s20, s6, s16
	s_mov_b32 s17, 0
	v_add3_u32 v7, v7, v9, v8
	v_lshlrev_b64 v[4:5], 3, v[4:5]
	s_add_i32 s21, s20, s3
	s_mul_i32 s20, s6, s16
	v_mov_b64_e32 v[8:9], 0
	v_cmp_gt_u32_e64 s[0:1], 8, v2
	v_or_b32_e32 v18, 4, v17
	v_or_b32_e32 v19, 8, v17
	;; [unrolled: 1-line block ×7, first 2 shown]
	v_lshl_add_u64 v[2:3], v[0:1], 3, s[18:19]
	s_lshl_b64 s[18:19], s[16:17], 3
	v_lshl_add_u64 v[6:7], v[6:7], 3, v[4:5]
	s_lshl_b64 s[20:21], s[20:21], 3
	s_lshl_b64 s[6:7], s[6:7], 3
	v_mov_b64_e32 v[10:11], s[4:5]
	v_mov_b64_e32 v[4:5], v[8:9]
	s_branch .LBB125_7
.LBB125_5:                              ;   in Loop: Header=BB125_7 Depth=1
	s_or_b64 exec, exec, s[24:25]
.LBB125_6:                              ;   in Loop: Header=BB125_7 Depth=1
	s_or_b64 exec, exec, s[22:23]
	v_lshl_add_u64 v[26:27], s[8:9], 0, v[6:7]
	v_lshl_add_u64 v[30:31], s[10:11], 0, v[6:7]
	global_load_dwordx2 v[28:29], v[26:27], off
	global_load_dwordx2 v[32:33], v[30:31], off
	v_lshl_add_u64 v[26:27], v[26:27], 0, s[6:7]
	v_lshl_add_u64 v[30:31], v[30:31], 0, s[6:7]
	global_load_dwordx2 v[34:35], v[26:27], off
	global_load_dwordx2 v[36:37], v[30:31], off
	v_lshl_add_u64 v[26:27], v[26:27], 0, s[6:7]
	v_lshl_add_u64 v[30:31], v[30:31], 0, s[6:7]
	global_load_dwordx2 v[38:39], v[26:27], off
	global_load_dwordx2 v[40:41], v[30:31], off
	v_lshl_add_u64 v[26:27], v[26:27], 0, s[6:7]
	v_lshl_add_u64 v[30:31], v[30:31], 0, s[6:7]
	global_load_dwordx2 v[42:43], v[26:27], off
	global_load_dwordx2 v[44:45], v[30:31], off
	v_lshl_add_u64 v[26:27], v[26:27], 0, s[6:7]
	v_lshl_add_u64 v[30:31], v[30:31], 0, s[6:7]
	global_load_dwordx2 v[46:47], v[26:27], off
	global_load_dwordx2 v[48:49], v[30:31], off
	v_lshl_add_u64 v[26:27], v[26:27], 0, s[6:7]
	v_lshl_add_u64 v[30:31], v[30:31], 0, s[6:7]
	global_load_dwordx2 v[50:51], v[26:27], off
	global_load_dwordx2 v[52:53], v[30:31], off
	v_lshl_add_u64 v[26:27], v[26:27], 0, s[6:7]
	v_lshl_add_u64 v[30:31], v[30:31], 0, s[6:7]
	global_load_dwordx2 v[54:55], v[26:27], off
	global_load_dwordx2 v[56:57], v[30:31], off
	v_lshl_add_u64 v[26:27], v[26:27], 0, s[6:7]
	v_lshl_add_u64 v[30:31], v[30:31], 0, s[6:7]
	global_load_dwordx2 v[26:27], v[26:27], off
	s_waitcnt vmcnt(15)
	ds_bpermute_b32 v58, v17, v12
	global_load_dwordx2 v[30:31], v[30:31], off
	ds_bpermute_b32 v59, v17, v13
	s_add_u32 s14, s14, s16
	s_addc_u32 s15, s15, 0
	v_cmp_lt_i64_e32 vcc, s[14:15], v[10:11]
	v_lshl_add_u64 v[2:3], v[2:3], 0, s[18:19]
	v_lshl_add_u64 v[0:1], v[0:1], 0, s[16:17]
	;; [unrolled: 1-line block ×3, first 2 shown]
	s_and_b64 vcc, exec, vcc
	s_waitcnt vmcnt(14)
	v_mul_f64 v[28:29], v[28:29], v[32:33]
	s_waitcnt lgkmcnt(0)
	v_fmac_f64_e32 v[4:5], v[28:29], v[58:59]
	ds_bpermute_b32 v28, v18, v12
	ds_bpermute_b32 v29, v18, v13
	s_waitcnt vmcnt(12)
	v_mul_f64 v[32:33], v[34:35], v[36:37]
	s_waitcnt lgkmcnt(0)
	v_fmac_f64_e32 v[4:5], v[32:33], v[28:29]
	ds_bpermute_b32 v28, v19, v12
	ds_bpermute_b32 v29, v19, v13
	;; [unrolled: 6-line block ×5, first 2 shown]
	s_waitcnt vmcnt(4)
	v_mul_f64 v[32:33], v[50:51], v[52:53]
	s_waitcnt vmcnt(0)
	v_mul_f64 v[26:27], v[26:27], v[30:31]
	s_waitcnt lgkmcnt(0)
	v_fmac_f64_e32 v[4:5], v[32:33], v[28:29]
	ds_bpermute_b32 v28, v23, v12
	ds_bpermute_b32 v29, v23, v13
	;; [unrolled: 1-line block ×4, first 2 shown]
	v_mul_f64 v[32:33], v[54:55], v[56:57]
	s_waitcnt lgkmcnt(2)
	v_fmac_f64_e32 v[4:5], v[32:33], v[28:29]
	s_waitcnt lgkmcnt(0)
	v_fmac_f64_e32 v[4:5], v[26:27], v[12:13]
	s_cbranch_vccz .LBB125_10
.LBB125_7:                              ; =>This Inner Loop Header: Depth=1
	v_mov_b64_e32 v[12:13], v[8:9]
	s_and_saveexec_b64 s[22:23], s[0:1]
	s_cbranch_execz .LBB125_6
; %bb.8:                                ;   in Loop: Header=BB125_7 Depth=1
	v_cmp_gt_i64_e32 vcc, s[4:5], v[0:1]
	v_mov_b64_e32 v[12:13], 0
	s_and_saveexec_b64 s[24:25], vcc
	s_cbranch_execz .LBB125_5
; %bb.9:                                ;   in Loop: Header=BB125_7 Depth=1
	global_load_dwordx2 v[12:13], v[2:3], off
	s_branch .LBB125_5
.LBB125_10:
	v_mov_b32_e32 v2, v16
.LBB125_11:
	s_movk_i32 s0, 0x41
	v_mad_u32_u24 v0, v2, s0, v14
	v_lshl_add_u32 v3, v0, 3, 0
	v_mov_b32_e32 v0, 0
	ds_write_b64 v3, v[4:5]
	v_mov_b32_e32 v1, v0
	v_lshrrev_b32_e32 v4, 6, v14
	ds_write_b64 v3, v[0:1] offset:8320
	v_add_u32_e32 v1, v4, v2
	s_mov_b32 s3, 0
	v_cmp_gt_u32_e32 vcc, 64, v1
	s_waitcnt lgkmcnt(0)
	s_barrier
	s_and_saveexec_b64 s[0:1], vcc
	s_cbranch_execz .LBB125_18
; %bb.12:
	v_mbcnt_hi_u32_b32 v5, -1, v15
	v_and_b32_e32 v6, 64, v5
	s_cmp_lg_u64 s[12:13], 0
	v_add_u32_e32 v9, 64, v6
	v_cmp_eq_u32_e64 s[0:1], 0, v14
	s_cselect_b64 s[6:7], -1, 0
	v_xor_b32_e32 v6, 8, v5
	s_and_b64 s[6:7], s[0:1], s[6:7]
	v_cmp_lt_i32_e64 s[0:1], v6, v9
	v_xor_b32_e32 v7, 4, v5
	v_xor_b32_e32 v8, 2, v5
	v_cndmask_b32_e64 v6, v5, v6, s[0:1]
	v_cmp_lt_i32_e64 s[0:1], v7, v9
	v_xor_b32_e32 v10, 1, v5
	v_and_b32_e32 v3, 63, v14
	v_cndmask_b32_e64 v7, v5, v7, s[0:1]
	v_cmp_lt_i32_e64 s[0:1], v8, v9
	v_cmp_gt_u32_e32 vcc, 16, v3
	v_mul_u32_u24_e32 v3, 0x208, v3
	v_cndmask_b32_e64 v8, v5, v8, s[0:1]
	v_cmp_lt_i32_e64 s[0:1], v10, v9
	v_add_u32_e32 v11, -16, v1
	s_mov_b64 s[4:5], 0
	v_cndmask_b32_e64 v5, v5, v10, s[0:1]
	v_lshlrev_b32_e32 v9, 2, v5
	s_lshl_b64 s[0:1], s[2:3], 9
	v_lshlrev_b32_e32 v5, 3, v1
	v_add3_u32 v10, v3, v5, 0
	v_mov_b32_e32 v5, v0
	v_mov_b32_e32 v3, v0
	s_add_u32 s0, s12, s0
	v_lshl_add_u64 v[0:1], v[4:5], 0, v[2:3]
	s_addc_u32 s1, s13, s1
	v_lshlrev_b32_e32 v6, 2, v6
	v_lshlrev_b32_e32 v7, 2, v7
	;; [unrolled: 1-line block ×3, first 2 shown]
	v_lshl_add_u64 v[0:1], v[0:1], 3, s[0:1]
	s_mov_b64 s[2:3], 0x80
                                        ; implicit-def: $vgpr2_vgpr3
	s_branch .LBB125_14
.LBB125_13:                             ;   in Loop: Header=BB125_14 Depth=1
	s_or_b64 exec, exec, s[0:1]
	v_add_u32_e32 v11, 16, v11
	v_cmp_lt_u32_e64 s[0:1], 47, v11
	v_add_u32_e32 v10, 0x80, v10
	s_or_b64 s[4:5], s[0:1], s[4:5]
	v_lshl_add_u64 v[0:1], v[0:1], 0, s[2:3]
	s_andn2_b64 exec, exec, s[4:5]
	s_cbranch_execz .LBB125_18
.LBB125_14:                             ; =>This Inner Loop Header: Depth=1
	s_and_saveexec_b64 s[0:1], vcc
	s_cbranch_execz .LBB125_16
; %bb.15:                               ;   in Loop: Header=BB125_14 Depth=1
	ds_read_b64 v[2:3], v10
.LBB125_16:                             ;   in Loop: Header=BB125_14 Depth=1
	s_or_b64 exec, exec, s[0:1]
	s_waitcnt lgkmcnt(0)
	ds_bpermute_b32 v4, v6, v2
	ds_bpermute_b32 v5, v6, v3
	s_waitcnt lgkmcnt(0)
	v_add_f64 v[2:3], v[2:3], v[4:5]
	ds_bpermute_b32 v4, v7, v2
	ds_bpermute_b32 v5, v7, v3
	s_waitcnt lgkmcnt(0)
	v_add_f64 v[2:3], v[2:3], v[4:5]
	;; [unrolled: 4-line block ×4, first 2 shown]
	s_and_saveexec_b64 s[0:1], s[6:7]
	s_cbranch_execz .LBB125_13
; %bb.17:                               ;   in Loop: Header=BB125_14 Depth=1
	global_store_dwordx2 v[0:1], v[2:3], off
	s_branch .LBB125_13
.LBB125_18:
	s_endpgm
	.section	.rodata,"a",@progbits
	.p2align	6, 0x0
	.amdhsa_kernel _ZN2at6native12_GLOBAL__N_135GammaBetaBackwardCUDAKernelTemplateIddLj64ELj16ELj128ELb0ELb1ELb1EEEvllPKT_S5_PKT0_S8_PS3_S9_
		.amdhsa_group_segment_fixed_size 0
		.amdhsa_private_segment_fixed_size 0
		.amdhsa_kernarg_size 320
		.amdhsa_user_sgpr_count 2
		.amdhsa_user_sgpr_dispatch_ptr 0
		.amdhsa_user_sgpr_queue_ptr 0
		.amdhsa_user_sgpr_kernarg_segment_ptr 1
		.amdhsa_user_sgpr_dispatch_id 0
		.amdhsa_user_sgpr_kernarg_preload_length 0
		.amdhsa_user_sgpr_kernarg_preload_offset 0
		.amdhsa_user_sgpr_private_segment_size 0
		.amdhsa_uses_dynamic_stack 0
		.amdhsa_enable_private_segment 0
		.amdhsa_system_sgpr_workgroup_id_x 1
		.amdhsa_system_sgpr_workgroup_id_y 1
		.amdhsa_system_sgpr_workgroup_id_z 0
		.amdhsa_system_sgpr_workgroup_info 0
		.amdhsa_system_vgpr_workitem_id 1
		.amdhsa_next_free_vgpr 60
		.amdhsa_next_free_sgpr 26
		.amdhsa_accum_offset 60
		.amdhsa_reserve_vcc 1
		.amdhsa_float_round_mode_32 0
		.amdhsa_float_round_mode_16_64 0
		.amdhsa_float_denorm_mode_32 3
		.amdhsa_float_denorm_mode_16_64 3
		.amdhsa_dx10_clamp 1
		.amdhsa_ieee_mode 1
		.amdhsa_fp16_overflow 0
		.amdhsa_tg_split 0
		.amdhsa_exception_fp_ieee_invalid_op 0
		.amdhsa_exception_fp_denorm_src 0
		.amdhsa_exception_fp_ieee_div_zero 0
		.amdhsa_exception_fp_ieee_overflow 0
		.amdhsa_exception_fp_ieee_underflow 0
		.amdhsa_exception_fp_ieee_inexact 0
		.amdhsa_exception_int_div_zero 0
	.end_amdhsa_kernel
	.section	.text._ZN2at6native12_GLOBAL__N_135GammaBetaBackwardCUDAKernelTemplateIddLj64ELj16ELj128ELb0ELb1ELb1EEEvllPKT_S5_PKT0_S8_PS3_S9_,"axG",@progbits,_ZN2at6native12_GLOBAL__N_135GammaBetaBackwardCUDAKernelTemplateIddLj64ELj16ELj128ELb0ELb1ELb1EEEvllPKT_S5_PKT0_S8_PS3_S9_,comdat
.Lfunc_end125:
	.size	_ZN2at6native12_GLOBAL__N_135GammaBetaBackwardCUDAKernelTemplateIddLj64ELj16ELj128ELb0ELb1ELb1EEEvllPKT_S5_PKT0_S8_PS3_S9_, .Lfunc_end125-_ZN2at6native12_GLOBAL__N_135GammaBetaBackwardCUDAKernelTemplateIddLj64ELj16ELj128ELb0ELb1ELb1EEEvllPKT_S5_PKT0_S8_PS3_S9_
                                        ; -- End function
	.section	.AMDGPU.csdata,"",@progbits
; Kernel info:
; codeLenInByte = 1496
; NumSgprs: 32
; NumVgprs: 60
; NumAgprs: 0
; TotalNumVgprs: 60
; ScratchSize: 0
; MemoryBound: 0
; FloatMode: 240
; IeeeMode: 1
; LDSByteSize: 0 bytes/workgroup (compile time only)
; SGPRBlocks: 3
; VGPRBlocks: 7
; NumSGPRsForWavesPerEU: 32
; NumVGPRsForWavesPerEU: 60
; AccumOffset: 60
; Occupancy: 8
; WaveLimiterHint : 0
; COMPUTE_PGM_RSRC2:SCRATCH_EN: 0
; COMPUTE_PGM_RSRC2:USER_SGPR: 2
; COMPUTE_PGM_RSRC2:TRAP_HANDLER: 0
; COMPUTE_PGM_RSRC2:TGID_X_EN: 1
; COMPUTE_PGM_RSRC2:TGID_Y_EN: 1
; COMPUTE_PGM_RSRC2:TGID_Z_EN: 0
; COMPUTE_PGM_RSRC2:TIDIG_COMP_CNT: 1
; COMPUTE_PGM_RSRC3_GFX90A:ACCUM_OFFSET: 14
; COMPUTE_PGM_RSRC3_GFX90A:TG_SPLIT: 0
	.section	.text._ZN2at6native12_GLOBAL__N_135GammaBetaBackwardCUDAKernelTemplateIddLj64ELj16ELj128ELb0ELb0ELb1EEEvllPKT_S5_PKT0_S8_PS3_S9_,"axG",@progbits,_ZN2at6native12_GLOBAL__N_135GammaBetaBackwardCUDAKernelTemplateIddLj64ELj16ELj128ELb0ELb0ELb1EEEvllPKT_S5_PKT0_S8_PS3_S9_,comdat
	.globl	_ZN2at6native12_GLOBAL__N_135GammaBetaBackwardCUDAKernelTemplateIddLj64ELj16ELj128ELb0ELb0ELb1EEEvllPKT_S5_PKT0_S8_PS3_S9_ ; -- Begin function _ZN2at6native12_GLOBAL__N_135GammaBetaBackwardCUDAKernelTemplateIddLj64ELj16ELj128ELb0ELb0ELb1EEEvllPKT_S5_PKT0_S8_PS3_S9_
	.p2align	8
	.type	_ZN2at6native12_GLOBAL__N_135GammaBetaBackwardCUDAKernelTemplateIddLj64ELj16ELj128ELb0ELb0ELb1EEEvllPKT_S5_PKT0_S8_PS3_S9_,@function
_ZN2at6native12_GLOBAL__N_135GammaBetaBackwardCUDAKernelTemplateIddLj64ELj16ELj128ELb0ELb0ELb1EEEvllPKT_S5_PKT0_S8_PS3_S9_: ; @_ZN2at6native12_GLOBAL__N_135GammaBetaBackwardCUDAKernelTemplateIddLj64ELj16ELj128ELb0ELb0ELb1EEEvllPKT_S5_PKT0_S8_PS3_S9_
; %bb.0:
	s_load_dwordx8 s[24:31], s[0:1], 0x0
	s_load_dwordx2 s[34:35], s[0:1], 0x28
	s_lshl_b32 s33, s2, 6
	s_or_b32 s36, s33, 63
	s_mov_b32 s37, 0
	s_waitcnt lgkmcnt(0)
	v_mov_b64_e32 v[2:3], s[26:27]
	v_cmp_ge_i64_e32 vcc, s[36:37], v[2:3]
	s_lshl_b32 s36, s3, 7
	v_mov_b64_e32 v[2:3], s[24:25]
	v_cmp_lt_i64_e64 s[4:5], s[36:37], v[2:3]
	s_nop 1
	v_cndmask_b32_e64 v1, 0, 1, s[4:5]
	v_cmp_ne_u32_e64 s[4:5], 1, v1
	s_cbranch_vccz .LBB126_49
; %bb.1:
	s_and_b64 vcc, exec, s[4:5]
	v_mov_b64_e32 v[2:3], 0
	s_cbranch_vccnz .LBB126_50
; %bb.2:
	v_mov_b32_e32 v5, 0
	v_bfe_u32 v92, v0, 10, 10
	s_load_dword s3, s[0:1], 0x44
	v_lshlrev_b32_e32 v50, 3, v92
	v_mov_b32_e32 v51, v5
	v_and_b32_e32 v1, 0x3ff, v0
	v_lshl_add_u64 v[2:3], v[50:51], 0, s[36:37]
	v_add_u32_e32 v4, s33, v1
	v_lshl_add_u64 v[6:7], v[2:3], 0, 7
	s_add_u32 s38, s0, 64
	v_cmp_gt_i64_e64 s[6:7], s[26:27], v[4:5]
	v_lshlrev_b64 v[52:53], 3, v[4:5]
	v_mul_lo_u32 v4, s27, v6
	v_mul_lo_u32 v8, s26, v7
	v_mad_u64_u32 v[6:7], s[10:11], s26, v6, 0
	s_addc_u32 s39, s1, 0
	s_waitcnt lgkmcnt(0)
	s_lshl_b32 s3, s3, 7
	v_add3_u32 v7, v7, v8, v4
	v_lshlrev_b64 v[6:7], 3, v[6:7]
	s_mul_i32 s9, s27, s3
	s_mul_hi_u32 s10, s26, s3
	v_lshl_add_u64 v[54:55], s[28:29], 0, v[6:7]
	s_add_i32 s11, s10, s9
	s_mul_i32 s10, s26, s3
	v_lshl_add_u64 v[56:57], s[30:31], 0, v[6:7]
	v_lshl_add_u64 v[6:7], v[2:3], 0, 6
	s_lshl_b64 s[40:41], s[10:11], 3
	v_mul_lo_u32 v4, s27, v6
	v_mul_lo_u32 v8, s26, v7
	v_mad_u64_u32 v[6:7], s[10:11], s26, v6, 0
	v_add3_u32 v7, v7, v8, v4
	v_lshlrev_b64 v[6:7], 3, v[6:7]
	v_lshl_add_u64 v[58:59], s[28:29], 0, v[6:7]
	v_lshl_add_u64 v[60:61], s[30:31], 0, v[6:7]
	v_lshl_add_u64 v[6:7], v[2:3], 0, 5
	v_mul_lo_u32 v4, s27, v6
	v_mul_lo_u32 v8, s26, v7
	v_mad_u64_u32 v[6:7], s[10:11], s26, v6, 0
	v_add3_u32 v7, v7, v8, v4
	v_lshlrev_b64 v[6:7], 3, v[6:7]
	v_lshl_add_u64 v[62:63], s[28:29], 0, v[6:7]
	v_lshl_add_u64 v[64:65], s[30:31], 0, v[6:7]
	v_lshl_add_u64 v[6:7], v[2:3], 0, 4
	v_mul_lo_u32 v4, s27, v6
	v_mul_lo_u32 v8, s26, v7
	v_mad_u64_u32 v[6:7], s[10:11], s26, v6, 0
	v_add3_u32 v7, v7, v8, v4
	v_lshlrev_b64 v[6:7], 3, v[6:7]
	v_lshl_add_u64 v[66:67], s[28:29], 0, v[6:7]
	v_lshl_add_u64 v[68:69], s[30:31], 0, v[6:7]
	v_lshl_add_u64 v[6:7], v[2:3], 0, 3
	v_mul_lo_u32 v4, s27, v6
	v_mul_lo_u32 v8, s26, v7
	v_mad_u64_u32 v[6:7], s[10:11], s26, v6, 0
	v_add3_u32 v7, v7, v8, v4
	v_lshlrev_b64 v[6:7], 3, v[6:7]
	v_lshl_add_u64 v[70:71], s[28:29], 0, v[6:7]
	v_lshl_add_u64 v[72:73], s[30:31], 0, v[6:7]
	v_lshl_add_u64 v[6:7], v[2:3], 0, 2
	v_mul_lo_u32 v4, s27, v6
	v_mul_lo_u32 v8, s26, v7
	v_mad_u64_u32 v[6:7], s[10:11], s26, v6, 0
	v_add3_u32 v7, v7, v8, v4
	v_lshlrev_b64 v[6:7], 3, v[6:7]
	v_lshl_add_u64 v[74:75], s[28:29], 0, v[6:7]
	v_lshl_add_u64 v[76:77], s[30:31], 0, v[6:7]
	v_mov_b64_e32 v[6:7], s[26:27]
	v_mad_u64_u32 v[6:7], s[10:11], s26, v2, v[6:7]
	v_mul_lo_u32 v4, s26, v3
	v_mul_lo_u32 v8, s27, v2
	v_mad_u64_u32 v[2:3], s[10:11], s26, v2, 0
	v_add3_u32 v3, v3, v4, v8
	v_lshlrev_b64 v[2:3], 3, v[2:3]
	v_lshl_add_u64 v[82:83], s[28:29], 0, v[2:3]
	v_lshl_add_u64 v[84:85], s[30:31], 0, v[2:3]
	v_mbcnt_lo_u32_b32 v2, -1, 0
	v_add3_u32 v7, v8, v7, v4
	v_mbcnt_hi_u32_b32 v2, -1, v2
	v_lshlrev_b64 v[6:7], 3, v[6:7]
	s_add_u32 s42, s36, 0x7f
	s_movk_i32 s44, 0xff81
	s_movk_i32 s46, 0xff82
	;; [unrolled: 1-line block ×8, first 2 shown]
	v_lshlrev_b32_e32 v2, 2, v2
	s_mov_b32 s8, 0
	v_lshl_add_u64 v[78:79], s[28:29], 0, v[6:7]
	v_lshl_add_u64 v[80:81], s[30:31], 0, v[6:7]
	s_addc_u32 s43, 0, 0
	v_mov_b64_e32 v[86:87], 0
	s_mov_b32 s45, -1
	s_mov_b32 s47, -1
	;; [unrolled: 1-line block ×8, first 2 shown]
	v_and_b32_e32 v93, 0x100, v2
	s_mov_b64 s[60:61], s[36:37]
.LBB126_3:                              ; =>This Inner Loop Header: Depth=1
	v_mov_b64_e32 v[2:3], s[24:25]
	v_cmp_ge_i64_e32 vcc, s[42:43], v[2:3]
	v_lshl_add_u64 v[88:89], v[50:51], 0, s[42:43]
	s_cbranch_vccz .LBB126_25
; %bb.4:                                ;   in Loop: Header=BB126_3 Depth=1
	s_load_dword s9, s[38:39], 0xc
	v_mov_b64_e32 v[90:91], 0
	s_waitcnt lgkmcnt(0)
	s_and_b32 s9, s9, 0xffff
	v_mad_u32_u24 v2, v92, s9, v1
	v_and_b32_e32 v4, 63, v2
	v_cmp_gt_u32_e32 vcc, 8, v4
	s_and_saveexec_b64 s[10:11], vcc
	s_cbranch_execz .LBB126_8
; %bb.5:                                ;   in Loop: Header=BB126_3 Depth=1
	v_lshl_add_u64 v[2:3], v[88:89], 0, v[4:5]
	v_lshl_add_u64 v[2:3], v[2:3], 0, s[44:45]
	v_cmp_gt_i64_e32 vcc, s[24:25], v[2:3]
	v_mov_b64_e32 v[90:91], 0
	s_and_saveexec_b64 s[12:13], vcc
	s_cbranch_execz .LBB126_7
; %bb.6:                                ;   in Loop: Header=BB126_3 Depth=1
	v_lshl_add_u64 v[2:3], v[2:3], 3, s[34:35]
	global_load_dwordx2 v[90:91], v[2:3], off
.LBB126_7:                              ;   in Loop: Header=BB126_3 Depth=1
	s_or_b64 exec, exec, s[12:13]
.LBB126_8:                              ;   in Loop: Header=BB126_3 Depth=1
	s_or_b64 exec, exec, s[10:11]
	s_mov_b32 s22, s8
	s_mov_b32 s23, s8
	v_lshl_add_u64 v[2:3], v[88:89], 0, s[44:45]
	s_mov_b32 s9, s8
	s_mov_b32 s10, s8
	;; [unrolled: 1-line block ×13, first 2 shown]
	v_mov_b64_e32 v[32:33], s[22:23]
	v_cmp_gt_i64_e32 vcc, s[24:25], v[2:3]
	v_mov_b64_e32 v[30:31], s[20:21]
	v_mov_b64_e32 v[28:29], s[18:19]
	;; [unrolled: 1-line block ×8, first 2 shown]
	s_and_b64 s[62:63], s[6:7], vcc
	v_mov_b64_e32 v[46:47], v[30:31]
	v_mov_b64_e32 v[44:45], v[28:29]
	;; [unrolled: 1-line block ×7, first 2 shown]
	s_and_saveexec_b64 s[10:11], s[62:63]
	s_cbranch_execz .LBB126_10
; %bb.9:                                ;   in Loop: Header=BB126_3 Depth=1
	v_lshl_add_u64 v[2:3], v[82:83], 0, v[52:53]
	global_load_dwordx2 v[2:3], v[2:3], off
	v_lshl_add_u64 v[6:7], v[84:85], 0, v[52:53]
	global_load_dwordx2 v[18:19], v[6:7], off
	v_mov_b32_e32 v16, v5
	v_mov_b32_e32 v17, v5
	;; [unrolled: 1-line block ×13, first 2 shown]
	s_waitcnt vmcnt(1)
	v_mov_b64_e32 v[48:49], v[16:17]
	v_mov_b32_e32 v20, v5
	v_mov_b32_e32 v21, v5
	;; [unrolled: 1-line block ×14, first 2 shown]
	v_mov_b64_e32 v[46:47], v[14:15]
	v_mov_b64_e32 v[44:45], v[12:13]
	;; [unrolled: 1-line block ×7, first 2 shown]
.LBB126_10:                             ;   in Loop: Header=BB126_3 Depth=1
	s_or_b64 exec, exec, s[10:11]
	v_lshl_add_u64 v[2:3], v[88:89], 0, s[46:47]
	v_cmp_gt_i64_e32 vcc, s[24:25], v[2:3]
	s_and_b64 s[12:13], s[6:7], vcc
	s_and_saveexec_b64 s[10:11], s[12:13]
	s_cbranch_execz .LBB126_12
; %bb.11:                               ;   in Loop: Header=BB126_3 Depth=1
	v_lshl_add_u64 v[2:3], v[78:79], 0, v[52:53]
	global_load_dwordx2 v[36:37], v[2:3], off
	v_lshl_add_u64 v[2:3], v[80:81], 0, v[52:53]
	global_load_dwordx2 v[20:21], v[2:3], off
.LBB126_12:                             ;   in Loop: Header=BB126_3 Depth=1
	s_or_b64 exec, exec, s[10:11]
	v_lshl_add_u64 v[2:3], v[88:89], 0, s[48:49]
	v_cmp_gt_i64_e32 vcc, s[24:25], v[2:3]
	s_and_b64 s[12:13], s[6:7], vcc
	s_and_saveexec_b64 s[10:11], s[12:13]
	s_cbranch_execz .LBB126_14
; %bb.13:                               ;   in Loop: Header=BB126_3 Depth=1
	v_lshl_add_u64 v[2:3], v[74:75], 0, v[52:53]
	global_load_dwordx2 v[38:39], v[2:3], off
	v_lshl_add_u64 v[2:3], v[76:77], 0, v[52:53]
	global_load_dwordx2 v[22:23], v[2:3], off
.LBB126_14:                             ;   in Loop: Header=BB126_3 Depth=1
	;; [unrolled: 12-line block ×7, first 2 shown]
	s_or_b64 exec, exec, s[10:11]
	s_waitcnt vmcnt(0)
	ds_bpermute_b32 v2, v93, v90
	ds_bpermute_b32 v3, v93, v91
	ds_bpermute_b32 v6, v93, v90 offset:4
	ds_bpermute_b32 v7, v93, v91 offset:4
	v_mul_f64 v[8:9], v[18:19], v[34:35]
	ds_bpermute_b32 v10, v93, v90 offset:12
	s_waitcnt lgkmcnt(3)
	v_fma_f64 v[2:3], v[8:9], v[2:3], v[86:87]
	v_mul_f64 v[8:9], v[20:21], v[36:37]
	s_waitcnt lgkmcnt(1)
	v_fmac_f64_e32 v[2:3], v[8:9], v[6:7]
	ds_bpermute_b32 v6, v93, v90 offset:8
	ds_bpermute_b32 v7, v93, v91 offset:8
	ds_bpermute_b32 v11, v93, v91 offset:12
	ds_bpermute_b32 v12, v93, v90 offset:16
	ds_bpermute_b32 v13, v93, v91 offset:16
	v_mul_f64 v[8:9], v[22:23], v[38:39]
	s_waitcnt lgkmcnt(3)
	v_fmac_f64_e32 v[2:3], v[8:9], v[6:7]
	v_mul_f64 v[6:7], v[24:25], v[40:41]
	s_waitcnt lgkmcnt(2)
	v_fmac_f64_e32 v[2:3], v[6:7], v[10:11]
	v_mul_f64 v[6:7], v[26:27], v[42:43]
	ds_bpermute_b32 v8, v93, v90 offset:20
	ds_bpermute_b32 v9, v93, v91 offset:20
	s_waitcnt lgkmcnt(2)
	v_fmac_f64_e32 v[2:3], v[6:7], v[12:13]
	ds_bpermute_b32 v12, v93, v90 offset:24
	ds_bpermute_b32 v13, v93, v91 offset:24
	;; [unrolled: 1-line block ×4, first 2 shown]
	v_mul_f64 v[10:11], v[28:29], v[44:45]
	s_waitcnt lgkmcnt(4)
	v_fmac_f64_e32 v[2:3], v[10:11], v[8:9]
	v_mul_f64 v[8:9], v[30:31], v[46:47]
	s_waitcnt lgkmcnt(2)
	v_fmac_f64_e32 v[2:3], v[8:9], v[12:13]
	s_branch .LBB126_40
.LBB126_25:                             ;   in Loop: Header=BB126_3 Depth=1
                                        ; implicit-def: $vgpr2_vgpr3
                                        ; implicit-def: $vgpr18_vgpr19_vgpr20_vgpr21_vgpr22_vgpr23_vgpr24_vgpr25_vgpr26_vgpr27_vgpr28_vgpr29_vgpr30_vgpr31_vgpr32_vgpr33
                                        ; implicit-def: $vgpr34_vgpr35_vgpr36_vgpr37_vgpr38_vgpr39_vgpr40_vgpr41_vgpr42_vgpr43_vgpr44_vgpr45_vgpr46_vgpr47_vgpr48_vgpr49
                                        ; implicit-def: $vgpr6
	s_cbranch_execz .LBB126_40
; %bb.26:                               ;   in Loop: Header=BB126_3 Depth=1
	s_load_dword s9, s[38:39], 0x0
	v_mov_b64_e32 v[90:91], 0
	s_waitcnt lgkmcnt(0)
	s_cmp_lt_u32 s2, s9
	s_cselect_b32 s9, 12, 18
	s_add_u32 s10, s38, s9
	s_addc_u32 s11, s39, 0
	global_load_ushort v2, v5, s[10:11]
	s_waitcnt vmcnt(0)
	v_mad_u32_u24 v2, v92, v2, v1
	v_and_b32_e32 v4, 63, v2
	v_cmp_gt_u32_e32 vcc, 8, v4
	s_and_saveexec_b64 s[10:11], vcc
	s_cbranch_execz .LBB126_30
; %bb.27:                               ;   in Loop: Header=BB126_3 Depth=1
	v_lshl_add_u64 v[2:3], v[88:89], 0, v[4:5]
	v_lshl_add_u64 v[2:3], v[2:3], 0, s[44:45]
	v_cmp_gt_i64_e32 vcc, s[24:25], v[2:3]
	v_mov_b64_e32 v[90:91], 0
	s_and_saveexec_b64 s[12:13], vcc
	s_cbranch_execz .LBB126_29
; %bb.28:                               ;   in Loop: Header=BB126_3 Depth=1
	v_lshl_add_u64 v[2:3], v[2:3], 3, s[34:35]
	global_load_dwordx2 v[90:91], v[2:3], off
.LBB126_29:                             ;   in Loop: Header=BB126_3 Depth=1
	s_or_b64 exec, exec, s[12:13]
.LBB126_30:                             ;   in Loop: Header=BB126_3 Depth=1
	s_or_b64 exec, exec, s[10:11]
	s_mov_b32 s22, s8
	s_mov_b32 s23, s8
	;; [unrolled: 1-line block ×15, first 2 shown]
	v_mov_b64_e32 v[32:33], s[22:23]
	v_mov_b64_e32 v[30:31], s[20:21]
	;; [unrolled: 1-line block ×16, first 2 shown]
	s_and_saveexec_b64 s[10:11], s[6:7]
	s_cbranch_execnz .LBB126_42
; %bb.31:                               ;   in Loop: Header=BB126_3 Depth=1
	s_or_b64 exec, exec, s[10:11]
	s_and_saveexec_b64 s[10:11], s[6:7]
	s_cbranch_execnz .LBB126_43
.LBB126_32:                             ;   in Loop: Header=BB126_3 Depth=1
	s_or_b64 exec, exec, s[10:11]
	s_and_saveexec_b64 s[10:11], s[6:7]
	s_cbranch_execnz .LBB126_44
.LBB126_33:                             ;   in Loop: Header=BB126_3 Depth=1
	s_or_b64 exec, exec, s[10:11]
	s_and_saveexec_b64 s[10:11], s[6:7]
	s_cbranch_execnz .LBB126_45
.LBB126_34:                             ;   in Loop: Header=BB126_3 Depth=1
	s_or_b64 exec, exec, s[10:11]
	s_and_saveexec_b64 s[10:11], s[6:7]
	s_cbranch_execnz .LBB126_46
.LBB126_35:                             ;   in Loop: Header=BB126_3 Depth=1
	s_or_b64 exec, exec, s[10:11]
	s_and_saveexec_b64 s[10:11], s[6:7]
	s_cbranch_execnz .LBB126_47
.LBB126_36:                             ;   in Loop: Header=BB126_3 Depth=1
	s_or_b64 exec, exec, s[10:11]
	s_and_saveexec_b64 s[10:11], s[6:7]
	s_cbranch_execnz .LBB126_48
.LBB126_37:                             ;   in Loop: Header=BB126_3 Depth=1
	s_or_b64 exec, exec, s[10:11]
	s_and_saveexec_b64 s[10:11], s[6:7]
	s_cbranch_execz .LBB126_39
.LBB126_38:                             ;   in Loop: Header=BB126_3 Depth=1
	v_lshl_add_u64 v[2:3], v[54:55], 0, v[52:53]
	global_load_dwordx2 v[48:49], v[2:3], off
	v_lshl_add_u64 v[2:3], v[56:57], 0, v[52:53]
	global_load_dwordx2 v[32:33], v[2:3], off
.LBB126_39:                             ;   in Loop: Header=BB126_3 Depth=1
	s_or_b64 exec, exec, s[10:11]
	s_waitcnt vmcnt(0)
	ds_bpermute_b32 v2, v93, v90
	ds_bpermute_b32 v3, v93, v91
	ds_bpermute_b32 v6, v93, v90 offset:4
	ds_bpermute_b32 v7, v93, v91 offset:4
	v_mul_f64 v[8:9], v[18:19], v[34:35]
	ds_bpermute_b32 v10, v93, v90 offset:16
	s_waitcnt lgkmcnt(3)
	v_fmac_f64_e32 v[86:87], v[8:9], v[2:3]
	v_mul_f64 v[2:3], v[20:21], v[36:37]
	s_waitcnt lgkmcnt(1)
	v_fmac_f64_e32 v[86:87], v[2:3], v[6:7]
	ds_bpermute_b32 v2, v93, v90 offset:8
	ds_bpermute_b32 v3, v93, v91 offset:8
	ds_bpermute_b32 v8, v93, v90 offset:12
	ds_bpermute_b32 v9, v93, v91 offset:12
	ds_bpermute_b32 v11, v93, v91 offset:16
	v_mul_f64 v[6:7], v[22:23], v[38:39]
	s_waitcnt lgkmcnt(3)
	v_fmac_f64_e32 v[86:87], v[6:7], v[2:3]
	v_mul_f64 v[2:3], v[24:25], v[40:41]
	s_waitcnt lgkmcnt(1)
	v_fmac_f64_e32 v[86:87], v[2:3], v[8:9]
	;; [unrolled: 3-line block ×3, first 2 shown]
	ds_bpermute_b32 v2, v93, v90 offset:20
	ds_bpermute_b32 v3, v93, v91 offset:20
	;; [unrolled: 1-line block ×4, first 2 shown]
	v_mul_f64 v[8:9], v[28:29], v[44:45]
	ds_bpermute_b32 v6, v93, v90 offset:28
	s_waitcnt lgkmcnt(3)
	v_fmac_f64_e32 v[86:87], v[8:9], v[2:3]
	v_mul_f64 v[2:3], v[30:31], v[46:47]
	s_waitcnt lgkmcnt(1)
	v_fmac_f64_e32 v[86:87], v[2:3], v[10:11]
	ds_bpermute_b32 v7, v93, v91 offset:28
	v_mov_b64_e32 v[2:3], v[86:87]
.LBB126_40:                             ;   in Loop: Header=BB126_3 Depth=1
	v_mul_f64 v[8:9], v[48:49], v[32:33]
	s_add_u32 s60, s60, s3
	s_waitcnt lgkmcnt(0)
	v_fmac_f64_e32 v[2:3], v[8:9], v[6:7]
	s_addc_u32 s61, s61, 0
	v_mov_b64_e32 v[6:7], s[24:25]
	s_add_u32 s42, s42, s3
	v_cmp_lt_i64_e32 vcc, s[60:61], v[6:7]
	v_lshl_add_u64 v[54:55], v[54:55], 0, s[40:41]
	v_lshl_add_u64 v[56:57], v[56:57], 0, s[40:41]
	;; [unrolled: 1-line block ×14, first 2 shown]
	s_addc_u32 s43, s43, 0
	v_lshl_add_u64 v[82:83], v[82:83], 0, s[40:41]
	v_lshl_add_u64 v[84:85], v[84:85], 0, s[40:41]
	s_cbranch_vccz .LBB126_50
; %bb.41:                               ;   in Loop: Header=BB126_3 Depth=1
	v_mov_b64_e32 v[86:87], v[2:3]
	s_branch .LBB126_3
.LBB126_42:                             ;   in Loop: Header=BB126_3 Depth=1
	v_lshl_add_u64 v[2:3], v[82:83], 0, v[52:53]
	global_load_dwordx2 v[2:3], v[2:3], off
	v_lshl_add_u64 v[6:7], v[84:85], 0, v[52:53]
	global_load_dwordx2 v[18:19], v[6:7], off
	v_mov_b32_e32 v16, v5
	v_mov_b32_e32 v17, v5
	;; [unrolled: 1-line block ×13, first 2 shown]
	s_waitcnt vmcnt(1)
	v_mov_b64_e32 v[48:49], v[16:17]
	v_mov_b32_e32 v20, v5
	v_mov_b32_e32 v21, v5
	v_mov_b32_e32 v22, v5
	v_mov_b32_e32 v23, v5
	v_mov_b32_e32 v24, v5
	v_mov_b32_e32 v25, v5
	v_mov_b32_e32 v26, v5
	v_mov_b32_e32 v27, v5
	v_mov_b32_e32 v28, v5
	v_mov_b32_e32 v29, v5
	v_mov_b32_e32 v30, v5
	v_mov_b32_e32 v31, v5
	v_mov_b32_e32 v32, v5
	v_mov_b32_e32 v33, v5
	v_mov_b64_e32 v[46:47], v[14:15]
	v_mov_b64_e32 v[44:45], v[12:13]
	;; [unrolled: 1-line block ×7, first 2 shown]
	s_or_b64 exec, exec, s[10:11]
	s_and_saveexec_b64 s[10:11], s[6:7]
	s_cbranch_execz .LBB126_32
.LBB126_43:                             ;   in Loop: Header=BB126_3 Depth=1
	v_lshl_add_u64 v[2:3], v[78:79], 0, v[52:53]
	global_load_dwordx2 v[36:37], v[2:3], off
	v_lshl_add_u64 v[2:3], v[80:81], 0, v[52:53]
	global_load_dwordx2 v[20:21], v[2:3], off
	s_or_b64 exec, exec, s[10:11]
	s_and_saveexec_b64 s[10:11], s[6:7]
	s_cbranch_execz .LBB126_33
.LBB126_44:                             ;   in Loop: Header=BB126_3 Depth=1
	v_lshl_add_u64 v[2:3], v[74:75], 0, v[52:53]
	global_load_dwordx2 v[38:39], v[2:3], off
	v_lshl_add_u64 v[2:3], v[76:77], 0, v[52:53]
	global_load_dwordx2 v[22:23], v[2:3], off
	s_or_b64 exec, exec, s[10:11]
	s_and_saveexec_b64 s[10:11], s[6:7]
	s_cbranch_execz .LBB126_34
.LBB126_45:                             ;   in Loop: Header=BB126_3 Depth=1
	v_lshl_add_u64 v[2:3], v[70:71], 0, v[52:53]
	global_load_dwordx2 v[40:41], v[2:3], off
	v_lshl_add_u64 v[2:3], v[72:73], 0, v[52:53]
	global_load_dwordx2 v[24:25], v[2:3], off
	s_or_b64 exec, exec, s[10:11]
	s_and_saveexec_b64 s[10:11], s[6:7]
	s_cbranch_execz .LBB126_35
.LBB126_46:                             ;   in Loop: Header=BB126_3 Depth=1
	v_lshl_add_u64 v[2:3], v[66:67], 0, v[52:53]
	global_load_dwordx2 v[42:43], v[2:3], off
	v_lshl_add_u64 v[2:3], v[68:69], 0, v[52:53]
	global_load_dwordx2 v[26:27], v[2:3], off
	s_or_b64 exec, exec, s[10:11]
	s_and_saveexec_b64 s[10:11], s[6:7]
	s_cbranch_execz .LBB126_36
.LBB126_47:                             ;   in Loop: Header=BB126_3 Depth=1
	v_lshl_add_u64 v[2:3], v[62:63], 0, v[52:53]
	global_load_dwordx2 v[44:45], v[2:3], off
	v_lshl_add_u64 v[2:3], v[64:65], 0, v[52:53]
	global_load_dwordx2 v[28:29], v[2:3], off
	s_or_b64 exec, exec, s[10:11]
	s_and_saveexec_b64 s[10:11], s[6:7]
	s_cbranch_execz .LBB126_37
.LBB126_48:                             ;   in Loop: Header=BB126_3 Depth=1
	v_lshl_add_u64 v[2:3], v[58:59], 0, v[52:53]
	global_load_dwordx2 v[46:47], v[2:3], off
	v_lshl_add_u64 v[2:3], v[60:61], 0, v[52:53]
	global_load_dwordx2 v[30:31], v[2:3], off
	s_or_b64 exec, exec, s[10:11]
	s_and_saveexec_b64 s[10:11], s[6:7]
	s_cbranch_execnz .LBB126_38
	s_branch .LBB126_39
.LBB126_49:
                                        ; implicit-def: $vgpr2_vgpr3
	s_branch .LBB126_51
.LBB126_50:
	s_cbranch_execnz .LBB126_83
.LBB126_51:
	s_and_b64 vcc, exec, s[4:5]
	v_mov_b64_e32 v[2:3], 0
	s_cbranch_vccnz .LBB126_83
; %bb.52:
	v_and_b32_e32 v1, 0x3ff, v0
	v_add_u32_e32 v4, s33, v1
	v_mov_b32_e32 v5, 0
	v_bfe_u32 v120, v0, 10, 10
	v_lshlrev_b64 v[52:53], 3, v[4:5]
	v_lshlrev_b32_e32 v4, 6, v120
	v_lshl_add_u64 v[2:3], s[36:37], 3, v[4:5]
	v_lshl_add_u64 v[6:7], v[2:3], 0, 8
	v_mov_b64_e32 v[8:9], s[28:29]
	v_mov_b64_e32 v[18:19], s[30:31]
	v_mad_u64_u32 v[54:55], s[4:5], s26, v6, v[8:9]
	v_mul_lo_u32 v4, s26, v7
	v_mul_lo_u32 v7, s27, v6
	v_mad_u64_u32 v[64:65], s[4:5], s26, v6, v[18:19]
	v_lshlrev_b32_e32 v50, 3, v120
	v_mov_b32_e32 v51, v5
	v_add3_u32 v55, v7, v55, v4
	v_lshl_add_u64 v[10:11], v[2:3], 0, 16
	v_lshl_add_u64 v[12:13], v[2:3], 0, 24
	;; [unrolled: 1-line block ×4, first 2 shown]
	v_add3_u32 v65, v7, v65, v4
	v_lshl_add_u64 v[6:7], v[2:3], 0, 48
	v_lshl_add_u64 v[2:3], v[2:3], 0, 56
	v_mad_u64_u32 v[56:57], s[4:5], s26, v10, v[8:9]
	v_mul_lo_u32 v20, s27, v10
	v_mad_u64_u32 v[58:59], s[4:5], s26, v12, v[8:9]
	v_mad_u64_u32 v[60:61], s[4:5], s26, v14, v[8:9]
	;; [unrolled: 1-line block ×6, first 2 shown]
	v_mul_lo_u32 v3, s26, v3
	v_mul_lo_u32 v10, s27, v2
	v_lshl_add_u64 v[8:9], v[50:51], 0, s[36:37]
	v_mad_u64_u32 v[80:81], s[4:5], s26, v2, v[18:19]
	v_mul_lo_u32 v4, s26, v7
	v_mul_lo_u32 v7, s27, v6
	v_add3_u32 v73, v10, v73, v3
	v_mad_u64_u32 v[78:79], s[4:5], s26, v6, v[18:19]
	v_add3_u32 v81, v10, v81, v3
	v_lshl_add_u64 v[2:3], v[8:9], 0, 7
	v_add3_u32 v69, v7, v69, v4
	v_add3_u32 v79, v7, v79, v4
	v_mul_lo_u32 v4, s27, v2
	v_mul_lo_u32 v6, s26, v3
	v_mad_u64_u32 v[2:3], s[4:5], s26, v2, 0
	v_add3_u32 v3, v3, v6, v4
	v_lshl_add_u64 v[6:7], v[8:9], 0, 6
	v_mul_lo_u32 v11, s26, v11
	v_mul_lo_u32 v4, s27, v6
	;; [unrolled: 1-line block ×3, first 2 shown]
	v_mad_u64_u32 v[6:7], s[4:5], s26, v6, 0
	v_add3_u32 v57, v20, v57, v11
	v_add3_u32 v67, v20, v67, v11
	v_add3_u32 v7, v7, v10, v4
	v_lshl_add_u64 v[10:11], v[8:9], 0, 5
	v_mul_lo_u32 v13, s26, v13
	v_mul_lo_u32 v21, s27, v12
	v_mad_u64_u32 v[70:71], s[4:5], s26, v12, v[18:19]
	v_mul_lo_u32 v4, s27, v10
	v_mul_lo_u32 v12, s26, v11
	v_mad_u64_u32 v[10:11], s[4:5], s26, v10, 0
	v_add3_u32 v59, v21, v59, v13
	v_add3_u32 v71, v21, v71, v13
	v_add3_u32 v11, v11, v12, v4
	v_lshl_add_u64 v[12:13], v[8:9], 0, 4
	v_mul_lo_u32 v15, s26, v15
	v_mul_lo_u32 v22, s27, v14
	v_mad_u64_u32 v[74:75], s[4:5], s26, v14, v[18:19]
	v_mul_lo_u32 v4, s27, v12
	v_mul_lo_u32 v14, s26, v13
	;; [unrolled: 10-line block ×3, first 2 shown]
	v_mad_u64_u32 v[14:15], s[4:5], s26, v14, 0
	v_lshlrev_b64 v[2:3], 3, v[2:3]
	v_add3_u32 v63, v23, v63, v17
	v_add3_u32 v77, v23, v77, v17
	;; [unrolled: 1-line block ×3, first 2 shown]
	v_lshl_add_u64 v[16:17], v[8:9], 0, 2
	v_lshl_add_u64 v[86:87], s[28:29], 0, v[2:3]
	;; [unrolled: 1-line block ×3, first 2 shown]
	v_lshlrev_b64 v[2:3], 3, v[6:7]
	v_mul_lo_u32 v4, s27, v16
	v_mul_lo_u32 v18, s26, v17
	v_mad_u64_u32 v[16:17], s[4:5], s26, v16, 0
	s_load_dword s3, s[0:1], 0x44
	v_lshl_add_u64 v[90:91], s[28:29], 0, v[2:3]
	v_lshl_add_u64 v[92:93], s[30:31], 0, v[2:3]
	v_lshlrev_b64 v[2:3], 3, v[10:11]
	v_add3_u32 v17, v17, v18, v4
	v_mov_b64_e32 v[18:19], s[26:27]
	v_lshl_add_u64 v[94:95], s[28:29], 0, v[2:3]
	v_lshl_add_u64 v[96:97], s[30:31], 0, v[2:3]
	v_lshlrev_b64 v[2:3], 3, v[12:13]
	v_mad_u64_u32 v[18:19], s[4:5], s26, v8, v[18:19]
	v_mul_lo_u32 v4, s27, v8
	v_mul_lo_u32 v20, s26, v9
	v_lshl_add_u64 v[98:99], s[28:29], 0, v[2:3]
	v_lshl_add_u64 v[100:101], s[30:31], 0, v[2:3]
	v_lshlrev_b64 v[2:3], 3, v[14:15]
	v_add3_u32 v19, v4, v19, v20
	v_lshl_add_u64 v[102:103], s[28:29], 0, v[2:3]
	v_lshl_add_u64 v[104:105], s[30:31], 0, v[2:3]
	v_lshlrev_b64 v[2:3], 3, v[16:17]
	v_mad_u64_u32 v[8:9], s[4:5], s26, v8, 0
	s_add_u32 s20, s0, 64
	v_lshl_add_u64 v[106:107], s[28:29], 0, v[2:3]
	v_lshl_add_u64 v[108:109], s[30:31], 0, v[2:3]
	v_lshlrev_b64 v[2:3], 3, v[18:19]
	v_add3_u32 v9, v9, v20, v4
	s_addc_u32 s21, s1, 0
	s_waitcnt lgkmcnt(0)
	s_lshl_b32 s3, s3, 7
	v_lshl_add_u64 v[110:111], s[28:29], 0, v[2:3]
	v_lshl_add_u64 v[112:113], s[30:31], 0, v[2:3]
	v_mbcnt_lo_u32_b32 v2, -1, 0
	s_add_u32 s22, s36, 0x7f
	s_mul_i32 s5, s27, s3
	s_mul_hi_u32 s6, s26, s3
	v_lshlrev_b64 v[8:9], 3, v[8:9]
	v_mbcnt_hi_u32_b32 v2, -1, v2
	s_addc_u32 s23, 0, 0
	s_add_i32 s7, s6, s5
	s_mul_i32 s6, s26, s3
	v_lshl_add_u64 v[82:83], s[28:29], 0, v[8:9]
	v_lshl_add_u64 v[84:85], s[30:31], 0, v[8:9]
	s_movk_i32 s28, 0xff81
	s_movk_i32 s30, 0xff82
	;; [unrolled: 1-line block ×8, first 2 shown]
	v_lshlrev_b32_e32 v2, 2, v2
	s_mov_b32 s4, 0
	s_lshl_b64 s[38:39], s[6:7], 3
	s_mov_b32 s29, -1
	s_mov_b32 s31, -1
	;; [unrolled: 1-line block ×8, first 2 shown]
	v_and_b32_e32 v121, 0x100, v2
	v_mov_b64_e32 v[114:115], 0
.LBB126_53:                             ; =>This Inner Loop Header: Depth=1
	v_mov_b64_e32 v[2:3], s[24:25]
	v_cmp_ge_i64_e32 vcc, s[22:23], v[2:3]
	v_lshl_add_u64 v[116:117], v[50:51], 0, s[22:23]
	s_cbranch_vccz .LBB126_75
; %bb.54:                               ;   in Loop: Header=BB126_53 Depth=1
	s_load_dword s5, s[20:21], 0xc
	v_mov_b64_e32 v[118:119], 0
	s_waitcnt lgkmcnt(0)
	s_and_b32 s5, s5, 0xffff
	v_mad_u32_u24 v2, v120, s5, v1
	v_and_b32_e32 v4, 63, v2
	v_cmp_gt_u32_e32 vcc, 8, v4
	s_and_saveexec_b64 s[6:7], vcc
	s_cbranch_execz .LBB126_58
; %bb.55:                               ;   in Loop: Header=BB126_53 Depth=1
	v_lshl_add_u64 v[2:3], v[116:117], 0, v[4:5]
	v_lshl_add_u64 v[2:3], v[2:3], 0, s[28:29]
	v_cmp_gt_i64_e32 vcc, s[24:25], v[2:3]
	v_mov_b64_e32 v[118:119], 0
	s_and_saveexec_b64 s[8:9], vcc
	s_cbranch_execz .LBB126_57
; %bb.56:                               ;   in Loop: Header=BB126_53 Depth=1
	v_lshl_add_u64 v[2:3], v[2:3], 3, s[34:35]
	global_load_dwordx2 v[118:119], v[2:3], off
.LBB126_57:                             ;   in Loop: Header=BB126_53 Depth=1
	s_or_b64 exec, exec, s[8:9]
.LBB126_58:                             ;   in Loop: Header=BB126_53 Depth=1
	s_or_b64 exec, exec, s[6:7]
	s_mov_b32 s18, s4
	s_mov_b32 s19, s4
	;; [unrolled: 1-line block ×15, first 2 shown]
	v_mov_b64_e32 v[32:33], s[18:19]
	v_lshl_add_u64 v[2:3], v[116:117], 0, s[28:29]
	v_mov_b64_e32 v[30:31], s[16:17]
	v_mov_b64_e32 v[28:29], s[14:15]
	;; [unrolled: 1-line block ×8, first 2 shown]
	v_cmp_gt_i64_e32 vcc, s[24:25], v[2:3]
	v_mov_b64_e32 v[46:47], v[30:31]
	v_mov_b64_e32 v[44:45], v[28:29]
	;; [unrolled: 1-line block ×7, first 2 shown]
	s_and_saveexec_b64 s[6:7], vcc
	s_cbranch_execz .LBB126_60
; %bb.59:                               ;   in Loop: Header=BB126_53 Depth=1
	v_lshl_add_u64 v[2:3], v[82:83], 0, v[52:53]
	global_load_dwordx2 v[2:3], v[2:3], off
	v_lshl_add_u64 v[6:7], v[84:85], 0, v[52:53]
	global_load_dwordx2 v[18:19], v[6:7], off
	v_mov_b32_e32 v16, v5
	v_mov_b32_e32 v17, v5
	;; [unrolled: 1-line block ×13, first 2 shown]
	s_waitcnt vmcnt(1)
	v_mov_b64_e32 v[48:49], v[16:17]
	v_mov_b32_e32 v20, v5
	v_mov_b32_e32 v21, v5
	;; [unrolled: 1-line block ×14, first 2 shown]
	v_mov_b64_e32 v[46:47], v[14:15]
	v_mov_b64_e32 v[44:45], v[12:13]
	;; [unrolled: 1-line block ×7, first 2 shown]
.LBB126_60:                             ;   in Loop: Header=BB126_53 Depth=1
	s_or_b64 exec, exec, s[6:7]
	v_lshl_add_u64 v[2:3], v[116:117], 0, s[30:31]
	v_cmp_gt_i64_e32 vcc, s[24:25], v[2:3]
	s_and_saveexec_b64 s[6:7], vcc
	s_cbranch_execz .LBB126_62
; %bb.61:                               ;   in Loop: Header=BB126_53 Depth=1
	v_lshl_add_u64 v[2:3], v[110:111], 0, v[52:53]
	global_load_dwordx2 v[36:37], v[2:3], off
	v_lshl_add_u64 v[2:3], v[112:113], 0, v[52:53]
	global_load_dwordx2 v[20:21], v[2:3], off
.LBB126_62:                             ;   in Loop: Header=BB126_53 Depth=1
	s_or_b64 exec, exec, s[6:7]
	v_lshl_add_u64 v[2:3], v[116:117], 0, s[40:41]
	v_cmp_gt_i64_e32 vcc, s[24:25], v[2:3]
	s_and_saveexec_b64 s[6:7], vcc
	s_cbranch_execz .LBB126_64
; %bb.63:                               ;   in Loop: Header=BB126_53 Depth=1
	v_lshl_add_u64 v[2:3], v[106:107], 0, v[52:53]
	global_load_dwordx2 v[38:39], v[2:3], off
	v_lshl_add_u64 v[2:3], v[108:109], 0, v[52:53]
	global_load_dwordx2 v[22:23], v[2:3], off
.LBB126_64:                             ;   in Loop: Header=BB126_53 Depth=1
	;; [unrolled: 11-line block ×7, first 2 shown]
	s_or_b64 exec, exec, s[6:7]
	s_waitcnt vmcnt(0)
	ds_bpermute_b32 v2, v121, v118
	ds_bpermute_b32 v3, v121, v119
	ds_bpermute_b32 v6, v121, v118 offset:4
	ds_bpermute_b32 v7, v121, v119 offset:4
	v_mul_f64 v[8:9], v[18:19], v[34:35]
	ds_bpermute_b32 v10, v121, v118 offset:12
	s_waitcnt lgkmcnt(3)
	v_fma_f64 v[2:3], v[8:9], v[2:3], v[114:115]
	v_mul_f64 v[8:9], v[20:21], v[36:37]
	s_waitcnt lgkmcnt(1)
	v_fmac_f64_e32 v[2:3], v[8:9], v[6:7]
	ds_bpermute_b32 v6, v121, v118 offset:8
	ds_bpermute_b32 v7, v121, v119 offset:8
	;; [unrolled: 1-line block ×5, first 2 shown]
	v_mul_f64 v[8:9], v[22:23], v[38:39]
	s_waitcnt lgkmcnt(3)
	v_fmac_f64_e32 v[2:3], v[8:9], v[6:7]
	v_mul_f64 v[6:7], v[24:25], v[40:41]
	s_waitcnt lgkmcnt(2)
	v_fmac_f64_e32 v[2:3], v[6:7], v[10:11]
	;; [unrolled: 3-line block ×3, first 2 shown]
	ds_bpermute_b32 v6, v121, v118 offset:20
	ds_bpermute_b32 v7, v121, v119 offset:20
	;; [unrolled: 1-line block ×6, first 2 shown]
	v_mul_f64 v[8:9], v[28:29], v[44:45]
	s_waitcnt lgkmcnt(4)
	v_fmac_f64_e32 v[2:3], v[8:9], v[6:7]
	v_mul_f64 v[6:7], v[30:31], v[46:47]
	s_waitcnt lgkmcnt(2)
	v_fmac_f64_e32 v[2:3], v[6:7], v[10:11]
	;; [unrolled: 3-line block ×3, first 2 shown]
	s_branch .LBB126_81
.LBB126_75:                             ;   in Loop: Header=BB126_53 Depth=1
                                        ; implicit-def: $vgpr2_vgpr3
	s_cbranch_execz .LBB126_81
; %bb.76:                               ;   in Loop: Header=BB126_53 Depth=1
	s_load_dword s5, s[20:21], 0x0
	s_waitcnt lgkmcnt(0)
	s_cmp_lt_u32 s2, s5
	s_cselect_b32 s5, 12, 18
	s_add_u32 s6, s20, s5
	s_addc_u32 s7, s21, 0
	global_load_ushort v2, v5, s[6:7]
	s_waitcnt vmcnt(0)
	v_mad_u32_u24 v2, v120, v2, v1
	v_and_b32_e32 v4, 63, v2
	v_cmp_gt_u32_e32 vcc, 8, v4
	v_mov_b64_e32 v[2:3], 0
	s_and_saveexec_b64 s[6:7], vcc
	s_cbranch_execz .LBB126_80
; %bb.77:                               ;   in Loop: Header=BB126_53 Depth=1
	v_lshl_add_u64 v[2:3], v[116:117], 0, v[4:5]
	v_lshl_add_u64 v[6:7], v[2:3], 0, s[28:29]
	v_cmp_gt_i64_e32 vcc, s[24:25], v[6:7]
	v_mov_b64_e32 v[2:3], 0
	s_and_saveexec_b64 s[8:9], vcc
	s_cbranch_execz .LBB126_79
; %bb.78:                               ;   in Loop: Header=BB126_53 Depth=1
	v_lshl_add_u64 v[2:3], v[6:7], 3, s[34:35]
	global_load_dwordx2 v[2:3], v[2:3], off
.LBB126_79:                             ;   in Loop: Header=BB126_53 Depth=1
	s_or_b64 exec, exec, s[8:9]
.LBB126_80:                             ;   in Loop: Header=BB126_53 Depth=1
	s_or_b64 exec, exec, s[6:7]
	v_lshl_add_u64 v[6:7], v[82:83], 0, v[52:53]
	v_lshl_add_u64 v[8:9], v[84:85], 0, v[52:53]
	global_load_dwordx2 v[6:7], v[6:7], off
	v_lshl_add_u64 v[10:11], v[54:55], 0, v[52:53]
	global_load_dwordx2 v[8:9], v[8:9], off
	;; [unrolled: 2-line block ×10, first 2 shown]
	v_lshl_add_u64 v[28:29], v[76:77], 0, v[52:53]
	v_lshl_add_u64 v[30:31], v[68:69], 0, v[52:53]
	;; [unrolled: 1-line block ×3, first 2 shown]
	global_load_dwordx2 v[26:27], v[26:27], off
	s_nop 0
	global_load_dwordx2 v[28:29], v[28:29], off
	s_nop 0
	;; [unrolled: 2-line block ×3, first 2 shown]
	global_load_dwordx2 v[32:33], v[32:33], off
	v_lshl_add_u64 v[34:35], v[72:73], 0, v[52:53]
	v_lshl_add_u64 v[36:37], v[80:81], 0, v[52:53]
	global_load_dwordx2 v[34:35], v[34:35], off
	s_nop 0
	global_load_dwordx2 v[36:37], v[36:37], off
	s_waitcnt vmcnt(16)
	ds_bpermute_b32 v38, v121, v2
	ds_bpermute_b32 v39, v121, v3
	ds_bpermute_b32 v40, v121, v2 offset:4
	ds_bpermute_b32 v41, v121, v3 offset:4
	;; [unrolled: 1-line block ×14, first 2 shown]
	s_waitcnt vmcnt(14)
	v_mul_f64 v[6:7], v[6:7], v[8:9]
	s_waitcnt lgkmcnt(14)
	v_fmac_f64_e32 v[114:115], v[6:7], v[38:39]
	s_waitcnt vmcnt(12)
	v_mul_f64 v[8:9], v[10:11], v[12:13]
	s_waitcnt lgkmcnt(12)
	v_fmac_f64_e32 v[114:115], v[8:9], v[40:41]
	;; [unrolled: 4-line block ×8, first 2 shown]
	v_mov_b64_e32 v[2:3], v[114:115]
.LBB126_81:                             ;   in Loop: Header=BB126_53 Depth=1
	s_add_u32 s36, s36, s3
	s_addc_u32 s37, s37, 0
	v_mov_b64_e32 v[6:7], s[24:25]
	s_add_u32 s22, s22, s3
	v_cmp_ge_i64_e32 vcc, s[36:37], v[6:7]
	s_addc_u32 s23, s23, 0
	v_lshl_add_u64 v[54:55], v[54:55], 0, s[38:39]
	v_lshl_add_u64 v[56:57], v[56:57], 0, s[38:39]
	;; [unrolled: 1-line block ×30, first 2 shown]
	s_cbranch_vccnz .LBB126_83
; %bb.82:                               ;   in Loop: Header=BB126_53 Depth=1
	v_mov_b64_e32 v[114:115], v[2:3]
	s_branch .LBB126_53
.LBB126_83:
	v_bfe_u32 v4, v0, 10, 10
	v_and_b32_e32 v5, 0x3ff, v0
	s_movk_i32 s3, 0x41
	v_mad_u32_u24 v0, v4, s3, v5
	v_lshl_add_u32 v6, v0, 3, 0
	v_mov_b32_e32 v0, 0
	ds_write_b64 v6, v[2:3]
	v_mov_b32_e32 v1, v0
	v_lshrrev_b32_e32 v2, 6, v5
	ds_write_b64 v6, v[0:1] offset:8320
	v_add_u32_e32 v1, v2, v4
	s_mov_b32 s3, 0
	v_cmp_gt_u32_e32 vcc, 64, v1
	s_waitcnt lgkmcnt(0)
	s_barrier
	s_and_saveexec_b64 s[4:5], vcc
	s_cbranch_execz .LBB126_90
; %bb.84:
	v_mbcnt_lo_u32_b32 v6, -1, 0
	v_mbcnt_hi_u32_b32 v9, -1, v6
	v_and_b32_e32 v6, 64, v9
	s_load_dwordx2 s[10:11], s[0:1], 0x30
	v_and_b32_e32 v3, 63, v5
	v_add_u32_e32 v10, 64, v6
	v_cmp_ne_u32_e64 s[0:1], 0, v5
	v_xor_b32_e32 v5, 8, v9
	s_lshl_b64 s[4:5], s[2:3], 6
	v_cmp_lt_i32_e64 s[2:3], v5, v10
	v_cmp_gt_u32_e32 vcc, 16, v3
	v_mul_u32_u24_e32 v3, 0x208, v3
	v_cndmask_b32_e64 v5, v9, v5, s[2:3]
	v_lshlrev_b32_e32 v6, 2, v5
	v_xor_b32_e32 v5, 4, v9
	v_cmp_lt_i32_e64 s[2:3], v5, v10
	v_lshlrev_b32_e32 v1, 3, v1
	s_waitcnt lgkmcnt(0)
	s_cmp_eq_u64 s[10:11], 0
	v_cndmask_b32_e64 v5, v9, v5, s[2:3]
	v_lshlrev_b32_e32 v7, 2, v5
	v_xor_b32_e32 v5, 2, v9
	v_cmp_lt_i32_e64 s[2:3], v5, v10
	s_mov_b64 s[6:7], 0
	s_cselect_b64 s[8:9], -1, 0
	v_cndmask_b32_e64 v5, v9, v5, s[2:3]
	v_lshlrev_b32_e32 v8, 2, v5
	v_xor_b32_e32 v5, 1, v9
	v_cmp_lt_i32_e64 s[2:3], v5, v10
	v_add3_u32 v10, v3, v1, 0
	v_mov_b32_e32 v3, v0
	v_cndmask_b32_e64 v5, v9, v5, s[2:3]
	v_lshlrev_b32_e32 v9, 2, v5
	v_mov_b32_e32 v5, v0
	v_lshl_add_u64 v[0:1], v[2:3], 0, v[4:5]
	v_lshl_add_u64 v[2:3], v[0:1], 0, s[4:5]
	v_lshl_add_u64 v[2:3], v[2:3], 3, s[10:11]
	s_mov_b64 s[10:11], 0x80
                                        ; implicit-def: $vgpr4_vgpr5
	s_branch .LBB126_86
.LBB126_85:                             ;   in Loop: Header=BB126_86 Depth=1
	s_or_b64 exec, exec, s[2:3]
	v_lshl_add_u64 v[0:1], v[0:1], 0, 16
	v_add_u32_e32 v11, -16, v0
	v_cmp_lt_u32_e64 s[2:3], 47, v11
	v_add_u32_e32 v10, 0x80, v10
	s_or_b64 s[6:7], s[2:3], s[6:7]
	v_lshl_add_u64 v[2:3], v[2:3], 0, s[10:11]
	s_andn2_b64 exec, exec, s[6:7]
	s_cbranch_execz .LBB126_90
.LBB126_86:                             ; =>This Inner Loop Header: Depth=1
	s_and_saveexec_b64 s[2:3], vcc
	s_cbranch_execz .LBB126_88
; %bb.87:                               ;   in Loop: Header=BB126_86 Depth=1
	ds_read_b64 v[4:5], v10
.LBB126_88:                             ;   in Loop: Header=BB126_86 Depth=1
	s_or_b64 exec, exec, s[2:3]
	s_waitcnt lgkmcnt(0)
	ds_bpermute_b32 v12, v6, v4
	ds_bpermute_b32 v13, v6, v5
	v_lshl_add_u64 v[14:15], s[4:5], 0, v[0:1]
	v_cmp_le_i64_e64 s[2:3], s[26:27], v[14:15]
	s_or_b64 s[2:3], s[0:1], s[2:3]
	s_or_b64 s[2:3], s[8:9], s[2:3]
	s_waitcnt lgkmcnt(0)
	v_add_f64 v[4:5], v[4:5], v[12:13]
	ds_bpermute_b32 v12, v7, v4
	ds_bpermute_b32 v13, v7, v5
	s_xor_b64 s[12:13], s[2:3], -1
	s_waitcnt lgkmcnt(0)
	v_add_f64 v[4:5], v[4:5], v[12:13]
	ds_bpermute_b32 v12, v8, v4
	ds_bpermute_b32 v13, v8, v5
	s_waitcnt lgkmcnt(0)
	v_add_f64 v[4:5], v[4:5], v[12:13]
	ds_bpermute_b32 v12, v9, v4
	ds_bpermute_b32 v13, v9, v5
	s_waitcnt lgkmcnt(0)
	v_add_f64 v[4:5], v[4:5], v[12:13]
	s_and_saveexec_b64 s[2:3], s[12:13]
	s_cbranch_execz .LBB126_85
; %bb.89:                               ;   in Loop: Header=BB126_86 Depth=1
	global_store_dwordx2 v[2:3], v[4:5], off
	s_branch .LBB126_85
.LBB126_90:
	s_endpgm
	.section	.rodata,"a",@progbits
	.p2align	6, 0x0
	.amdhsa_kernel _ZN2at6native12_GLOBAL__N_135GammaBetaBackwardCUDAKernelTemplateIddLj64ELj16ELj128ELb0ELb0ELb1EEEvllPKT_S5_PKT0_S8_PS3_S9_
		.amdhsa_group_segment_fixed_size 0
		.amdhsa_private_segment_fixed_size 0
		.amdhsa_kernarg_size 320
		.amdhsa_user_sgpr_count 2
		.amdhsa_user_sgpr_dispatch_ptr 0
		.amdhsa_user_sgpr_queue_ptr 0
		.amdhsa_user_sgpr_kernarg_segment_ptr 1
		.amdhsa_user_sgpr_dispatch_id 0
		.amdhsa_user_sgpr_kernarg_preload_length 0
		.amdhsa_user_sgpr_kernarg_preload_offset 0
		.amdhsa_user_sgpr_private_segment_size 0
		.amdhsa_uses_dynamic_stack 0
		.amdhsa_enable_private_segment 0
		.amdhsa_system_sgpr_workgroup_id_x 1
		.amdhsa_system_sgpr_workgroup_id_y 1
		.amdhsa_system_sgpr_workgroup_id_z 0
		.amdhsa_system_sgpr_workgroup_info 0
		.amdhsa_system_vgpr_workitem_id 1
		.amdhsa_next_free_vgpr 122
		.amdhsa_next_free_sgpr 64
		.amdhsa_accum_offset 124
		.amdhsa_reserve_vcc 1
		.amdhsa_float_round_mode_32 0
		.amdhsa_float_round_mode_16_64 0
		.amdhsa_float_denorm_mode_32 3
		.amdhsa_float_denorm_mode_16_64 3
		.amdhsa_dx10_clamp 1
		.amdhsa_ieee_mode 1
		.amdhsa_fp16_overflow 0
		.amdhsa_tg_split 0
		.amdhsa_exception_fp_ieee_invalid_op 0
		.amdhsa_exception_fp_denorm_src 0
		.amdhsa_exception_fp_ieee_div_zero 0
		.amdhsa_exception_fp_ieee_overflow 0
		.amdhsa_exception_fp_ieee_underflow 0
		.amdhsa_exception_fp_ieee_inexact 0
		.amdhsa_exception_int_div_zero 0
	.end_amdhsa_kernel
	.section	.text._ZN2at6native12_GLOBAL__N_135GammaBetaBackwardCUDAKernelTemplateIddLj64ELj16ELj128ELb0ELb0ELb1EEEvllPKT_S5_PKT0_S8_PS3_S9_,"axG",@progbits,_ZN2at6native12_GLOBAL__N_135GammaBetaBackwardCUDAKernelTemplateIddLj64ELj16ELj128ELb0ELb0ELb1EEEvllPKT_S5_PKT0_S8_PS3_S9_,comdat
.Lfunc_end126:
	.size	_ZN2at6native12_GLOBAL__N_135GammaBetaBackwardCUDAKernelTemplateIddLj64ELj16ELj128ELb0ELb0ELb1EEEvllPKT_S5_PKT0_S8_PS3_S9_, .Lfunc_end126-_ZN2at6native12_GLOBAL__N_135GammaBetaBackwardCUDAKernelTemplateIddLj64ELj16ELj128ELb0ELb0ELb1EEEvllPKT_S5_PKT0_S8_PS3_S9_
                                        ; -- End function
	.section	.AMDGPU.csdata,"",@progbits
; Kernel info:
; codeLenInByte = 6940
; NumSgprs: 70
; NumVgprs: 122
; NumAgprs: 0
; TotalNumVgprs: 122
; ScratchSize: 0
; MemoryBound: 1
; FloatMode: 240
; IeeeMode: 1
; LDSByteSize: 0 bytes/workgroup (compile time only)
; SGPRBlocks: 8
; VGPRBlocks: 15
; NumSGPRsForWavesPerEU: 70
; NumVGPRsForWavesPerEU: 122
; AccumOffset: 124
; Occupancy: 4
; WaveLimiterHint : 0
; COMPUTE_PGM_RSRC2:SCRATCH_EN: 0
; COMPUTE_PGM_RSRC2:USER_SGPR: 2
; COMPUTE_PGM_RSRC2:TRAP_HANDLER: 0
; COMPUTE_PGM_RSRC2:TGID_X_EN: 1
; COMPUTE_PGM_RSRC2:TGID_Y_EN: 1
; COMPUTE_PGM_RSRC2:TGID_Z_EN: 0
; COMPUTE_PGM_RSRC2:TIDIG_COMP_CNT: 1
; COMPUTE_PGM_RSRC3_GFX90A:ACCUM_OFFSET: 30
; COMPUTE_PGM_RSRC3_GFX90A:TG_SPLIT: 0
	.section	.text._ZN2at6native12_GLOBAL__N_135GammaBetaBackwardCUDAKernelTemplateIddLj64ELj16ELj256ELb0ELb1ELb1EEEvllPKT_S5_PKT0_S8_PS3_S9_,"axG",@progbits,_ZN2at6native12_GLOBAL__N_135GammaBetaBackwardCUDAKernelTemplateIddLj64ELj16ELj256ELb0ELb1ELb1EEEvllPKT_S5_PKT0_S8_PS3_S9_,comdat
	.globl	_ZN2at6native12_GLOBAL__N_135GammaBetaBackwardCUDAKernelTemplateIddLj64ELj16ELj256ELb0ELb1ELb1EEEvllPKT_S5_PKT0_S8_PS3_S9_ ; -- Begin function _ZN2at6native12_GLOBAL__N_135GammaBetaBackwardCUDAKernelTemplateIddLj64ELj16ELj256ELb0ELb1ELb1EEEvllPKT_S5_PKT0_S8_PS3_S9_
	.p2align	8
	.type	_ZN2at6native12_GLOBAL__N_135GammaBetaBackwardCUDAKernelTemplateIddLj64ELj16ELj256ELb0ELb1ELb1EEEvllPKT_S5_PKT0_S8_PS3_S9_,@function
_ZN2at6native12_GLOBAL__N_135GammaBetaBackwardCUDAKernelTemplateIddLj64ELj16ELj256ELb0ELb1ELb1EEEvllPKT_S5_PKT0_S8_PS3_S9_: ; @_ZN2at6native12_GLOBAL__N_135GammaBetaBackwardCUDAKernelTemplateIddLj64ELj16ELj256ELb0ELb1ELb1EEEvllPKT_S5_PKT0_S8_PS3_S9_
; %bb.0:
	s_load_dwordx4 s[4:7], s[0:1], 0x0
	s_lshl_b32 s14, s3, 8
	s_mov_b32 s15, 0
	v_bfe_u32 v20, v0, 10, 10
	s_waitcnt lgkmcnt(0)
	v_mov_b64_e32 v[2:3], s[4:5]
	v_cmp_lt_i64_e32 vcc, s[14:15], v[2:3]
	s_cbranch_vccnz .LBB127_2
; %bb.1:
	s_mov_b64 s[8:9], 0
	s_mov_b64 s[10:11], 0
	v_bfe_u32 v2, v0, 10, 10
	s_branch .LBB127_3
.LBB127_2:
	s_mov_b64 s[8:9], -1
                                        ; implicit-def: $sgpr10_sgpr11
                                        ; implicit-def: $vgpr2
.LBB127_3:
	s_load_dwordx2 s[12:13], s[0:1], 0x30
	v_and_b32_e32 v18, 0x3ff, v0
	s_andn2_b64 vcc, exec, s[8:9]
	v_mov_b64_e32 v[4:5], s[10:11]
	v_mbcnt_lo_u32_b32 v19, -1, 0
	s_cbranch_vccnz .LBB127_11
; %bb.4:
	s_load_dword s3, s[0:1], 0x4c
	s_load_dword s16, s[0:1], 0x44
	s_load_dwordx2 s[18:19], s[0:1], 0x28
	s_load_dwordx4 s[8:11], s[0:1], 0x10
	v_mbcnt_hi_u32_b32 v6, -1, v19
	s_waitcnt lgkmcnt(0)
	s_and_b32 s0, s3, 0xffff
	v_mad_u32_u24 v1, v20, s0, v18
	v_lshlrev_b32_e32 v0, 4, v20
	v_and_b32_e32 v2, 63, v1
	v_mov_b32_e32 v1, 0
	v_lshlrev_b32_e32 v6, 2, v6
	v_mov_b32_e32 v3, v1
	v_and_b32_e32 v21, 0x100, v6
	v_lshl_add_u64 v[6:7], v[0:1], 0, s[14:15]
	v_mov_b32_e32 v5, v1
	s_lshl_b32 s16, s16, 8
	v_lshl_add_u64 v[0:1], v[6:7], 0, v[2:3]
	v_mul_lo_u32 v8, s7, v6
	v_mul_lo_u32 v9, s6, v7
	v_mad_u64_u32 v[6:7], s[20:21], s6, v6, 0
	v_lshl_add_u32 v4, s2, 6, v18
	s_mul_i32 s3, s7, s16
	s_mul_hi_u32 s20, s6, s16
	s_mov_b32 s17, 0
	v_add3_u32 v7, v7, v9, v8
	v_lshlrev_b64 v[4:5], 3, v[4:5]
	s_add_i32 s21, s20, s3
	s_mul_i32 s20, s6, s16
	v_mov_b64_e32 v[8:9], 0
	v_cmp_gt_u32_e64 s[0:1], 16, v2
	v_or_b32_e32 v22, 4, v21
	v_or_b32_e32 v23, 8, v21
	;; [unrolled: 1-line block ×15, first 2 shown]
	v_lshl_add_u64 v[2:3], v[0:1], 3, s[18:19]
	s_lshl_b64 s[18:19], s[16:17], 3
	v_lshl_add_u64 v[6:7], v[6:7], 3, v[4:5]
	s_lshl_b64 s[20:21], s[20:21], 3
	s_lshl_b64 s[6:7], s[6:7], 3
	v_mov_b64_e32 v[10:11], s[4:5]
	v_mov_b64_e32 v[4:5], v[8:9]
	s_branch .LBB127_7
.LBB127_5:                              ;   in Loop: Header=BB127_7 Depth=1
	s_or_b64 exec, exec, s[24:25]
.LBB127_6:                              ;   in Loop: Header=BB127_7 Depth=1
	s_or_b64 exec, exec, s[22:23]
	v_lshl_add_u64 v[14:15], s[8:9], 0, v[6:7]
	v_lshl_add_u64 v[16:17], s[10:11], 0, v[6:7]
	global_load_dwordx2 v[38:39], v[14:15], off
	global_load_dwordx2 v[40:41], v[16:17], off
	v_lshl_add_u64 v[14:15], v[14:15], 0, s[6:7]
	v_lshl_add_u64 v[16:17], v[16:17], 0, s[6:7]
	global_load_dwordx2 v[42:43], v[14:15], off
	global_load_dwordx2 v[44:45], v[16:17], off
	;; [unrolled: 4-line block ×5, first 2 shown]
	s_add_u32 s14, s14, s16
	s_addc_u32 s15, s15, 0
	v_cmp_lt_i64_e32 vcc, s[14:15], v[10:11]
	v_lshl_add_u64 v[2:3], v[2:3], 0, s[18:19]
	v_lshl_add_u64 v[0:1], v[0:1], 0, s[16:17]
	;; [unrolled: 1-line block ×3, first 2 shown]
	s_and_b64 vcc, exec, vcc
	s_waitcnt vmcnt(8)
	v_mul_f64 v[38:39], v[38:39], v[40:41]
	ds_bpermute_b32 v40, v21, v12
	ds_bpermute_b32 v41, v21, v13
	s_waitcnt vmcnt(6)
	v_mul_f64 v[42:43], v[42:43], v[44:45]
	s_waitcnt vmcnt(4)
	v_mul_f64 v[46:47], v[46:47], v[48:49]
	s_waitcnt lgkmcnt(0)
	v_fmac_f64_e32 v[4:5], v[38:39], v[40:41]
	v_lshl_add_u64 v[40:41], v[54:55], 0, s[6:7]
	v_lshl_add_u64 v[54:55], v[56:57], 0, s[6:7]
	global_load_dwordx2 v[56:57], v[40:41], off
	global_load_dwordx2 v[44:45], v[54:55], off
	ds_bpermute_b32 v38, v22, v12
	ds_bpermute_b32 v39, v22, v13
	v_lshl_add_u64 v[40:41], v[40:41], 0, s[6:7]
	s_waitcnt vmcnt(4)
	v_mul_f64 v[50:51], v[50:51], v[52:53]
	s_waitcnt vmcnt(2)
	v_mul_f64 v[14:15], v[14:15], v[16:17]
	s_waitcnt lgkmcnt(0)
	v_fmac_f64_e32 v[4:5], v[42:43], v[38:39]
	v_lshl_add_u64 v[42:43], v[54:55], 0, s[6:7]
	ds_bpermute_b32 v38, v23, v12
	ds_bpermute_b32 v39, v23, v13
	global_load_dwordx2 v[54:55], v[40:41], off
	global_load_dwordx2 v[48:49], v[42:43], off
	v_lshl_add_u64 v[40:41], v[40:41], 0, s[6:7]
	v_lshl_add_u64 v[42:43], v[42:43], 0, s[6:7]
	s_waitcnt lgkmcnt(0)
	v_fmac_f64_e32 v[4:5], v[46:47], v[38:39]
	ds_bpermute_b32 v38, v24, v12
	ds_bpermute_b32 v39, v24, v13
	global_load_dwordx2 v[46:47], v[40:41], off
	global_load_dwordx2 v[52:53], v[42:43], off
	v_lshl_add_u64 v[40:41], v[40:41], 0, s[6:7]
	v_lshl_add_u64 v[42:43], v[42:43], 0, s[6:7]
	s_waitcnt lgkmcnt(0)
	v_fmac_f64_e32 v[4:5], v[50:51], v[38:39]
	global_load_dwordx2 v[50:51], v[40:41], off
	global_load_dwordx2 v[16:17], v[42:43], off
	ds_bpermute_b32 v38, v25, v12
	ds_bpermute_b32 v39, v25, v13
	v_lshl_add_u64 v[40:41], v[40:41], 0, s[6:7]
	v_lshl_add_u64 v[42:43], v[42:43], 0, s[6:7]
	s_waitcnt lgkmcnt(0)
	v_fmac_f64_e32 v[4:5], v[14:15], v[38:39]
	global_load_dwordx2 v[14:15], v[40:41], off
	global_load_dwordx2 v[38:39], v[42:43], off
	v_lshl_add_u64 v[40:41], v[40:41], 0, s[6:7]
	v_lshl_add_u64 v[42:43], v[42:43], 0, s[6:7]
	s_waitcnt vmcnt(8)
	v_mul_f64 v[44:45], v[56:57], v[44:45]
	ds_bpermute_b32 v56, v26, v12
	ds_bpermute_b32 v57, v26, v13
	s_waitcnt lgkmcnt(0)
	v_fmac_f64_e32 v[4:5], v[44:45], v[56:57]
	ds_bpermute_b32 v44, v27, v12
	ds_bpermute_b32 v45, v27, v13
	;; [unrolled: 1-line block ×4, first 2 shown]
	s_waitcnt vmcnt(6)
	v_mul_f64 v[48:49], v[54:55], v[48:49]
	ds_bpermute_b32 v54, v29, v12
	s_waitcnt lgkmcnt(3)
	v_fmac_f64_e32 v[4:5], v[48:49], v[44:45]
	global_load_dwordx2 v[44:45], v[40:41], off
	global_load_dwordx2 v[48:49], v[42:43], off
	ds_bpermute_b32 v55, v29, v13
	v_lshl_add_u64 v[40:41], v[40:41], 0, s[6:7]
	v_lshl_add_u64 v[42:43], v[42:43], 0, s[6:7]
	s_waitcnt vmcnt(6)
	v_mul_f64 v[46:47], v[46:47], v[52:53]
	s_waitcnt lgkmcnt(2)
	v_fmac_f64_e32 v[4:5], v[46:47], v[56:57]
	global_load_dwordx2 v[46:47], v[40:41], off
	global_load_dwordx2 v[56:57], v[42:43], off
	v_lshl_add_u64 v[40:41], v[40:41], 0, s[6:7]
	v_lshl_add_u64 v[42:43], v[42:43], 0, s[6:7]
	s_waitcnt vmcnt(6)
	v_mul_f64 v[16:17], v[50:51], v[16:17]
	global_load_dwordx2 v[50:51], v[40:41], off
	s_waitcnt lgkmcnt(0)
	v_fmac_f64_e32 v[4:5], v[16:17], v[54:55]
	global_load_dwordx2 v[16:17], v[42:43], off
	ds_bpermute_b32 v52, v30, v12
	ds_bpermute_b32 v53, v30, v13
	v_lshl_add_u64 v[40:41], v[40:41], 0, s[6:7]
	v_lshl_add_u64 v[42:43], v[42:43], 0, s[6:7]
	global_load_dwordx2 v[54:55], v[40:41], off
	s_waitcnt vmcnt(7)
	v_mul_f64 v[14:15], v[14:15], v[38:39]
	global_load_dwordx2 v[38:39], v[42:43], off
	v_lshl_add_u64 v[40:41], v[40:41], 0, s[6:7]
	v_lshl_add_u64 v[42:43], v[42:43], 0, s[6:7]
	s_waitcnt lgkmcnt(0)
	v_fmac_f64_e32 v[4:5], v[14:15], v[52:53]
	global_load_dwordx2 v[14:15], v[40:41], off
	global_load_dwordx2 v[52:53], v[42:43], off
	v_lshl_add_u64 v[40:41], v[40:41], 0, s[6:7]
	v_lshl_add_u64 v[42:43], v[42:43], 0, s[6:7]
	global_load_dwordx2 v[40:41], v[40:41], off
	s_waitcnt vmcnt(9)
	v_mul_f64 v[44:45], v[44:45], v[48:49]
	global_load_dwordx2 v[42:43], v[42:43], off
	ds_bpermute_b32 v48, v31, v12
	ds_bpermute_b32 v49, v31, v13
	s_waitcnt vmcnt(8)
	v_mul_f64 v[46:47], v[46:47], v[56:57]
	s_waitcnt lgkmcnt(0)
	v_fmac_f64_e32 v[4:5], v[44:45], v[48:49]
	ds_bpermute_b32 v44, v32, v12
	ds_bpermute_b32 v45, v32, v13
	;; [unrolled: 1-line block ×4, first 2 shown]
	s_waitcnt vmcnt(6)
	v_mul_f64 v[16:17], v[50:51], v[16:17]
	s_waitcnt lgkmcnt(2)
	v_fmac_f64_e32 v[4:5], v[46:47], v[44:45]
	ds_bpermute_b32 v44, v35, v12
	s_waitcnt lgkmcnt(1)
	v_fmac_f64_e32 v[4:5], v[16:17], v[48:49]
	ds_bpermute_b32 v16, v34, v12
	ds_bpermute_b32 v17, v34, v13
	;; [unrolled: 1-line block ×5, first 2 shown]
	s_waitcnt vmcnt(4)
	v_mul_f64 v[38:39], v[54:55], v[38:39]
	s_waitcnt lgkmcnt(3)
	v_fmac_f64_e32 v[4:5], v[38:39], v[16:17]
	s_waitcnt vmcnt(2)
	v_mul_f64 v[14:15], v[14:15], v[52:53]
	s_waitcnt lgkmcnt(2)
	v_fmac_f64_e32 v[4:5], v[14:15], v[44:45]
	;; [unrolled: 4-line block ×3, first 2 shown]
	s_cbranch_vccz .LBB127_10
.LBB127_7:                              ; =>This Inner Loop Header: Depth=1
	v_mov_b64_e32 v[12:13], v[8:9]
	s_and_saveexec_b64 s[22:23], s[0:1]
	s_cbranch_execz .LBB127_6
; %bb.8:                                ;   in Loop: Header=BB127_7 Depth=1
	v_cmp_gt_i64_e32 vcc, s[4:5], v[0:1]
	v_mov_b64_e32 v[12:13], 0
	s_and_saveexec_b64 s[24:25], vcc
	s_cbranch_execz .LBB127_5
; %bb.9:                                ;   in Loop: Header=BB127_7 Depth=1
	global_load_dwordx2 v[12:13], v[2:3], off
	s_branch .LBB127_5
.LBB127_10:
	v_mov_b32_e32 v2, v20
.LBB127_11:
	s_movk_i32 s0, 0x41
	v_mad_u32_u24 v0, v2, s0, v18
	v_lshl_add_u32 v3, v0, 3, 0
	v_mov_b32_e32 v0, 0
	ds_write_b64 v3, v[4:5]
	v_mov_b32_e32 v1, v0
	v_lshrrev_b32_e32 v4, 6, v18
	ds_write_b64 v3, v[0:1] offset:8320
	v_add_u32_e32 v1, v4, v2
	s_mov_b32 s3, 0
	v_cmp_gt_u32_e32 vcc, 64, v1
	s_waitcnt lgkmcnt(0)
	s_barrier
	s_and_saveexec_b64 s[0:1], vcc
	s_cbranch_execz .LBB127_18
; %bb.12:
	v_mbcnt_hi_u32_b32 v5, -1, v19
	v_and_b32_e32 v6, 64, v5
	s_cmp_lg_u64 s[12:13], 0
	v_add_u32_e32 v9, 64, v6
	v_cmp_eq_u32_e64 s[0:1], 0, v18
	s_cselect_b64 s[6:7], -1, 0
	v_xor_b32_e32 v6, 8, v5
	s_and_b64 s[6:7], s[0:1], s[6:7]
	v_cmp_lt_i32_e64 s[0:1], v6, v9
	v_xor_b32_e32 v7, 4, v5
	v_xor_b32_e32 v8, 2, v5
	v_cndmask_b32_e64 v6, v5, v6, s[0:1]
	v_cmp_lt_i32_e64 s[0:1], v7, v9
	v_xor_b32_e32 v10, 1, v5
	v_and_b32_e32 v3, 63, v18
	v_cndmask_b32_e64 v7, v5, v7, s[0:1]
	v_cmp_lt_i32_e64 s[0:1], v8, v9
	v_cmp_gt_u32_e32 vcc, 16, v3
	v_mul_u32_u24_e32 v3, 0x208, v3
	v_cndmask_b32_e64 v8, v5, v8, s[0:1]
	v_cmp_lt_i32_e64 s[0:1], v10, v9
	v_add_u32_e32 v11, -16, v1
	s_mov_b64 s[4:5], 0
	v_cndmask_b32_e64 v5, v5, v10, s[0:1]
	v_lshlrev_b32_e32 v9, 2, v5
	s_lshl_b64 s[0:1], s[2:3], 9
	v_lshlrev_b32_e32 v5, 3, v1
	v_add3_u32 v10, v3, v5, 0
	v_mov_b32_e32 v5, v0
	v_mov_b32_e32 v3, v0
	s_add_u32 s0, s12, s0
	v_lshl_add_u64 v[0:1], v[4:5], 0, v[2:3]
	s_addc_u32 s1, s13, s1
	v_lshlrev_b32_e32 v6, 2, v6
	v_lshlrev_b32_e32 v7, 2, v7
	;; [unrolled: 1-line block ×3, first 2 shown]
	v_lshl_add_u64 v[0:1], v[0:1], 3, s[0:1]
	s_mov_b64 s[2:3], 0x80
                                        ; implicit-def: $vgpr2_vgpr3
	s_branch .LBB127_14
.LBB127_13:                             ;   in Loop: Header=BB127_14 Depth=1
	s_or_b64 exec, exec, s[0:1]
	v_add_u32_e32 v11, 16, v11
	v_cmp_lt_u32_e64 s[0:1], 47, v11
	v_add_u32_e32 v10, 0x80, v10
	s_or_b64 s[4:5], s[0:1], s[4:5]
	v_lshl_add_u64 v[0:1], v[0:1], 0, s[2:3]
	s_andn2_b64 exec, exec, s[4:5]
	s_cbranch_execz .LBB127_18
.LBB127_14:                             ; =>This Inner Loop Header: Depth=1
	s_and_saveexec_b64 s[0:1], vcc
	s_cbranch_execz .LBB127_16
; %bb.15:                               ;   in Loop: Header=BB127_14 Depth=1
	ds_read_b64 v[2:3], v10
.LBB127_16:                             ;   in Loop: Header=BB127_14 Depth=1
	s_or_b64 exec, exec, s[0:1]
	s_waitcnt lgkmcnt(0)
	ds_bpermute_b32 v4, v6, v2
	ds_bpermute_b32 v5, v6, v3
	s_waitcnt lgkmcnt(0)
	v_add_f64 v[2:3], v[2:3], v[4:5]
	ds_bpermute_b32 v4, v7, v2
	ds_bpermute_b32 v5, v7, v3
	s_waitcnt lgkmcnt(0)
	v_add_f64 v[2:3], v[2:3], v[4:5]
	;; [unrolled: 4-line block ×4, first 2 shown]
	s_and_saveexec_b64 s[0:1], s[6:7]
	s_cbranch_execz .LBB127_13
; %bb.17:                               ;   in Loop: Header=BB127_14 Depth=1
	global_store_dwordx2 v[0:1], v[2:3], off
	s_branch .LBB127_13
.LBB127_18:
	s_endpgm
	.section	.rodata,"a",@progbits
	.p2align	6, 0x0
	.amdhsa_kernel _ZN2at6native12_GLOBAL__N_135GammaBetaBackwardCUDAKernelTemplateIddLj64ELj16ELj256ELb0ELb1ELb1EEEvllPKT_S5_PKT0_S8_PS3_S9_
		.amdhsa_group_segment_fixed_size 0
		.amdhsa_private_segment_fixed_size 0
		.amdhsa_kernarg_size 320
		.amdhsa_user_sgpr_count 2
		.amdhsa_user_sgpr_dispatch_ptr 0
		.amdhsa_user_sgpr_queue_ptr 0
		.amdhsa_user_sgpr_kernarg_segment_ptr 1
		.amdhsa_user_sgpr_dispatch_id 0
		.amdhsa_user_sgpr_kernarg_preload_length 0
		.amdhsa_user_sgpr_kernarg_preload_offset 0
		.amdhsa_user_sgpr_private_segment_size 0
		.amdhsa_uses_dynamic_stack 0
		.amdhsa_enable_private_segment 0
		.amdhsa_system_sgpr_workgroup_id_x 1
		.amdhsa_system_sgpr_workgroup_id_y 1
		.amdhsa_system_sgpr_workgroup_id_z 0
		.amdhsa_system_sgpr_workgroup_info 0
		.amdhsa_system_vgpr_workitem_id 1
		.amdhsa_next_free_vgpr 58
		.amdhsa_next_free_sgpr 26
		.amdhsa_accum_offset 60
		.amdhsa_reserve_vcc 1
		.amdhsa_float_round_mode_32 0
		.amdhsa_float_round_mode_16_64 0
		.amdhsa_float_denorm_mode_32 3
		.amdhsa_float_denorm_mode_16_64 3
		.amdhsa_dx10_clamp 1
		.amdhsa_ieee_mode 1
		.amdhsa_fp16_overflow 0
		.amdhsa_tg_split 0
		.amdhsa_exception_fp_ieee_invalid_op 0
		.amdhsa_exception_fp_denorm_src 0
		.amdhsa_exception_fp_ieee_div_zero 0
		.amdhsa_exception_fp_ieee_overflow 0
		.amdhsa_exception_fp_ieee_underflow 0
		.amdhsa_exception_fp_ieee_inexact 0
		.amdhsa_exception_int_div_zero 0
	.end_amdhsa_kernel
	.section	.text._ZN2at6native12_GLOBAL__N_135GammaBetaBackwardCUDAKernelTemplateIddLj64ELj16ELj256ELb0ELb1ELb1EEEvllPKT_S5_PKT0_S8_PS3_S9_,"axG",@progbits,_ZN2at6native12_GLOBAL__N_135GammaBetaBackwardCUDAKernelTemplateIddLj64ELj16ELj256ELb0ELb1ELb1EEEvllPKT_S5_PKT0_S8_PS3_S9_,comdat
.Lfunc_end127:
	.size	_ZN2at6native12_GLOBAL__N_135GammaBetaBackwardCUDAKernelTemplateIddLj64ELj16ELj256ELb0ELb1ELb1EEEvllPKT_S5_PKT0_S8_PS3_S9_, .Lfunc_end127-_ZN2at6native12_GLOBAL__N_135GammaBetaBackwardCUDAKernelTemplateIddLj64ELj16ELj256ELb0ELb1ELb1EEEvllPKT_S5_PKT0_S8_PS3_S9_
                                        ; -- End function
	.section	.AMDGPU.csdata,"",@progbits
; Kernel info:
; codeLenInByte = 2072
; NumSgprs: 32
; NumVgprs: 58
; NumAgprs: 0
; TotalNumVgprs: 58
; ScratchSize: 0
; MemoryBound: 0
; FloatMode: 240
; IeeeMode: 1
; LDSByteSize: 0 bytes/workgroup (compile time only)
; SGPRBlocks: 3
; VGPRBlocks: 7
; NumSGPRsForWavesPerEU: 32
; NumVGPRsForWavesPerEU: 58
; AccumOffset: 60
; Occupancy: 8
; WaveLimiterHint : 0
; COMPUTE_PGM_RSRC2:SCRATCH_EN: 0
; COMPUTE_PGM_RSRC2:USER_SGPR: 2
; COMPUTE_PGM_RSRC2:TRAP_HANDLER: 0
; COMPUTE_PGM_RSRC2:TGID_X_EN: 1
; COMPUTE_PGM_RSRC2:TGID_Y_EN: 1
; COMPUTE_PGM_RSRC2:TGID_Z_EN: 0
; COMPUTE_PGM_RSRC2:TIDIG_COMP_CNT: 1
; COMPUTE_PGM_RSRC3_GFX90A:ACCUM_OFFSET: 14
; COMPUTE_PGM_RSRC3_GFX90A:TG_SPLIT: 0
	.section	.text._ZN2at6native12_GLOBAL__N_135GammaBetaBackwardCUDAKernelTemplateIddLj64ELj16ELj256ELb0ELb0ELb1EEEvllPKT_S5_PKT0_S8_PS3_S9_,"axG",@progbits,_ZN2at6native12_GLOBAL__N_135GammaBetaBackwardCUDAKernelTemplateIddLj64ELj16ELj256ELb0ELb0ELb1EEEvllPKT_S5_PKT0_S8_PS3_S9_,comdat
	.globl	_ZN2at6native12_GLOBAL__N_135GammaBetaBackwardCUDAKernelTemplateIddLj64ELj16ELj256ELb0ELb0ELb1EEEvllPKT_S5_PKT0_S8_PS3_S9_ ; -- Begin function _ZN2at6native12_GLOBAL__N_135GammaBetaBackwardCUDAKernelTemplateIddLj64ELj16ELj256ELb0ELb0ELb1EEEvllPKT_S5_PKT0_S8_PS3_S9_
	.p2align	8
	.type	_ZN2at6native12_GLOBAL__N_135GammaBetaBackwardCUDAKernelTemplateIddLj64ELj16ELj256ELb0ELb0ELb1EEEvllPKT_S5_PKT0_S8_PS3_S9_,@function
_ZN2at6native12_GLOBAL__N_135GammaBetaBackwardCUDAKernelTemplateIddLj64ELj16ELj256ELb0ELb0ELb1EEEvllPKT_S5_PKT0_S8_PS3_S9_: ; @_ZN2at6native12_GLOBAL__N_135GammaBetaBackwardCUDAKernelTemplateIddLj64ELj16ELj256ELb0ELb0ELb1EEEvllPKT_S5_PKT0_S8_PS3_S9_
; %bb.0:
	s_load_dwordx8 s[8:15], s[0:1], 0x0
	s_load_dwordx2 s[16:17], s[0:1], 0x28
	s_lshl_b32 s33, s2, 6
	v_mov_b32_e32 v47, v0
	s_or_b32 s18, s33, 63
	s_mov_b32 s19, 0
	s_waitcnt lgkmcnt(0)
	v_mov_b64_e32 v[0:1], s[10:11]
	v_cmp_ge_i64_e32 vcc, s[18:19], v[0:1]
	s_lshl_b32 s18, s3, 8
	v_mov_b64_e32 v[0:1], s[8:9]
	v_cmp_lt_i64_e64 s[4:5], s[18:19], v[0:1]
	s_nop 1
	v_cndmask_b32_e64 v0, 0, 1, s[4:5]
	v_cmp_ne_u32_e64 s[4:5], 1, v0
	s_cbranch_vccz .LBB128_81
; %bb.1:
	s_and_b64 vcc, exec, s[4:5]
	v_mov_b64_e32 v[2:3], 0
	s_cbranch_vccnz .LBB128_82
; %bb.2:
	v_and_b32_e32 v0, 0x3ff, v47
	v_add_u32_e32 v4, s33, v0
	v_mov_b32_e32 v5, 0
	v_bfe_u32 v0, v47, 10, 10
	v_lshlrev_b32_e32 v0, 4, v0
	v_mov_b32_e32 v1, v5
	scratch_store_dwordx2 off, v[0:1], off offset:56 ; 8-byte Folded Spill
	v_lshl_add_u64 v[0:1], v[0:1], 0, s[18:19]
	v_lshl_add_u64 v[2:3], v[0:1], 0, 15
	v_cmp_gt_i64_e64 s[6:7], s[10:11], v[4:5]
	v_lshlrev_b64 v[40:41], 3, v[4:5]
	v_mul_lo_u32 v4, s11, v2
	v_mul_lo_u32 v6, s10, v3
	v_mad_u64_u32 v[2:3], s[22:23], s10, v2, 0
	v_add3_u32 v3, v3, v6, v4
	v_lshlrev_b64 v[2:3], 3, v[2:3]
	v_lshl_add_u64 v[6:7], s[12:13], 0, v[2:3]
	v_lshl_add_u64 v[2:3], s[14:15], 0, v[2:3]
	scratch_store_dwordx2 off, v[2:3], off offset:8 ; 8-byte Folded Spill
	v_lshl_add_u64 v[2:3], v[0:1], 0, 14
	scratch_store_dwordx2 off, v[6:7], off  ; 8-byte Folded Spill
	v_mul_lo_u32 v4, s11, v2
	v_mul_lo_u32 v6, s10, v3
	v_mad_u64_u32 v[2:3], s[24:25], s10, v2, 0
	v_add3_u32 v3, v3, v6, v4
	v_lshlrev_b64 v[2:3], 3, v[2:3]
	v_lshl_add_u64 v[6:7], s[12:13], 0, v[2:3]
	v_lshl_add_u64 v[2:3], s[14:15], 0, v[2:3]
	scratch_store_dwordx2 off, v[2:3], off offset:24 ; 8-byte Folded Spill
	v_lshl_add_u64 v[2:3], v[0:1], 0, 13
	scratch_store_dwordx2 off, v[6:7], off offset:16 ; 8-byte Folded Spill
	v_mul_lo_u32 v4, s11, v2
	v_mul_lo_u32 v6, s10, v3
	v_mad_u64_u32 v[2:3], s[24:25], s10, v2, 0
	v_add3_u32 v3, v3, v6, v4
	v_lshlrev_b64 v[2:3], 3, v[2:3]
	v_lshl_add_u64 v[6:7], s[12:13], 0, v[2:3]
	v_lshl_add_u64 v[52:53], s[14:15], 0, v[2:3]
	;; [unrolled: 1-line block ×3, first 2 shown]
	scratch_store_dwordx2 off, v[6:7], off offset:32 ; 8-byte Folded Spill
	v_mul_lo_u32 v4, s11, v2
	v_mul_lo_u32 v6, s10, v3
	v_mad_u64_u32 v[2:3], s[24:25], s10, v2, 0
	v_add3_u32 v3, v3, v6, v4
	v_lshlrev_b64 v[2:3], 3, v[2:3]
	v_lshl_add_u64 v[54:55], s[12:13], 0, v[2:3]
	v_lshl_add_u64 v[56:57], s[14:15], 0, v[2:3]
	v_lshl_add_u64 v[2:3], v[0:1], 0, 11
	v_mul_lo_u32 v4, s11, v2
	v_mul_lo_u32 v6, s10, v3
	v_mad_u64_u32 v[2:3], s[24:25], s10, v2, 0
	v_add3_u32 v3, v3, v6, v4
	v_lshlrev_b64 v[2:3], 3, v[2:3]
	v_lshl_add_u64 v[58:59], s[12:13], 0, v[2:3]
	v_lshl_add_u64 v[60:61], s[14:15], 0, v[2:3]
	v_lshl_add_u64 v[2:3], v[0:1], 0, 10
	;; [unrolled: 8-line block ×10, first 2 shown]
	s_load_dword s3, s[0:1], 0x44
	v_mul_lo_u32 v4, s11, v2
	v_mul_lo_u32 v6, s10, v3
	v_mad_u64_u32 v[2:3], s[24:25], s10, v2, 0
	v_add3_u32 v3, v3, v6, v4
	v_lshlrev_b64 v[2:3], 3, v[2:3]
	v_lshl_add_u64 v[94:95], s[12:13], 0, v[2:3]
	v_lshl_add_u64 v[96:97], s[14:15], 0, v[2:3]
	v_mov_b64_e32 v[2:3], s[10:11]
	s_add_u32 s20, s0, 64
	v_mad_u64_u32 v[2:3], s[24:25], s10, v0, v[2:3]
	v_mul_lo_u32 v4, s10, v1
	v_mul_lo_u32 v6, s11, v0
	v_mad_u64_u32 v[0:1], s[26:27], s10, v0, 0
	s_addc_u32 s21, s1, 0
	s_waitcnt lgkmcnt(0)
	s_lshl_b32 s3, s3, 8
	v_add3_u32 v1, v1, v4, v6
	s_mul_i32 s22, s11, s3
	s_mul_hi_u32 s23, s10, s3
	v_lshlrev_b64 v[0:1], 3, v[0:1]
	s_add_i32 s23, s23, s22
	s_mul_i32 s22, s10, s3
	v_lshl_add_u64 v[102:103], s[12:13], 0, v[0:1]
	v_lshl_add_u64 v[104:105], s[14:15], 0, v[0:1]
	v_mbcnt_lo_u32_b32 v0, -1, 0
	s_lshl_b64 s[22:23], s[22:23], 3
	v_add3_u32 v3, v6, v3, v4
	v_mbcnt_hi_u32_b32 v0, -1, v0
	v_lshlrev_b64 v[2:3], 3, v[2:3]
	s_add_u32 s24, s18, 0xff
	s_movk_i32 s26, 0xff01
	s_movk_i32 s28, 0xff02
	;; [unrolled: 1-line block ×16, first 2 shown]
	v_lshlrev_b32_e32 v0, 2, v0
	s_mov_b32 s36, 0
	v_lshl_add_u64 v[98:99], s[12:13], 0, v[2:3]
	v_lshl_add_u64 v[100:101], s[14:15], 0, v[2:3]
	s_addc_u32 s25, 0, 0
	v_mov_b64_e32 v[106:107], 0
	s_mov_b32 s27, -1
	s_mov_b32 s29, -1
	;; [unrolled: 1-line block ×16, first 2 shown]
	v_and_b32_e32 v46, 0x100, v0
	s_mov_b64 s[92:93], s[18:19]
.LBB128_3:                              ; =>This Inner Loop Header: Depth=1
	v_mov_b64_e32 v[0:1], s[8:9]
	v_cmp_ge_i64_e32 vcc, s[24:25], v[0:1]
	scratch_load_dwordx2 v[0:1], off, off offset:56 ; 8-byte Folded Reload
	s_waitcnt vmcnt(0)
	v_lshl_add_u64 v[0:1], v[0:1], 0, s[24:25]
	s_cbranch_vccz .LBB128_41
; %bb.4:                                ;   in Loop: Header=BB128_3 Depth=1
	s_load_dword s37, s[20:21], 0xc
	v_and_b32_e32 v2, 0x3ff, v47
	v_bfe_u32 v3, v47, 10, 10
	v_mov_b64_e32 v[44:45], 0
	v_mov_b64_e32 v[108:109], v[44:45]
	s_waitcnt lgkmcnt(0)
	s_and_b32 s37, s37, 0xffff
	v_mad_u32_u24 v2, v3, s37, v2
	v_and_b32_e32 v4, 63, v2
	v_cmp_gt_u32_e32 vcc, 16, v4
	s_and_saveexec_b64 s[38:39], vcc
	s_cbranch_execz .LBB128_8
; %bb.5:                                ;   in Loop: Header=BB128_3 Depth=1
	v_lshl_add_u64 v[2:3], v[0:1], 0, v[4:5]
	v_lshl_add_u64 v[2:3], v[2:3], 0, s[26:27]
	v_cmp_gt_i64_e32 vcc, s[8:9], v[2:3]
	v_mov_b64_e32 v[108:109], 0
	s_and_saveexec_b64 s[40:41], vcc
	s_cbranch_execz .LBB128_7
; %bb.6:                                ;   in Loop: Header=BB128_3 Depth=1
	v_lshl_add_u64 v[2:3], v[2:3], 3, s[16:17]
	global_load_dwordx2 v[108:109], v[2:3], off
.LBB128_7:                              ;   in Loop: Header=BB128_3 Depth=1
	s_or_b64 exec, exec, s[40:41]
.LBB128_8:                              ;   in Loop: Header=BB128_3 Depth=1
	s_or_b64 exec, exec, s[38:39]
	v_lshl_add_u64 v[2:3], v[0:1], 0, s[26:27]
	s_mov_b32 s37, s36
	v_cmp_gt_i64_e32 vcc, s[8:9], v[2:3]
	s_mov_b32 s38, s36
	s_mov_b32 s39, s36
	;; [unrolled: 1-line block ×30, first 2 shown]
	v_mov_b64_e32 v[6:7], s[36:37]
	s_and_b64 s[94:95], s[6:7], vcc
	v_mov_b64_e32 v[8:9], s[38:39]
	v_mov_b64_e32 v[10:11], s[40:41]
	;; [unrolled: 1-line block ×15, first 2 shown]
	s_and_saveexec_b64 s[38:39], s[94:95]
	s_cbranch_execz .LBB128_10
; %bb.9:                                ;   in Loop: Header=BB128_3 Depth=1
	v_lshl_add_u64 v[2:3], v[102:103], 0, v[40:41]
	global_load_dwordx2 v[2:3], v[2:3], off
	v_lshl_add_u64 v[6:7], v[104:105], 0, v[40:41]
	global_load_dwordx2 v[44:45], v[6:7], off
	v_mov_b32_e32 v6, v5
	v_mov_b32_e32 v7, v5
	;; [unrolled: 1-line block ×29, first 2 shown]
	s_waitcnt vmcnt(1)
	v_mov_b64_e32 v[36:37], v[32:33]
	v_mov_b64_e32 v[34:35], v[30:31]
	;; [unrolled: 1-line block ×16, first 2 shown]
.LBB128_10:                             ;   in Loop: Header=BB128_3 Depth=1
	s_or_b64 exec, exec, s[38:39]
	v_lshl_add_u64 v[2:3], v[0:1], 0, s[28:29]
	v_cmp_gt_i64_e32 vcc, s[8:9], v[2:3]
	s_and_b64 s[40:41], s[6:7], vcc
	v_mov_b64_e32 v[114:115], 0
	scratch_store_dwordx2 off, v[114:115], off offset:40 ; 8-byte Folded Spill
	s_and_saveexec_b64 s[38:39], s[40:41]
	s_cbranch_execz .LBB128_12
; %bb.11:                               ;   in Loop: Header=BB128_3 Depth=1
	v_lshl_add_u64 v[2:3], v[98:99], 0, v[40:41]
	global_load_dwordx2 v[8:9], v[2:3], off
	v_lshl_add_u64 v[2:3], v[100:101], 0, v[40:41]
	global_load_dwordx2 v[2:3], v[2:3], off
	s_waitcnt vmcnt(0)
	scratch_store_dwordx2 off, v[2:3], off offset:40 ; 8-byte Folded Spill
.LBB128_12:                             ;   in Loop: Header=BB128_3 Depth=1
	s_or_b64 exec, exec, s[38:39]
	v_lshl_add_u64 v[2:3], v[0:1], 0, s[30:31]
	v_cmp_gt_i64_e32 vcc, s[8:9], v[2:3]
	s_and_b64 s[40:41], s[6:7], vcc
	s_and_saveexec_b64 s[38:39], s[40:41]
	s_cbranch_execz .LBB128_14
; %bb.13:                               ;   in Loop: Header=BB128_3 Depth=1
	v_lshl_add_u64 v[2:3], v[94:95], 0, v[40:41]
	global_load_dwordx2 v[10:11], v[2:3], off
	v_lshl_add_u64 v[2:3], v[96:97], 0, v[40:41]
	global_load_dwordx2 v[114:115], v[2:3], off
.LBB128_14:                             ;   in Loop: Header=BB128_3 Depth=1
	s_or_b64 exec, exec, s[38:39]
	v_lshl_add_u64 v[2:3], v[0:1], 0, s[34:35]
	v_cmp_gt_i64_e32 vcc, s[8:9], v[2:3]
	v_mov_b64_e32 v[118:119], 0
	s_and_b64 s[40:41], s[6:7], vcc
	v_mov_b64_e32 v[48:49], v[118:119]
	s_and_saveexec_b64 s[38:39], s[40:41]
	s_cbranch_execz .LBB128_16
; %bb.15:                               ;   in Loop: Header=BB128_3 Depth=1
	v_lshl_add_u64 v[2:3], v[90:91], 0, v[40:41]
	global_load_dwordx2 v[12:13], v[2:3], off
	v_lshl_add_u64 v[2:3], v[92:93], 0, v[40:41]
	global_load_dwordx2 v[48:49], v[2:3], off
.LBB128_16:                             ;   in Loop: Header=BB128_3 Depth=1
	s_or_b64 exec, exec, s[38:39]
	v_lshl_add_u64 v[2:3], v[0:1], 0, s[68:69]
	v_cmp_gt_i64_e32 vcc, s[8:9], v[2:3]
	s_and_b64 s[40:41], s[6:7], vcc
	s_and_saveexec_b64 s[38:39], s[40:41]
	s_cbranch_execz .LBB128_18
; %bb.17:                               ;   in Loop: Header=BB128_3 Depth=1
	v_lshl_add_u64 v[2:3], v[86:87], 0, v[40:41]
	global_load_dwordx2 v[14:15], v[2:3], off
	v_lshl_add_u64 v[2:3], v[88:89], 0, v[40:41]
	global_load_dwordx2 v[118:119], v[2:3], off
.LBB128_18:                             ;   in Loop: Header=BB128_3 Depth=1
	s_or_b64 exec, exec, s[38:39]
	v_lshl_add_u64 v[2:3], v[0:1], 0, s[70:71]
	v_cmp_gt_i64_e32 vcc, s[8:9], v[2:3]
	s_and_b64 s[40:41], s[6:7], vcc
	v_mov_b64_e32 v[122:123], 0
	scratch_store_dwordx2 off, v[122:123], off offset:48 ; 8-byte Folded Spill
	s_and_saveexec_b64 s[38:39], s[40:41]
	s_cbranch_execz .LBB128_20
; %bb.19:                               ;   in Loop: Header=BB128_3 Depth=1
	v_lshl_add_u64 v[2:3], v[82:83], 0, v[40:41]
	global_load_dwordx2 v[16:17], v[2:3], off
	v_lshl_add_u64 v[2:3], v[84:85], 0, v[40:41]
	global_load_dwordx2 v[2:3], v[2:3], off
	s_waitcnt vmcnt(0)
	scratch_store_dwordx2 off, v[2:3], off offset:48 ; 8-byte Folded Spill
.LBB128_20:                             ;   in Loop: Header=BB128_3 Depth=1
	s_or_b64 exec, exec, s[38:39]
	v_lshl_add_u64 v[2:3], v[0:1], 0, s[72:73]
	v_cmp_gt_i64_e32 vcc, s[8:9], v[2:3]
	s_and_b64 s[40:41], s[6:7], vcc
	s_and_saveexec_b64 s[38:39], s[40:41]
	s_cbranch_execz .LBB128_22
; %bb.21:                               ;   in Loop: Header=BB128_3 Depth=1
	v_lshl_add_u64 v[2:3], v[78:79], 0, v[40:41]
	global_load_dwordx2 v[18:19], v[2:3], off
	v_lshl_add_u64 v[2:3], v[80:81], 0, v[40:41]
	global_load_dwordx2 v[122:123], v[2:3], off
.LBB128_22:                             ;   in Loop: Header=BB128_3 Depth=1
	s_or_b64 exec, exec, s[38:39]
	v_lshl_add_u64 v[2:3], v[0:1], 0, s[74:75]
	v_cmp_gt_i64_e32 vcc, s[8:9], v[2:3]
	v_mov_b64_e32 v[126:127], 0
	s_and_b64 s[40:41], s[6:7], vcc
	v_mov_b64_e32 v[50:51], v[126:127]
	s_and_saveexec_b64 s[38:39], s[40:41]
	s_cbranch_execz .LBB128_24
; %bb.23:                               ;   in Loop: Header=BB128_3 Depth=1
	v_lshl_add_u64 v[2:3], v[74:75], 0, v[40:41]
	global_load_dwordx2 v[20:21], v[2:3], off
	v_lshl_add_u64 v[2:3], v[76:77], 0, v[40:41]
	global_load_dwordx2 v[50:51], v[2:3], off
.LBB128_24:                             ;   in Loop: Header=BB128_3 Depth=1
	s_or_b64 exec, exec, s[38:39]
	v_lshl_add_u64 v[2:3], v[0:1], 0, s[76:77]
	v_cmp_gt_i64_e32 vcc, s[8:9], v[2:3]
	s_and_b64 s[40:41], s[6:7], vcc
	s_and_saveexec_b64 s[38:39], s[40:41]
	s_cbranch_execz .LBB128_26
; %bb.25:                               ;   in Loop: Header=BB128_3 Depth=1
	v_lshl_add_u64 v[2:3], v[70:71], 0, v[40:41]
	global_load_dwordx2 v[22:23], v[2:3], off
	v_lshl_add_u64 v[2:3], v[72:73], 0, v[40:41]
	global_load_dwordx2 v[126:127], v[2:3], off
.LBB128_26:                             ;   in Loop: Header=BB128_3 Depth=1
	s_or_b64 exec, exec, s[38:39]
	v_lshl_add_u64 v[2:3], v[0:1], 0, s[78:79]
	v_cmp_gt_i64_e32 vcc, s[8:9], v[2:3]
	v_mov_b64_e32 v[116:117], 0
	s_and_b64 s[40:41], s[6:7], vcc
	v_mov_b64_e32 v[120:121], v[116:117]
	s_and_saveexec_b64 s[38:39], s[40:41]
	s_cbranch_execz .LBB128_28
; %bb.27:                               ;   in Loop: Header=BB128_3 Depth=1
	v_lshl_add_u64 v[2:3], v[66:67], 0, v[40:41]
	global_load_dwordx2 v[24:25], v[2:3], off
	v_lshl_add_u64 v[2:3], v[68:69], 0, v[40:41]
	global_load_dwordx2 v[120:121], v[2:3], off
.LBB128_28:                             ;   in Loop: Header=BB128_3 Depth=1
	;; [unrolled: 26-line block ×3, first 2 shown]
	s_or_b64 exec, exec, s[38:39]
	v_lshl_add_u64 v[2:3], v[0:1], 0, s[84:85]
	v_cmp_gt_i64_e32 vcc, s[8:9], v[2:3]
	s_and_b64 s[40:41], s[6:7], vcc
	s_and_saveexec_b64 s[38:39], s[40:41]
	s_cbranch_execz .LBB128_34
; %bb.33:                               ;   in Loop: Header=BB128_3 Depth=1
	v_lshl_add_u64 v[2:3], v[54:55], 0, v[40:41]
	global_load_dwordx2 v[30:31], v[2:3], off
	v_lshl_add_u64 v[2:3], v[56:57], 0, v[40:41]
	global_load_dwordx2 v[110:111], v[2:3], off
.LBB128_34:                             ;   in Loop: Header=BB128_3 Depth=1
	s_or_b64 exec, exec, s[38:39]
	v_lshl_add_u64 v[2:3], v[0:1], 0, s[86:87]
	v_cmp_gt_i64_e32 vcc, s[8:9], v[2:3]
	v_mov_b64_e32 v[38:39], 0
	s_and_b64 s[40:41], s[6:7], vcc
	v_mov_b64_e32 v[42:43], v[38:39]
	s_and_saveexec_b64 s[38:39], s[40:41]
	s_cbranch_execz .LBB128_36
; %bb.35:                               ;   in Loop: Header=BB128_3 Depth=1
	scratch_load_dwordx2 v[2:3], off, off offset:32 ; 8-byte Folded Reload
	s_waitcnt vmcnt(0)
	v_lshl_add_u64 v[2:3], v[2:3], 0, v[40:41]
	global_load_dwordx2 v[32:33], v[2:3], off
	v_lshl_add_u64 v[2:3], v[52:53], 0, v[40:41]
	global_load_dwordx2 v[42:43], v[2:3], off
.LBB128_36:                             ;   in Loop: Header=BB128_3 Depth=1
	s_or_b64 exec, exec, s[38:39]
	v_lshl_add_u64 v[2:3], v[0:1], 0, s[88:89]
	v_cmp_gt_i64_e32 vcc, s[8:9], v[2:3]
	s_and_b64 s[40:41], s[6:7], vcc
	s_and_saveexec_b64 s[38:39], s[40:41]
	s_cbranch_execz .LBB128_38
; %bb.37:                               ;   in Loop: Header=BB128_3 Depth=1
	scratch_load_dwordx2 v[2:3], off, off offset:16 ; 8-byte Folded Reload
	s_waitcnt vmcnt(0)
	v_lshl_add_u64 v[2:3], v[2:3], 0, v[40:41]
	global_load_dwordx2 v[34:35], v[2:3], off
	s_nop 0
	scratch_load_dwordx2 v[2:3], off, off offset:24 ; 8-byte Folded Reload
	s_waitcnt vmcnt(0)
	v_lshl_add_u64 v[2:3], v[2:3], 0, v[40:41]
	global_load_dwordx2 v[38:39], v[2:3], off
.LBB128_38:                             ;   in Loop: Header=BB128_3 Depth=1
	s_or_b64 exec, exec, s[38:39]
	v_lshl_add_u64 v[2:3], v[0:1], 0, s[90:91]
	v_cmp_gt_i64_e32 vcc, s[8:9], v[2:3]
	s_and_b64 s[40:41], s[6:7], vcc
	v_mov_b64_e32 v[112:113], 0
	s_and_saveexec_b64 s[38:39], s[40:41]
	s_cbranch_execz .LBB128_40
; %bb.39:                               ;   in Loop: Header=BB128_3 Depth=1
	scratch_load_dwordx2 v[2:3], off, off   ; 8-byte Folded Reload
	s_waitcnt vmcnt(0)
	v_lshl_add_u64 v[2:3], v[2:3], 0, v[40:41]
	global_load_dwordx2 v[36:37], v[2:3], off
	s_nop 0
	scratch_load_dwordx2 v[2:3], off, off offset:8 ; 8-byte Folded Reload
	s_waitcnt vmcnt(0)
	v_lshl_add_u64 v[2:3], v[2:3], 0, v[40:41]
	global_load_dwordx2 v[112:113], v[2:3], off
.LBB128_40:                             ;   in Loop: Header=BB128_3 Depth=1
	s_or_b64 exec, exec, s[38:39]
	s_waitcnt vmcnt(2)
	v_mul_f64 v[6:7], v[44:45], v[6:7]
	scratch_load_dwordx2 v[44:45], off, off offset:40 ; 8-byte Folded Reload
	ds_bpermute_b32 v2, v46, v108
	ds_bpermute_b32 v3, v46, v109
	s_waitcnt lgkmcnt(0)
	v_fma_f64 v[2:3], v[6:7], v[2:3], v[106:107]
	ds_bpermute_b32 v6, v46, v108 offset:4
	ds_bpermute_b32 v7, v46, v109 offset:4
	s_waitcnt vmcnt(0)
	v_mul_f64 v[8:9], v[44:45], v[8:9]
	s_waitcnt lgkmcnt(0)
	v_fmac_f64_e32 v[2:3], v[8:9], v[6:7]
	ds_bpermute_b32 v6, v46, v108 offset:8
	ds_bpermute_b32 v7, v46, v109 offset:8
	v_mul_f64 v[8:9], v[114:115], v[10:11]
	s_waitcnt lgkmcnt(0)
	v_fmac_f64_e32 v[2:3], v[8:9], v[6:7]
	ds_bpermute_b32 v6, v46, v108 offset:12
	ds_bpermute_b32 v7, v46, v109 offset:12
	;; [unrolled: 5-line block ×3, first 2 shown]
	v_mul_f64 v[8:9], v[118:119], v[14:15]
	s_waitcnt lgkmcnt(0)
	v_fmac_f64_e32 v[2:3], v[8:9], v[6:7]
	scratch_load_dwordx2 v[8:9], off, off offset:48 ; 8-byte Folded Reload
	ds_bpermute_b32 v6, v46, v108 offset:20
	ds_bpermute_b32 v7, v46, v109 offset:20
	s_waitcnt vmcnt(0)
	v_mul_f64 v[8:9], v[8:9], v[16:17]
	s_waitcnt lgkmcnt(0)
	v_fmac_f64_e32 v[2:3], v[8:9], v[6:7]
	ds_bpermute_b32 v6, v46, v108 offset:24
	ds_bpermute_b32 v7, v46, v109 offset:24
	v_mul_f64 v[8:9], v[122:123], v[18:19]
	s_waitcnt lgkmcnt(0)
	v_fmac_f64_e32 v[2:3], v[8:9], v[6:7]
	ds_bpermute_b32 v6, v46, v108 offset:28
	ds_bpermute_b32 v7, v46, v109 offset:28
	;; [unrolled: 5-line block ×10, first 2 shown]
	s_branch .LBB128_77
.LBB128_41:                             ;   in Loop: Header=BB128_3 Depth=1
                                        ; implicit-def: $vgpr6_vgpr7_vgpr8_vgpr9_vgpr10_vgpr11_vgpr12_vgpr13_vgpr14_vgpr15_vgpr16_vgpr17_vgpr18_vgpr19_vgpr20_vgpr21_vgpr22_vgpr23_vgpr24_vgpr25_vgpr26_vgpr27_vgpr28_vgpr29_vgpr30_vgpr31_vgpr32_vgpr33_vgpr34_vgpr35_vgpr36_vgpr37
                                        ; implicit-def: $vgpr2_vgpr3
                                        ; implicit-def: $vgpr112_vgpr113
                                        ; implicit-def: $vgpr6
	s_cbranch_execz .LBB128_77
; %bb.42:                               ;   in Loop: Header=BB128_3 Depth=1
	s_load_dword s37, s[20:21], 0x0
	v_and_b32_e32 v3, 0x3ff, v47
	v_bfe_u32 v4, v47, 10, 10
	v_mov_b64_e32 v[110:111], 0
	v_mov_b64_e32 v[108:109], v[110:111]
	s_waitcnt lgkmcnt(0)
	s_cmp_lt_u32 s2, s37
	s_cselect_b32 s37, 12, 18
	s_add_u32 s38, s20, s37
	s_addc_u32 s39, s21, 0
	global_load_ushort v2, v5, s[38:39]
	s_waitcnt vmcnt(0)
	v_mad_u32_u24 v2, v4, v2, v3
	v_and_b32_e32 v4, 63, v2
	v_cmp_gt_u32_e32 vcc, 16, v4
	s_and_saveexec_b64 s[38:39], vcc
	s_cbranch_execz .LBB128_46
; %bb.43:                               ;   in Loop: Header=BB128_3 Depth=1
	v_lshl_add_u64 v[0:1], v[0:1], 0, v[4:5]
	v_lshl_add_u64 v[0:1], v[0:1], 0, s[26:27]
	v_cmp_gt_i64_e32 vcc, s[8:9], v[0:1]
	v_mov_b64_e32 v[108:109], 0
	s_and_saveexec_b64 s[40:41], vcc
	s_cbranch_execz .LBB128_45
; %bb.44:                               ;   in Loop: Header=BB128_3 Depth=1
	v_lshl_add_u64 v[0:1], v[0:1], 3, s[16:17]
	global_load_dwordx2 v[108:109], v[0:1], off
.LBB128_45:                             ;   in Loop: Header=BB128_3 Depth=1
	s_or_b64 exec, exec, s[40:41]
.LBB128_46:                             ;   in Loop: Header=BB128_3 Depth=1
	s_or_b64 exec, exec, s[38:39]
	s_mov_b32 s37, s36
	s_mov_b32 s38, s36
	s_mov_b32 s39, s36
	s_mov_b32 s40, s36
	s_mov_b32 s41, s36
	s_mov_b32 s42, s36
	s_mov_b32 s43, s36
	s_mov_b32 s44, s36
	s_mov_b32 s45, s36
	s_mov_b32 s46, s36
	s_mov_b32 s47, s36
	s_mov_b32 s48, s36
	s_mov_b32 s49, s36
	s_mov_b32 s50, s36
	s_mov_b32 s51, s36
	s_mov_b32 s52, s36
	s_mov_b32 s53, s36
	s_mov_b32 s54, s36
	s_mov_b32 s55, s36
	s_mov_b32 s56, s36
	s_mov_b32 s57, s36
	s_mov_b32 s58, s36
	s_mov_b32 s59, s36
	s_mov_b32 s60, s36
	s_mov_b32 s61, s36
	s_mov_b32 s62, s36
	s_mov_b32 s63, s36
	s_mov_b32 s64, s36
	s_mov_b32 s65, s36
	s_mov_b32 s66, s36
	s_mov_b32 s67, s36
	v_mov_b64_e32 v[6:7], s[36:37]
	v_mov_b64_e32 v[8:9], s[38:39]
	v_mov_b64_e32 v[10:11], s[40:41]
	v_mov_b64_e32 v[12:13], s[42:43]
	v_mov_b64_e32 v[14:15], s[44:45]
	v_mov_b64_e32 v[16:17], s[46:47]
	v_mov_b64_e32 v[18:19], s[48:49]
	v_mov_b64_e32 v[20:21], s[50:51]
	v_mov_b64_e32 v[22:23], s[52:53]
	v_mov_b64_e32 v[24:25], s[54:55]
	v_mov_b64_e32 v[26:27], s[56:57]
	v_mov_b64_e32 v[28:29], s[58:59]
	v_mov_b64_e32 v[30:31], s[60:61]
	v_mov_b64_e32 v[32:33], s[62:63]
	v_mov_b64_e32 v[34:35], s[64:65]
	v_mov_b64_e32 v[36:37], s[66:67]
	s_and_saveexec_b64 s[38:39], s[6:7]
	s_cbranch_execz .LBB128_48
; %bb.47:                               ;   in Loop: Header=BB128_3 Depth=1
	v_lshl_add_u64 v[0:1], v[102:103], 0, v[40:41]
	global_load_dwordx2 v[2:3], v[0:1], off
	v_lshl_add_u64 v[0:1], v[104:105], 0, v[40:41]
	global_load_dwordx2 v[110:111], v[0:1], off
	v_mov_b32_e32 v6, v5
	v_mov_b32_e32 v7, v5
	;; [unrolled: 1-line block ×29, first 2 shown]
	s_waitcnt vmcnt(1)
	v_mov_b64_e32 v[36:37], v[32:33]
	v_mov_b64_e32 v[34:35], v[30:31]
	v_mov_b64_e32 v[32:33], v[28:29]
	v_mov_b64_e32 v[30:31], v[26:27]
	v_mov_b64_e32 v[28:29], v[24:25]
	v_mov_b64_e32 v[26:27], v[22:23]
	v_mov_b64_e32 v[24:25], v[20:21]
	v_mov_b64_e32 v[22:23], v[18:19]
	v_mov_b64_e32 v[20:21], v[16:17]
	v_mov_b64_e32 v[18:19], v[14:15]
	v_mov_b64_e32 v[16:17], v[12:13]
	v_mov_b64_e32 v[14:15], v[10:11]
	v_mov_b64_e32 v[12:13], v[8:9]
	v_mov_b64_e32 v[10:11], v[6:7]
	v_mov_b64_e32 v[8:9], v[4:5]
	v_mov_b64_e32 v[6:7], v[2:3]
.LBB128_48:                             ;   in Loop: Header=BB128_3 Depth=1
	s_or_b64 exec, exec, s[38:39]
	v_mov_b64_e32 v[0:1], 0
	v_mov_b64_e32 v[50:51], v[0:1]
	s_and_saveexec_b64 s[38:39], s[6:7]
	s_cbranch_execz .LBB128_50
; %bb.49:                               ;   in Loop: Header=BB128_3 Depth=1
	v_lshl_add_u64 v[2:3], v[98:99], 0, v[40:41]
	global_load_dwordx2 v[8:9], v[2:3], off
	v_lshl_add_u64 v[2:3], v[100:101], 0, v[40:41]
	global_load_dwordx2 v[50:51], v[2:3], off
.LBB128_50:                             ;   in Loop: Header=BB128_3 Depth=1
	s_or_b64 exec, exec, s[38:39]
	s_and_saveexec_b64 s[38:39], s[6:7]
	s_cbranch_execz .LBB128_52
; %bb.51:                               ;   in Loop: Header=BB128_3 Depth=1
	v_lshl_add_u64 v[0:1], v[94:95], 0, v[40:41]
	global_load_dwordx2 v[10:11], v[0:1], off
	v_lshl_add_u64 v[0:1], v[96:97], 0, v[40:41]
	global_load_dwordx2 v[0:1], v[0:1], off
.LBB128_52:                             ;   in Loop: Header=BB128_3 Depth=1
	s_or_b64 exec, exec, s[38:39]
	v_mov_b64_e32 v[114:115], 0
	scratch_store_dwordx2 off, v[114:115], off offset:40 ; 8-byte Folded Spill
	s_and_saveexec_b64 s[38:39], s[6:7]
	s_cbranch_execz .LBB128_54
; %bb.53:                               ;   in Loop: Header=BB128_3 Depth=1
	v_lshl_add_u64 v[2:3], v[90:91], 0, v[40:41]
	global_load_dwordx2 v[12:13], v[2:3], off
	v_lshl_add_u64 v[2:3], v[92:93], 0, v[40:41]
	global_load_dwordx2 v[2:3], v[2:3], off
	s_waitcnt vmcnt(0)
	scratch_store_dwordx2 off, v[2:3], off offset:40 ; 8-byte Folded Spill
.LBB128_54:                             ;   in Loop: Header=BB128_3 Depth=1
	s_or_b64 exec, exec, s[38:39]
	s_and_saveexec_b64 s[38:39], s[6:7]
	s_cbranch_execz .LBB128_56
; %bb.55:                               ;   in Loop: Header=BB128_3 Depth=1
	v_lshl_add_u64 v[2:3], v[86:87], 0, v[40:41]
	global_load_dwordx2 v[14:15], v[2:3], off
	v_lshl_add_u64 v[2:3], v[88:89], 0, v[40:41]
	global_load_dwordx2 v[114:115], v[2:3], off
.LBB128_56:                             ;   in Loop: Header=BB128_3 Depth=1
	s_or_b64 exec, exec, s[38:39]
	v_mov_b64_e32 v[116:117], 0
	v_mov_b64_e32 v[118:119], v[116:117]
	s_and_saveexec_b64 s[38:39], s[6:7]
	s_cbranch_execz .LBB128_58
; %bb.57:                               ;   in Loop: Header=BB128_3 Depth=1
	v_lshl_add_u64 v[2:3], v[82:83], 0, v[40:41]
	global_load_dwordx2 v[16:17], v[2:3], off
	v_lshl_add_u64 v[2:3], v[84:85], 0, v[40:41]
	global_load_dwordx2 v[118:119], v[2:3], off
.LBB128_58:                             ;   in Loop: Header=BB128_3 Depth=1
	s_or_b64 exec, exec, s[38:39]
	s_and_saveexec_b64 s[38:39], s[6:7]
	s_cbranch_execz .LBB128_60
; %bb.59:                               ;   in Loop: Header=BB128_3 Depth=1
	v_lshl_add_u64 v[2:3], v[78:79], 0, v[40:41]
	global_load_dwordx2 v[18:19], v[2:3], off
	v_lshl_add_u64 v[2:3], v[80:81], 0, v[40:41]
	global_load_dwordx2 v[116:117], v[2:3], off
.LBB128_60:                             ;   in Loop: Header=BB128_3 Depth=1
	s_or_b64 exec, exec, s[38:39]
	v_mov_b64_e32 v[120:121], 0
	v_mov_b64_e32 v[122:123], v[120:121]
	s_and_saveexec_b64 s[38:39], s[6:7]
	s_cbranch_execz .LBB128_62
; %bb.61:                               ;   in Loop: Header=BB128_3 Depth=1
	v_lshl_add_u64 v[2:3], v[74:75], 0, v[40:41]
	global_load_dwordx2 v[20:21], v[2:3], off
	v_lshl_add_u64 v[2:3], v[76:77], 0, v[40:41]
	global_load_dwordx2 v[122:123], v[2:3], off
.LBB128_62:                             ;   in Loop: Header=BB128_3 Depth=1
	;; [unrolled: 20-line block ×4, first 2 shown]
	s_or_b64 exec, exec, s[38:39]
	s_and_saveexec_b64 s[38:39], s[6:7]
	s_cbranch_execz .LBB128_72
; %bb.71:                               ;   in Loop: Header=BB128_3 Depth=1
	v_lshl_add_u64 v[30:31], v[54:55], 0, v[40:41]
	v_lshl_add_u64 v[38:39], v[56:57], 0, v[40:41]
	global_load_dwordx2 v[30:31], v[30:31], off
	s_nop 0
	global_load_dwordx2 v[126:127], v[38:39], off
.LBB128_72:                             ;   in Loop: Header=BB128_3 Depth=1
	s_or_b64 exec, exec, s[38:39]
	v_mov_b64_e32 v[44:45], 0
	v_mov_b64_e32 v[38:39], v[44:45]
	s_and_saveexec_b64 s[38:39], s[6:7]
	s_cbranch_execnz .LBB128_79
; %bb.73:                               ;   in Loop: Header=BB128_3 Depth=1
	s_or_b64 exec, exec, s[38:39]
	s_and_saveexec_b64 s[38:39], s[6:7]
	s_cbranch_execnz .LBB128_80
.LBB128_74:                             ;   in Loop: Header=BB128_3 Depth=1
	s_or_b64 exec, exec, s[38:39]
	v_mov_b64_e32 v[112:113], 0
	s_and_saveexec_b64 s[38:39], s[6:7]
	s_cbranch_execz .LBB128_76
.LBB128_75:                             ;   in Loop: Header=BB128_3 Depth=1
	scratch_load_dwordx2 v[36:37], off, off ; 8-byte Folded Reload
	s_waitcnt vmcnt(0)
	v_lshl_add_u64 v[36:37], v[36:37], 0, v[40:41]
	global_load_dwordx2 v[36:37], v[36:37], off
	s_nop 0
	scratch_load_dwordx2 v[48:49], off, off offset:8 ; 8-byte Folded Reload
	s_waitcnt vmcnt(0)
	v_lshl_add_u64 v[112:113], v[48:49], 0, v[40:41]
	global_load_dwordx2 v[112:113], v[112:113], off
.LBB128_76:                             ;   in Loop: Header=BB128_3 Depth=1
	s_or_b64 exec, exec, s[38:39]
	s_waitcnt vmcnt(1)
	ds_bpermute_b32 v48, v46, v108
	ds_bpermute_b32 v49, v46, v109
	v_mul_f64 v[6:7], v[110:111], v[6:7]
	ds_bpermute_b32 v110, v46, v108 offset:4
	ds_bpermute_b32 v111, v46, v109 offset:4
	v_mul_f64 v[0:1], v[0:1], v[10:11]
	s_waitcnt lgkmcnt(2)
	v_fmac_f64_e32 v[106:107], v[6:7], v[48:49]
	v_mul_f64 v[6:7], v[50:51], v[8:9]
	ds_bpermute_b32 v8, v46, v108 offset:8
	ds_bpermute_b32 v9, v46, v109 offset:8
	s_waitcnt lgkmcnt(2)
	v_fmac_f64_e32 v[106:107], v[6:7], v[110:111]
	ds_bpermute_b32 v48, v46, v108 offset:12
	ds_bpermute_b32 v49, v46, v109 offset:12
	;; [unrolled: 1-line block ×3, first 2 shown]
	s_waitcnt lgkmcnt(3)
	v_fmac_f64_e32 v[106:107], v[0:1], v[8:9]
	scratch_load_dwordx2 v[0:1], off, off offset:40 ; 8-byte Folded Reload
	ds_bpermute_b32 v8, v46, v108 offset:20
	ds_bpermute_b32 v9, v46, v109 offset:20
	;; [unrolled: 1-line block ×3, first 2 shown]
	s_waitcnt vmcnt(1)
	v_mul_f64 v[6:7], v[114:115], v[14:15]
	s_waitcnt vmcnt(0)
	v_mul_f64 v[0:1], v[0:1], v[12:13]
	s_waitcnt lgkmcnt(4)
	v_fmac_f64_e32 v[106:107], v[0:1], v[48:49]
	ds_bpermute_b32 v0, v46, v108 offset:16
	ds_bpermute_b32 v1, v46, v109 offset:16
	s_waitcnt lgkmcnt(0)
	v_fmac_f64_e32 v[106:107], v[6:7], v[0:1]
	v_mul_f64 v[0:1], v[118:119], v[16:17]
	v_fmac_f64_e32 v[106:107], v[0:1], v[8:9]
	v_mul_f64 v[0:1], v[116:117], v[18:19]
	v_fmac_f64_e32 v[106:107], v[0:1], v[10:11]
	ds_bpermute_b32 v0, v46, v108 offset:28
	ds_bpermute_b32 v1, v46, v109 offset:28
	;; [unrolled: 1-line block ×6, first 2 shown]
	v_mul_f64 v[6:7], v[122:123], v[20:21]
	s_waitcnt lgkmcnt(4)
	v_fmac_f64_e32 v[106:107], v[6:7], v[0:1]
	v_mul_f64 v[0:1], v[120:121], v[22:23]
	s_waitcnt lgkmcnt(2)
	v_fmac_f64_e32 v[106:107], v[0:1], v[8:9]
	;; [unrolled: 3-line block ×3, first 2 shown]
	ds_bpermute_b32 v0, v46, v108 offset:40
	ds_bpermute_b32 v1, v46, v109 offset:40
	;; [unrolled: 1-line block ×6, first 2 shown]
	v_mul_f64 v[6:7], v[42:43], v[26:27]
	s_waitcnt lgkmcnt(4)
	v_fmac_f64_e32 v[106:107], v[6:7], v[0:1]
	v_mul_f64 v[0:1], v[2:3], v[28:29]
	s_waitcnt lgkmcnt(2)
	v_fmac_f64_e32 v[106:107], v[0:1], v[8:9]
	v_mul_f64 v[0:1], v[126:127], v[30:31]
	s_waitcnt lgkmcnt(0)
	v_fmac_f64_e32 v[106:107], v[0:1], v[10:11]
	ds_bpermute_b32 v0, v46, v108 offset:52
	ds_bpermute_b32 v1, v46, v109 offset:52
	;; [unrolled: 1-line block ×4, first 2 shown]
	v_mul_f64 v[2:3], v[38:39], v[32:33]
	ds_bpermute_b32 v6, v46, v108 offset:60
	s_waitcnt lgkmcnt(3)
	v_fmac_f64_e32 v[106:107], v[2:3], v[0:1]
	v_mul_f64 v[0:1], v[44:45], v[34:35]
	s_waitcnt lgkmcnt(1)
	v_fmac_f64_e32 v[106:107], v[0:1], v[8:9]
	ds_bpermute_b32 v7, v46, v109 offset:60
	v_mov_b64_e32 v[2:3], v[106:107]
.LBB128_77:                             ;   in Loop: Header=BB128_3 Depth=1
	v_mul_f64 v[0:1], v[112:113], v[36:37]
	s_waitcnt lgkmcnt(0)
	v_fmac_f64_e32 v[2:3], v[0:1], v[6:7]
	scratch_load_dwordx2 v[0:1], off, off   ; 8-byte Folded Reload
	s_add_u32 s92, s92, s3
	s_addc_u32 s93, s93, 0
	s_add_u32 s24, s24, s3
	v_lshl_add_u64 v[52:53], v[52:53], 0, s[22:23]
	v_lshl_add_u64 v[54:55], v[54:55], 0, s[22:23]
	;; [unrolled: 1-line block ×25, first 2 shown]
	s_addc_u32 s25, s25, 0
	v_lshl_add_u64 v[102:103], v[102:103], 0, s[22:23]
	v_lshl_add_u64 v[104:105], v[104:105], 0, s[22:23]
	s_waitcnt vmcnt(0)
	v_lshl_add_u64 v[0:1], v[0:1], 0, s[22:23]
	scratch_store_dwordx2 off, v[0:1], off  ; 8-byte Folded Spill
	scratch_load_dwordx2 v[0:1], off, off offset:8 ; 8-byte Folded Reload
	s_waitcnt vmcnt(0)
	v_lshl_add_u64 v[0:1], v[0:1], 0, s[22:23]
	scratch_store_dwordx2 off, v[0:1], off offset:8 ; 8-byte Folded Spill
	scratch_load_dwordx2 v[0:1], off, off offset:16 ; 8-byte Folded Reload
	s_waitcnt vmcnt(0)
	v_lshl_add_u64 v[0:1], v[0:1], 0, s[22:23]
	scratch_store_dwordx2 off, v[0:1], off offset:16 ; 8-byte Folded Spill
	scratch_load_dwordx2 v[0:1], off, off offset:24 ; 8-byte Folded Reload
	s_waitcnt vmcnt(0)
	v_lshl_add_u64 v[0:1], v[0:1], 0, s[22:23]
	scratch_store_dwordx2 off, v[0:1], off offset:24 ; 8-byte Folded Spill
	scratch_load_dwordx2 v[0:1], off, off offset:32 ; 8-byte Folded Reload
	s_waitcnt vmcnt(0)
	v_lshl_add_u64 v[0:1], v[0:1], 0, s[22:23]
	scratch_store_dwordx2 off, v[0:1], off offset:32 ; 8-byte Folded Spill
	v_mov_b64_e32 v[0:1], s[8:9]
	v_cmp_lt_i64_e32 vcc, s[92:93], v[0:1]
	s_cbranch_vccz .LBB128_82
; %bb.78:                               ;   in Loop: Header=BB128_3 Depth=1
	v_mov_b64_e32 v[106:107], v[2:3]
	s_branch .LBB128_3
.LBB128_79:                             ;   in Loop: Header=BB128_3 Depth=1
	scratch_load_dwordx2 v[32:33], off, off offset:32 ; 8-byte Folded Reload
	v_lshl_add_u64 v[38:39], v[52:53], 0, v[40:41]
	global_load_dwordx2 v[38:39], v[38:39], off
	s_waitcnt vmcnt(1)
	v_lshl_add_u64 v[32:33], v[32:33], 0, v[40:41]
	global_load_dwordx2 v[32:33], v[32:33], off
	s_or_b64 exec, exec, s[38:39]
	s_and_saveexec_b64 s[38:39], s[6:7]
	s_cbranch_execz .LBB128_74
.LBB128_80:                             ;   in Loop: Header=BB128_3 Depth=1
	scratch_load_dwordx2 v[34:35], off, off offset:16 ; 8-byte Folded Reload
	s_waitcnt vmcnt(0)
	v_lshl_add_u64 v[34:35], v[34:35], 0, v[40:41]
	global_load_dwordx2 v[34:35], v[34:35], off
	s_nop 0
	scratch_load_dwordx2 v[44:45], off, off offset:24 ; 8-byte Folded Reload
	s_waitcnt vmcnt(0)
	v_lshl_add_u64 v[44:45], v[44:45], 0, v[40:41]
	global_load_dwordx2 v[44:45], v[44:45], off
	s_or_b64 exec, exec, s[38:39]
	v_mov_b64_e32 v[112:113], 0
	s_and_saveexec_b64 s[38:39], s[6:7]
	s_cbranch_execnz .LBB128_75
	s_branch .LBB128_76
.LBB128_81:
                                        ; implicit-def: $vgpr2_vgpr3
	s_branch .LBB128_83
.LBB128_82:
	s_cbranch_execnz .LBB128_132
.LBB128_83:
	s_and_b64 vcc, exec, s[4:5]
	v_mov_b64_e32 v[2:3], 0
	s_cbranch_vccnz .LBB128_132
; %bb.84:
	v_and_b32_e32 v0, 0x3ff, v47
	v_add_u32_e32 v4, s33, v0
	v_mov_b32_e32 v5, 0
	v_bfe_u32 v15, v47, 10, 10
	v_lshlrev_b64 v[38:39], 3, v[4:5]
	v_lshlrev_b32_e32 v4, 7, v15
	scratch_store_dword off, v0, off offset:304 ; 4-byte Folded Spill
	v_lshl_add_u64 v[0:1], s[18:19], 3, v[4:5]
	v_lshl_add_u64 v[6:7], v[0:1], 0, 8
	v_mov_b64_e32 v[2:3], s[12:13]
	v_mad_u64_u32 v[8:9], s[4:5], s10, v6, v[2:3]
	v_mul_lo_u32 v4, s10, v7
	v_mul_lo_u32 v7, s11, v6
	v_add3_u32 v9, v7, v9, v4
	v_lshl_add_u64 v[10:11], v[0:1], 0, 16
	scratch_store_dwordx2 off, v[8:9], off  ; 8-byte Folded Spill
	v_mad_u64_u32 v[8:9], s[4:5], s10, v10, v[2:3]
	v_mul_lo_u32 v11, s10, v11
	v_mul_lo_u32 v14, s11, v10
	v_add3_u32 v9, v14, v9, v11
	scratch_store_dwordx2 off, v[8:9], off offset:8 ; 8-byte Folded Spill
	v_mov_b64_e32 v[8:9], s[14:15]
	v_mad_u64_u32 v[18:19], s[4:5], s10, v6, v[8:9]
	v_lshl_add_u64 v[12:13], v[0:1], 0, 24
	v_add3_u32 v19, v7, v19, v4
	v_mad_u64_u32 v[6:7], s[4:5], s10, v10, v[8:9]
	v_mul_lo_u32 v13, s10, v13
	v_mul_lo_u32 v4, s11, v12
	v_add3_u32 v7, v14, v7, v11
	v_mad_u64_u32 v[10:11], s[4:5], s10, v12, v[8:9]
	v_mad_u64_u32 v[16:17], s[4:5], s10, v12, v[2:3]
	scratch_store_dwordx2 off, v[6:7], off offset:32 ; 8-byte Folded Spill
	v_lshl_add_u64 v[6:7], v[0:1], 0, 32
	v_add3_u32 v11, v4, v11, v13
	v_add3_u32 v17, v4, v17, v13
	scratch_store_dwordx2 off, v[10:11], off offset:40 ; 8-byte Folded Spill
	v_mad_u64_u32 v[10:11], s[4:5], s10, v6, v[2:3]
	v_mul_lo_u32 v4, s10, v7
	v_mul_lo_u32 v7, s11, v6
	v_add3_u32 v11, v7, v11, v4
	scratch_store_dwordx2 off, v[10:11], off offset:48 ; 8-byte Folded Spill
	v_mad_u64_u32 v[10:11], s[4:5], s10, v6, v[8:9]
	v_add3_u32 v11, v7, v11, v4
	v_lshl_add_u64 v[6:7], v[0:1], 0, 40
	scratch_store_dwordx2 off, v[10:11], off offset:56 ; 8-byte Folded Spill
	v_mul_lo_u32 v4, s10, v7
	v_mul_lo_u32 v7, s11, v6
	v_mad_u64_u32 v[10:11], s[4:5], s10, v6, v[2:3]
	v_add3_u32 v11, v7, v11, v4
	scratch_store_dwordx2 off, v[10:11], off offset:64 ; 8-byte Folded Spill
	v_mad_u64_u32 v[10:11], s[4:5], s10, v6, v[8:9]
	v_add3_u32 v11, v7, v11, v4
	v_lshl_add_u64 v[6:7], v[0:1], 0, 48
	scratch_store_dwordx2 off, v[10:11], off offset:72 ; 8-byte Folded Spill
	v_mul_lo_u32 v4, s10, v7
	v_mul_lo_u32 v7, s11, v6
	v_mad_u64_u32 v[10:11], s[4:5], s10, v6, v[2:3]
	;; [unrolled: 9-line block ×4, first 2 shown]
	v_add3_u32 v11, v7, v11, v4
	scratch_store_dwordx2 off, v[10:11], off offset:112 ; 8-byte Folded Spill
	v_mad_u64_u32 v[10:11], s[4:5], s10, v6, v[8:9]
	s_mov_b64 s[4:5], 0x48
	v_add3_u32 v11, v7, v11, v4
	v_lshl_add_u64 v[6:7], v[0:1], 0, s[4:5]
	scratch_store_dwordx2 off, v[10:11], off offset:120 ; 8-byte Folded Spill
	v_mul_lo_u32 v4, s10, v7
	v_mul_lo_u32 v7, s11, v6
	v_mad_u64_u32 v[10:11], s[4:5], s10, v6, v[2:3]
	v_add3_u32 v11, v7, v11, v4
	scratch_store_dwordx2 off, v[10:11], off offset:128 ; 8-byte Folded Spill
	v_mad_u64_u32 v[10:11], s[4:5], s10, v6, v[8:9]
	s_mov_b64 s[4:5], 0x50
	v_add3_u32 v11, v7, v11, v4
	v_lshl_add_u64 v[6:7], v[0:1], 0, s[4:5]
	scratch_store_dwordx2 off, v[10:11], off offset:136 ; 8-byte Folded Spill
	v_mul_lo_u32 v4, s10, v7
	v_mul_lo_u32 v7, s11, v6
	v_mad_u64_u32 v[10:11], s[4:5], s10, v6, v[2:3]
	;; [unrolled: 10-line block ×6, first 2 shown]
	v_add3_u32 v11, v7, v11, v4
	scratch_store_dwordx2 off, v[10:11], off offset:208 ; 8-byte Folded Spill
	v_mad_u64_u32 v[10:11], s[4:5], s10, v6, v[8:9]
	s_mov_b64 s[4:5], 0x78
	s_nop 0
	v_lshl_add_u64 v[0:1], v[0:1], 0, s[4:5]
	v_add3_u32 v11, v7, v11, v4
	v_mad_u64_u32 v[2:3], s[4:5], s10, v0, v[2:3]
	v_mad_u64_u32 v[6:7], s[4:5], s10, v0, v[8:9]
	v_mul_lo_u32 v1, s10, v1
	v_mul_lo_u32 v0, s11, v0
	v_add3_u32 v3, v0, v3, v1
	v_add3_u32 v7, v0, v7, v1
	v_lshlrev_b32_e32 v0, 4, v15
	v_mov_b32_e32 v1, v5
	scratch_store_dwordx2 off, v[6:7], off offset:232 ; 8-byte Folded Spill
	v_lshl_add_u64 v[6:7], v[0:1], 0, s[18:19]
	scratch_store_dwordx2 off, v[0:1], off offset:308 ; 8-byte Folded Spill
	v_lshl_add_u64 v[0:1], v[6:7], 0, 15
	scratch_store_dwordx2 off, v[2:3], off offset:224 ; 8-byte Folded Spill
	v_mul_lo_u32 v2, s11, v0
	v_mul_lo_u32 v3, s10, v1
	v_mad_u64_u32 v[0:1], s[4:5], s10, v0, 0
	v_add3_u32 v1, v1, v3, v2
	v_lshl_add_u64 v[2:3], v[6:7], 0, 14
	v_mul_lo_u32 v4, s11, v2
	v_mul_lo_u32 v8, s10, v3
	v_mad_u64_u32 v[2:3], s[4:5], s10, v2, 0
	v_add3_u32 v3, v3, v8, v4
	v_lshl_add_u64 v[8:9], v[6:7], 0, 13
	scratch_store_dwordx2 off, v[10:11], off offset:216 ; 8-byte Folded Spill
	v_mul_lo_u32 v4, s11, v8
	v_mul_lo_u32 v10, s10, v9
	v_mad_u64_u32 v[8:9], s[4:5], s10, v8, 0
	v_add3_u32 v9, v9, v10, v4
	v_lshl_add_u64 v[10:11], v[6:7], 0, 12
	v_mul_lo_u32 v4, s11, v10
	v_mul_lo_u32 v12, s10, v11
	v_mad_u64_u32 v[10:11], s[4:5], s10, v10, 0
	v_add3_u32 v11, v11, v12, v4
	v_lshl_add_u64 v[12:13], v[6:7], 0, 11
	v_mul_lo_u32 v4, s11, v12
	v_mul_lo_u32 v14, s10, v13
	v_mad_u64_u32 v[12:13], s[4:5], s10, v12, 0
	v_mov_b32_e32 v107, v15
	v_add3_u32 v13, v13, v14, v4
	v_lshl_add_u64 v[14:15], v[6:7], 0, 10
	scratch_store_dwordx2 off, v[16:17], off offset:16 ; 8-byte Folded Spill
	v_mul_lo_u32 v4, s11, v14
	v_mul_lo_u32 v16, s10, v15
	v_mad_u64_u32 v[14:15], s[4:5], s10, v14, 0
	v_add3_u32 v15, v15, v16, v4
	v_lshl_add_u64 v[16:17], v[6:7], 0, 9
	scratch_store_dwordx2 off, v[18:19], off offset:24 ; 8-byte Folded Spill
	v_mul_lo_u32 v4, s11, v16
	v_mul_lo_u32 v18, s10, v17
	v_mad_u64_u32 v[16:17], s[4:5], s10, v16, 0
	v_add3_u32 v17, v17, v18, v4
	v_lshl_add_u64 v[18:19], v[6:7], 0, 8
	v_mul_lo_u32 v4, s11, v18
	v_mul_lo_u32 v20, s10, v19
	v_mad_u64_u32 v[18:19], s[4:5], s10, v18, 0
	v_add3_u32 v19, v19, v20, v4
	v_lshl_add_u64 v[20:21], v[6:7], 0, 7
	;; [unrolled: 5-line block ×7, first 2 shown]
	v_mul_lo_u32 v4, s11, v30
	v_mul_lo_u32 v32, s10, v31
	v_mad_u64_u32 v[30:31], s[4:5], s10, v30, 0
	v_add3_u32 v31, v31, v32, v4
	v_mov_b64_e32 v[32:33], s[10:11]
	v_mad_u64_u32 v[32:33], s[4:5], s10, v6, v[32:33]
	v_mul_lo_u32 v4, s11, v6
	v_mul_lo_u32 v34, s10, v7
	v_mad_u64_u32 v[6:7], s[4:5], s10, v6, 0
	v_add3_u32 v7, v7, v34, v4
	v_lshlrev_b64 v[6:7], 3, v[6:7]
	v_lshlrev_b64 v[0:1], 3, v[0:1]
	v_lshl_add_u64 v[102:103], s[12:13], 0, v[6:7]
	v_lshl_add_u64 v[104:105], s[14:15], 0, v[6:7]
	;; [unrolled: 1-line block ×4, first 2 shown]
	scratch_store_dwordx2 off, v[0:1], off offset:248 ; 8-byte Folded Spill
	v_lshlrev_b64 v[0:1], 3, v[2:3]
	v_lshl_add_u64 v[2:3], s[12:13], 0, v[0:1]
	v_lshl_add_u64 v[0:1], s[14:15], 0, v[0:1]
	scratch_store_dwordx2 off, v[0:1], off offset:264 ; 8-byte Folded Spill
	v_lshlrev_b64 v[0:1], 3, v[8:9]
	v_lshl_add_u64 v[114:115], s[12:13], 0, v[0:1]
	v_lshl_add_u64 v[116:117], s[14:15], 0, v[0:1]
	v_lshlrev_b64 v[0:1], 3, v[10:11]
	v_lshl_add_u64 v[118:119], s[12:13], 0, v[0:1]
	v_lshl_add_u64 v[120:121], s[14:15], 0, v[0:1]
	v_lshlrev_b64 v[0:1], 3, v[12:13]
	scratch_store_dwordx2 off, v[2:3], off offset:256 ; 8-byte Folded Spill
	v_lshl_add_u64 v[122:123], s[12:13], 0, v[0:1]
	v_lshl_add_u64 v[124:125], s[14:15], 0, v[0:1]
	v_lshlrev_b64 v[0:1], 3, v[14:15]
	v_lshlrev_b64 v[2:3], 3, v[16:17]
	v_lshl_add_u64 v[126:127], s[12:13], 0, v[0:1]
	v_lshl_add_u64 v[100:101], s[14:15], 0, v[0:1]
	;; [unrolled: 1-line block ×4, first 2 shown]
	v_lshlrev_b64 v[2:3], 3, v[18:19]
	v_lshl_add_u64 v[42:43], s[12:13], 0, v[2:3]
	v_lshl_add_u64 v[44:45], s[14:15], 0, v[2:3]
	v_lshlrev_b64 v[2:3], 3, v[20:21]
	scratch_store_dword off, v47, off offset:316 ; 4-byte Folded Spill
	v_lshl_add_u64 v[46:47], s[12:13], 0, v[2:3]
	v_lshl_add_u64 v[48:49], s[14:15], 0, v[2:3]
	v_lshlrev_b64 v[2:3], 3, v[22:23]
	s_load_dword s3, s[0:1], 0x44
	v_lshl_add_u64 v[50:51], s[12:13], 0, v[2:3]
	v_lshl_add_u64 v[52:53], s[14:15], 0, v[2:3]
	v_lshlrev_b64 v[2:3], 3, v[24:25]
	v_lshl_add_u64 v[54:55], s[12:13], 0, v[2:3]
	v_lshl_add_u64 v[56:57], s[14:15], 0, v[2:3]
	v_lshlrev_b64 v[2:3], 3, v[26:27]
	;; [unrolled: 3-line block ×3, first 2 shown]
	v_add3_u32 v33, v4, v33, v34
	v_lshl_add_u64 v[62:63], s[12:13], 0, v[2:3]
	v_lshl_add_u64 v[64:65], s[14:15], 0, v[2:3]
	v_lshlrev_b64 v[2:3], 3, v[30:31]
	s_add_u32 s4, s0, 64
	v_lshl_add_u64 v[66:67], s[12:13], 0, v[2:3]
	v_lshl_add_u64 v[68:69], s[14:15], 0, v[2:3]
	v_lshlrev_b64 v[2:3], 3, v[32:33]
	s_addc_u32 s5, s1, 0
	s_waitcnt lgkmcnt(0)
	s_lshl_b32 s3, s3, 8
	v_lshl_add_u64 v[70:71], s[12:13], 0, v[2:3]
	v_lshl_add_u64 v[72:73], s[14:15], 0, v[2:3]
	v_mbcnt_lo_u32_b32 v2, -1, 0
	s_add_u32 s6, s18, 0xff
	s_mul_i32 s20, s11, s3
	s_mul_hi_u32 s21, s10, s3
	v_mbcnt_hi_u32_b32 v2, -1, v2
	s_addc_u32 s7, 0, 0
	s_add_i32 s21, s21, s20
	s_mul_i32 s20, s10, s3
	s_movk_i32 s12, 0xff01
	s_movk_i32 s14, 0xff02
	;; [unrolled: 1-line block ×16, first 2 shown]
	v_lshlrev_b32_e32 v2, 2, v2
	s_mov_b32 s36, 0
	s_lshl_b64 s[20:21], s[20:21], 3
	s_mov_b32 s13, -1
	s_mov_b32 s15, -1
	;; [unrolled: 1-line block ×16, first 2 shown]
	v_and_b32_e32 v106, 0x100, v2
	v_mov_b64_e32 v[74:75], 0
	scratch_store_dwordx2 off, v[6:7], off offset:240 ; 8-byte Folded Spill
.LBB128_85:                             ; =>This Inner Loop Header: Depth=1
	v_mov_b64_e32 v[2:3], s[8:9]
	v_cmp_ge_i64_e32 vcc, s[6:7], v[2:3]
	scratch_load_dwordx2 v[2:3], off, off offset:308 ; 8-byte Folded Reload
	s_waitcnt vmcnt(0)
	v_lshl_add_u64 v[76:77], v[2:3], 0, s[6:7]
	s_cbranch_vccz .LBB128_123
; %bb.86:                               ;   in Loop: Header=BB128_85 Depth=1
	scratch_load_dword v2, off, off offset:304 ; 4-byte Folded Reload
	s_load_dword s33, s[4:5], 0xc
	v_mov_b32_e32 v3, v107
	v_mov_b64_e32 v[78:79], 0
	scratch_store_dwordx2 off, v[78:79], off offset:272 ; 8-byte Folded Spill
	s_waitcnt lgkmcnt(0)
	s_and_b32 s33, s33, 0xffff
	s_waitcnt vmcnt(1)
	v_mad_u32_u24 v2, v3, s33, v2
	v_and_b32_e32 v4, 63, v2
	v_cmp_gt_u32_e32 vcc, 16, v4
	s_and_saveexec_b64 s[38:39], vcc
	s_cbranch_execz .LBB128_90
; %bb.87:                               ;   in Loop: Header=BB128_85 Depth=1
	v_lshl_add_u64 v[2:3], v[76:77], 0, v[4:5]
	v_lshl_add_u64 v[2:3], v[2:3], 0, s[12:13]
	v_cmp_gt_i64_e32 vcc, s[8:9], v[2:3]
	v_mov_b64_e32 v[78:79], 0
	s_and_saveexec_b64 s[40:41], vcc
	s_cbranch_execz .LBB128_89
; %bb.88:                               ;   in Loop: Header=BB128_85 Depth=1
	v_lshl_add_u64 v[2:3], v[2:3], 3, s[16:17]
	global_load_dwordx2 v[78:79], v[2:3], off
.LBB128_89:                             ;   in Loop: Header=BB128_85 Depth=1
	s_or_b64 exec, exec, s[40:41]
.LBB128_90:                             ;   in Loop: Header=BB128_85 Depth=1
	s_or_b64 exec, exec, s[38:39]
	s_mov_b32 s37, s36
	v_lshl_add_u64 v[2:3], v[76:77], 0, s[12:13]
	s_mov_b32 s38, s36
	s_mov_b32 s39, s36
	;; [unrolled: 1-line block ×30, first 2 shown]
	v_mov_b64_e32 v[6:7], s[36:37]
	v_cmp_gt_i64_e32 vcc, s[8:9], v[2:3]
	v_mov_b64_e32 v[8:9], s[38:39]
	v_mov_b64_e32 v[10:11], s[40:41]
	;; [unrolled: 1-line block ×15, first 2 shown]
	s_and_saveexec_b64 s[38:39], vcc
	s_cbranch_execz .LBB128_92
; %bb.91:                               ;   in Loop: Header=BB128_85 Depth=1
	v_lshl_add_u64 v[6:7], v[104:105], 0, v[38:39]
	global_load_dwordx2 v[6:7], v[6:7], off
	v_lshl_add_u64 v[2:3], v[102:103], 0, v[38:39]
	global_load_dwordx2 v[2:3], v[2:3], off
	v_mov_b32_e32 v8, v5
	v_mov_b32_e32 v9, v5
	;; [unrolled: 1-line block ×27, first 2 shown]
	s_waitcnt vmcnt(1)
	scratch_store_dwordx2 off, v[6:7], off offset:272 ; 8-byte Folded Spill
	v_mov_b32_e32 v6, v5
	v_mov_b32_e32 v7, v5
	s_waitcnt vmcnt(1)
	v_mov_b64_e32 v[36:37], v[32:33]
	v_mov_b64_e32 v[34:35], v[30:31]
	;; [unrolled: 1-line block ×16, first 2 shown]
.LBB128_92:                             ;   in Loop: Header=BB128_85 Depth=1
	s_or_b64 exec, exec, s[38:39]
	v_lshl_add_u64 v[2:3], v[76:77], 0, s[14:15]
	v_mov_b64_e32 v[80:81], 0
	v_cmp_gt_i64_e32 vcc, s[8:9], v[2:3]
	v_mov_b64_e32 v[98:99], v[80:81]
	s_and_saveexec_b64 s[38:39], vcc
	s_cbranch_execz .LBB128_94
; %bb.93:                               ;   in Loop: Header=BB128_85 Depth=1
	v_lshl_add_u64 v[2:3], v[70:71], 0, v[38:39]
	global_load_dwordx2 v[8:9], v[2:3], off
	v_lshl_add_u64 v[2:3], v[72:73], 0, v[38:39]
	global_load_dwordx2 v[98:99], v[2:3], off
.LBB128_94:                             ;   in Loop: Header=BB128_85 Depth=1
	s_or_b64 exec, exec, s[38:39]
	v_lshl_add_u64 v[2:3], v[76:77], 0, s[22:23]
	v_cmp_gt_i64_e32 vcc, s[8:9], v[2:3]
	s_and_saveexec_b64 s[38:39], vcc
	s_cbranch_execz .LBB128_96
; %bb.95:                               ;   in Loop: Header=BB128_85 Depth=1
	v_lshl_add_u64 v[2:3], v[66:67], 0, v[38:39]
	global_load_dwordx2 v[10:11], v[2:3], off
	v_lshl_add_u64 v[2:3], v[68:69], 0, v[38:39]
	global_load_dwordx2 v[80:81], v[2:3], off
.LBB128_96:                             ;   in Loop: Header=BB128_85 Depth=1
	s_or_b64 exec, exec, s[38:39]
	v_lshl_add_u64 v[2:3], v[76:77], 0, s[24:25]
	v_mov_b64_e32 v[82:83], 0
	v_cmp_gt_i64_e32 vcc, s[8:9], v[2:3]
	v_mov_b64_e32 v[112:113], v[82:83]
	s_and_saveexec_b64 s[38:39], vcc
	s_cbranch_execz .LBB128_98
; %bb.97:                               ;   in Loop: Header=BB128_85 Depth=1
	v_lshl_add_u64 v[2:3], v[62:63], 0, v[38:39]
	global_load_dwordx2 v[12:13], v[2:3], off
	v_lshl_add_u64 v[2:3], v[64:65], 0, v[38:39]
	global_load_dwordx2 v[112:113], v[2:3], off
.LBB128_98:                             ;   in Loop: Header=BB128_85 Depth=1
	s_or_b64 exec, exec, s[38:39]
	v_lshl_add_u64 v[2:3], v[76:77], 0, s[26:27]
	v_cmp_gt_i64_e32 vcc, s[8:9], v[2:3]
	s_and_saveexec_b64 s[38:39], vcc
	s_cbranch_execz .LBB128_100
; %bb.99:                               ;   in Loop: Header=BB128_85 Depth=1
	v_lshl_add_u64 v[2:3], v[58:59], 0, v[38:39]
	global_load_dwordx2 v[14:15], v[2:3], off
	v_lshl_add_u64 v[2:3], v[60:61], 0, v[38:39]
	global_load_dwordx2 v[82:83], v[2:3], off
.LBB128_100:                            ;   in Loop: Header=BB128_85 Depth=1
	s_or_b64 exec, exec, s[38:39]
	v_lshl_add_u64 v[2:3], v[76:77], 0, s[28:29]
	v_cmp_gt_i64_e32 vcc, s[8:9], v[2:3]
	v_mov_b64_e32 v[84:85], 0
	scratch_store_dwordx2 off, v[84:85], off offset:280 ; 8-byte Folded Spill
	s_and_saveexec_b64 s[38:39], vcc
	s_cbranch_execz .LBB128_102
; %bb.101:                              ;   in Loop: Header=BB128_85 Depth=1
	v_lshl_add_u64 v[2:3], v[54:55], 0, v[38:39]
	global_load_dwordx2 v[16:17], v[2:3], off
	v_lshl_add_u64 v[2:3], v[56:57], 0, v[38:39]
	global_load_dwordx2 v[2:3], v[2:3], off
	s_waitcnt vmcnt(0)
	scratch_store_dwordx2 off, v[2:3], off offset:280 ; 8-byte Folded Spill
.LBB128_102:                            ;   in Loop: Header=BB128_85 Depth=1
	s_or_b64 exec, exec, s[38:39]
	v_lshl_add_u64 v[2:3], v[76:77], 0, s[30:31]
	v_cmp_gt_i64_e32 vcc, s[8:9], v[2:3]
	s_and_saveexec_b64 s[38:39], vcc
	s_cbranch_execz .LBB128_104
; %bb.103:                              ;   in Loop: Header=BB128_85 Depth=1
	v_lshl_add_u64 v[2:3], v[50:51], 0, v[38:39]
	global_load_dwordx2 v[18:19], v[2:3], off
	v_lshl_add_u64 v[2:3], v[52:53], 0, v[38:39]
	global_load_dwordx2 v[84:85], v[2:3], off
.LBB128_104:                            ;   in Loop: Header=BB128_85 Depth=1
	s_or_b64 exec, exec, s[38:39]
	v_lshl_add_u64 v[2:3], v[76:77], 0, s[34:35]
	v_cmp_gt_i64_e32 vcc, s[8:9], v[2:3]
	v_mov_b64_e32 v[86:87], 0
	scratch_store_dwordx2 off, v[86:87], off offset:288 ; 8-byte Folded Spill
	s_and_saveexec_b64 s[38:39], vcc
	s_cbranch_execz .LBB128_106
; %bb.105:                              ;   in Loop: Header=BB128_85 Depth=1
	v_lshl_add_u64 v[2:3], v[46:47], 0, v[38:39]
	global_load_dwordx2 v[20:21], v[2:3], off
	v_lshl_add_u64 v[2:3], v[48:49], 0, v[38:39]
	global_load_dwordx2 v[2:3], v[2:3], off
	s_waitcnt vmcnt(0)
	scratch_store_dwordx2 off, v[2:3], off offset:288 ; 8-byte Folded Spill
.LBB128_106:                            ;   in Loop: Header=BB128_85 Depth=1
	s_or_b64 exec, exec, s[38:39]
	v_lshl_add_u64 v[2:3], v[76:77], 0, s[68:69]
	v_cmp_gt_i64_e32 vcc, s[8:9], v[2:3]
	s_and_saveexec_b64 s[38:39], vcc
	s_cbranch_execz .LBB128_108
; %bb.107:                              ;   in Loop: Header=BB128_85 Depth=1
	v_lshl_add_u64 v[2:3], v[42:43], 0, v[38:39]
	global_load_dwordx2 v[22:23], v[2:3], off
	v_lshl_add_u64 v[2:3], v[44:45], 0, v[38:39]
	global_load_dwordx2 v[86:87], v[2:3], off
.LBB128_108:                            ;   in Loop: Header=BB128_85 Depth=1
	;; [unrolled: 26-line block ×3, first 2 shown]
	s_or_b64 exec, exec, s[38:39]
	v_lshl_add_u64 v[2:3], v[76:77], 0, s[74:75]
	v_mov_b64_e32 v[90:91], 0
	v_cmp_gt_i64_e32 vcc, s[8:9], v[2:3]
	v_mov_b64_e32 v[92:93], v[90:91]
	s_and_saveexec_b64 s[38:39], vcc
	s_cbranch_execz .LBB128_114
; %bb.113:                              ;   in Loop: Header=BB128_85 Depth=1
	v_lshl_add_u64 v[2:3], v[122:123], 0, v[38:39]
	global_load_dwordx2 v[28:29], v[2:3], off
	v_lshl_add_u64 v[2:3], v[124:125], 0, v[38:39]
	global_load_dwordx2 v[92:93], v[2:3], off
.LBB128_114:                            ;   in Loop: Header=BB128_85 Depth=1
	s_or_b64 exec, exec, s[38:39]
	v_lshl_add_u64 v[2:3], v[76:77], 0, s[76:77]
	v_cmp_gt_i64_e32 vcc, s[8:9], v[2:3]
	s_and_saveexec_b64 s[38:39], vcc
	s_cbranch_execz .LBB128_116
; %bb.115:                              ;   in Loop: Header=BB128_85 Depth=1
	v_lshl_add_u64 v[2:3], v[118:119], 0, v[38:39]
	global_load_dwordx2 v[30:31], v[2:3], off
	v_lshl_add_u64 v[2:3], v[120:121], 0, v[38:39]
	global_load_dwordx2 v[90:91], v[2:3], off
.LBB128_116:                            ;   in Loop: Header=BB128_85 Depth=1
	s_or_b64 exec, exec, s[38:39]
	v_lshl_add_u64 v[2:3], v[76:77], 0, s[78:79]
	v_mov_b64_e32 v[94:95], 0
	v_cmp_gt_i64_e32 vcc, s[8:9], v[2:3]
	v_mov_b64_e32 v[96:97], v[94:95]
	s_and_saveexec_b64 s[38:39], vcc
	s_cbranch_execz .LBB128_118
; %bb.117:                              ;   in Loop: Header=BB128_85 Depth=1
	v_lshl_add_u64 v[2:3], v[114:115], 0, v[38:39]
	global_load_dwordx2 v[32:33], v[2:3], off
	v_lshl_add_u64 v[2:3], v[116:117], 0, v[38:39]
	global_load_dwordx2 v[96:97], v[2:3], off
.LBB128_118:                            ;   in Loop: Header=BB128_85 Depth=1
	s_or_b64 exec, exec, s[38:39]
	v_lshl_add_u64 v[2:3], v[76:77], 0, s[80:81]
	v_cmp_gt_i64_e32 vcc, s[8:9], v[2:3]
	s_and_saveexec_b64 s[38:39], vcc
	s_cbranch_execz .LBB128_120
; %bb.119:                              ;   in Loop: Header=BB128_85 Depth=1
	scratch_load_dwordx2 v[2:3], off, off offset:256 ; 8-byte Folded Reload
	s_waitcnt vmcnt(0)
	v_lshl_add_u64 v[2:3], v[2:3], 0, v[38:39]
	global_load_dwordx2 v[34:35], v[2:3], off
	s_nop 0
	scratch_load_dwordx2 v[2:3], off, off offset:264 ; 8-byte Folded Reload
	s_waitcnt vmcnt(0)
	v_lshl_add_u64 v[2:3], v[2:3], 0, v[38:39]
	global_load_dwordx2 v[94:95], v[2:3], off
.LBB128_120:                            ;   in Loop: Header=BB128_85 Depth=1
	s_or_b64 exec, exec, s[38:39]
	v_lshl_add_u64 v[2:3], v[76:77], 0, s[82:83]
	v_cmp_gt_i64_e32 vcc, s[8:9], v[2:3]
	v_mov_b64_e32 v[110:111], 0
	s_and_saveexec_b64 s[38:39], vcc
	s_cbranch_execz .LBB128_122
; %bb.121:                              ;   in Loop: Header=BB128_85 Depth=1
	scratch_load_dwordx2 v[2:3], off, off offset:240 ; 8-byte Folded Reload
	s_waitcnt vmcnt(0)
	v_lshl_add_u64 v[2:3], v[2:3], 0, v[38:39]
	global_load_dwordx2 v[36:37], v[2:3], off
	s_nop 0
	scratch_load_dwordx2 v[2:3], off, off offset:248 ; 8-byte Folded Reload
	s_waitcnt vmcnt(0)
	v_lshl_add_u64 v[2:3], v[2:3], 0, v[38:39]
	global_load_dwordx2 v[110:111], v[2:3], off
.LBB128_122:                            ;   in Loop: Header=BB128_85 Depth=1
	s_or_b64 exec, exec, s[38:39]
	scratch_load_dwordx2 v[108:109], off, off offset:272 ; 8-byte Folded Reload
	s_waitcnt vmcnt(4)
	ds_bpermute_b32 v2, v106, v78
	ds_bpermute_b32 v3, v106, v79
	v_mul_f64 v[8:9], v[98:99], v[8:9]
	s_waitcnt vmcnt(0)
	v_mul_f64 v[6:7], v[108:109], v[6:7]
	s_waitcnt lgkmcnt(0)
	v_fma_f64 v[2:3], v[6:7], v[2:3], v[74:75]
	ds_bpermute_b32 v6, v106, v78 offset:4
	ds_bpermute_b32 v7, v106, v79 offset:4
	s_waitcnt lgkmcnt(0)
	v_fmac_f64_e32 v[2:3], v[8:9], v[6:7]
	ds_bpermute_b32 v6, v106, v78 offset:8
	ds_bpermute_b32 v7, v106, v79 offset:8
	v_mul_f64 v[8:9], v[80:81], v[10:11]
	s_waitcnt lgkmcnt(0)
	v_fmac_f64_e32 v[2:3], v[8:9], v[6:7]
	ds_bpermute_b32 v6, v106, v78 offset:12
	ds_bpermute_b32 v7, v106, v79 offset:12
	v_mul_f64 v[8:9], v[112:113], v[12:13]
	;; [unrolled: 5-line block ×3, first 2 shown]
	s_waitcnt lgkmcnt(0)
	v_fmac_f64_e32 v[2:3], v[8:9], v[6:7]
	scratch_load_dwordx2 v[8:9], off, off offset:280 ; 8-byte Folded Reload
	ds_bpermute_b32 v6, v106, v78 offset:20
	ds_bpermute_b32 v7, v106, v79 offset:20
	s_waitcnt vmcnt(0)
	v_mul_f64 v[8:9], v[8:9], v[16:17]
	s_waitcnt lgkmcnt(0)
	v_fmac_f64_e32 v[2:3], v[8:9], v[6:7]
	ds_bpermute_b32 v6, v106, v78 offset:24
	ds_bpermute_b32 v7, v106, v79 offset:24
	v_mul_f64 v[8:9], v[84:85], v[18:19]
	s_waitcnt lgkmcnt(0)
	v_fmac_f64_e32 v[2:3], v[8:9], v[6:7]
	scratch_load_dwordx2 v[8:9], off, off offset:288 ; 8-byte Folded Reload
	ds_bpermute_b32 v6, v106, v78 offset:28
	ds_bpermute_b32 v7, v106, v79 offset:28
	s_waitcnt vmcnt(0)
	v_mul_f64 v[8:9], v[8:9], v[20:21]
	s_waitcnt lgkmcnt(0)
	v_fmac_f64_e32 v[2:3], v[8:9], v[6:7]
	ds_bpermute_b32 v6, v106, v78 offset:32
	ds_bpermute_b32 v7, v106, v79 offset:32
	v_mul_f64 v[8:9], v[86:87], v[22:23]
	;; [unrolled: 12-line block ×3, first 2 shown]
	s_waitcnt lgkmcnt(0)
	v_fmac_f64_e32 v[2:3], v[8:9], v[6:7]
	ds_bpermute_b32 v6, v106, v78 offset:44
	ds_bpermute_b32 v7, v106, v79 offset:44
	v_mul_f64 v[8:9], v[92:93], v[28:29]
	s_waitcnt lgkmcnt(0)
	v_fmac_f64_e32 v[2:3], v[8:9], v[6:7]
	ds_bpermute_b32 v6, v106, v78 offset:48
	ds_bpermute_b32 v7, v106, v79 offset:48
	v_mul_f64 v[8:9], v[90:91], v[30:31]
	;; [unrolled: 5-line block ×5, first 2 shown]
	s_waitcnt lgkmcnt(0)
	v_fmac_f64_e32 v[2:3], v[8:9], v[6:7]
	s_branch .LBB128_129
.LBB128_123:                            ;   in Loop: Header=BB128_85 Depth=1
                                        ; implicit-def: $vgpr2_vgpr3
	s_cbranch_execz .LBB128_129
; %bb.124:                              ;   in Loop: Header=BB128_85 Depth=1
	s_load_dword s33, s[4:5], 0x0
	scratch_load_dword v3, off, off offset:304 ; 4-byte Folded Reload
	v_mov_b32_e32 v4, v107
	s_waitcnt lgkmcnt(0)
	s_cmp_lt_u32 s2, s33
	s_cselect_b32 s33, 12, 18
	s_add_u32 s38, s4, s33
	s_addc_u32 s39, s5, 0
	global_load_ushort v2, v5, s[38:39]
	s_waitcnt vmcnt(0)
	v_mad_u32_u24 v2, v4, v2, v3
	v_and_b32_e32 v4, 63, v2
	v_cmp_gt_u32_e32 vcc, 16, v4
	v_mov_b64_e32 v[2:3], 0
	s_and_saveexec_b64 s[38:39], vcc
	s_cbranch_execz .LBB128_128
; %bb.125:                              ;   in Loop: Header=BB128_85 Depth=1
	v_lshl_add_u64 v[2:3], v[76:77], 0, v[4:5]
	v_lshl_add_u64 v[6:7], v[2:3], 0, s[12:13]
	v_cmp_gt_i64_e32 vcc, s[8:9], v[6:7]
	v_mov_b64_e32 v[2:3], 0
	s_and_saveexec_b64 s[40:41], vcc
	s_cbranch_execz .LBB128_127
; %bb.126:                              ;   in Loop: Header=BB128_85 Depth=1
	v_lshl_add_u64 v[2:3], v[6:7], 3, s[16:17]
	global_load_dwordx2 v[2:3], v[2:3], off
.LBB128_127:                            ;   in Loop: Header=BB128_85 Depth=1
	s_or_b64 exec, exec, s[40:41]
.LBB128_128:                            ;   in Loop: Header=BB128_85 Depth=1
	s_or_b64 exec, exec, s[38:39]
	v_lshl_add_u64 v[6:7], v[102:103], 0, v[38:39]
	global_load_dwordx2 v[18:19], v[6:7], off
	v_lshl_add_u64 v[6:7], v[104:105], 0, v[38:39]
	global_load_dwordx2 v[20:21], v[6:7], off
	s_nop 0
	scratch_load_dwordx2 v[6:7], off, off   ; 8-byte Folded Reload
	scratch_load_dwordx2 v[8:9], off, off offset:24 ; 8-byte Folded Reload
	s_waitcnt vmcnt(4)
	ds_bpermute_b32 v84, v106, v2
	ds_bpermute_b32 v85, v106, v3
	ds_bpermute_b32 v92, v106, v2 offset:4
	ds_bpermute_b32 v93, v106, v3 offset:4
	s_waitcnt vmcnt(2)
	v_mul_f64 v[18:19], v[18:19], v[20:21]
	s_waitcnt vmcnt(1)
	v_lshl_add_u64 v[6:7], v[6:7], 0, v[38:39]
	s_waitcnt vmcnt(0)
	v_lshl_add_u64 v[8:9], v[8:9], 0, v[38:39]
	global_load_dwordx2 v[22:23], v[6:7], off
	global_load_dwordx2 v[24:25], v[8:9], off
	s_nop 0
	scratch_load_dwordx2 v[6:7], off, off offset:8 ; 8-byte Folded Reload
	scratch_load_dwordx2 v[8:9], off, off offset:32 ; 8-byte Folded Reload
	s_waitcnt lgkmcnt(2)
	v_fmac_f64_e32 v[74:75], v[18:19], v[84:85]
	s_waitcnt vmcnt(2)
	v_mul_f64 v[22:23], v[22:23], v[24:25]
	s_waitcnt vmcnt(1)
	v_lshl_add_u64 v[6:7], v[6:7], 0, v[38:39]
	s_waitcnt vmcnt(0)
	v_lshl_add_u64 v[8:9], v[8:9], 0, v[38:39]
	global_load_dwordx2 v[14:15], v[6:7], off
	global_load_dwordx2 v[16:17], v[8:9], off
	s_nop 0
	scratch_load_dwordx2 v[6:7], off, off offset:16 ; 8-byte Folded Reload
	scratch_load_dwordx2 v[8:9], off, off offset:40 ; 8-byte Folded Reload
	s_waitcnt lgkmcnt(0)
	v_fmac_f64_e32 v[74:75], v[22:23], v[92:93]
	s_waitcnt vmcnt(2)
	v_mul_f64 v[14:15], v[14:15], v[16:17]
	s_waitcnt vmcnt(1)
	v_lshl_add_u64 v[6:7], v[6:7], 0, v[38:39]
	s_waitcnt vmcnt(0)
	v_lshl_add_u64 v[8:9], v[8:9], 0, v[38:39]
	global_load_dwordx2 v[10:11], v[6:7], off
	global_load_dwordx2 v[12:13], v[8:9], off
	s_nop 0
	scratch_load_dwordx2 v[6:7], off, off offset:48 ; 8-byte Folded Reload
	scratch_load_dwordx2 v[8:9], off, off offset:56 ; 8-byte Folded Reload
	s_waitcnt vmcnt(2)
	v_mul_f64 v[10:11], v[10:11], v[12:13]
	s_waitcnt vmcnt(1)
	v_lshl_add_u64 v[6:7], v[6:7], 0, v[38:39]
	s_waitcnt vmcnt(0)
	v_lshl_add_u64 v[8:9], v[8:9], 0, v[38:39]
	global_load_dwordx2 v[6:7], v[6:7], off
	s_nop 0
	global_load_dwordx2 v[8:9], v[8:9], off
	s_nop 0
	scratch_load_dwordx2 v[26:27], off, off offset:64 ; 8-byte Folded Reload
	scratch_load_dwordx2 v[28:29], off, off offset:72 ; 8-byte Folded Reload
	;; [unrolled: 1-line block ×14, first 2 shown]
	s_waitcnt vmcnt(14)
	v_mul_f64 v[6:7], v[6:7], v[8:9]
	s_waitcnt vmcnt(13)
	v_lshl_add_u64 v[26:27], v[26:27], 0, v[38:39]
	s_waitcnt vmcnt(12)
	v_lshl_add_u64 v[28:29], v[28:29], 0, v[38:39]
	s_waitcnt vmcnt(11)
	v_lshl_add_u64 v[30:31], v[30:31], 0, v[38:39]
	s_waitcnt vmcnt(10)
	v_lshl_add_u64 v[32:33], v[32:33], 0, v[38:39]
	s_waitcnt vmcnt(9)
	v_lshl_add_u64 v[34:35], v[34:35], 0, v[38:39]
	s_waitcnt vmcnt(8)
	v_lshl_add_u64 v[82:83], v[82:83], 0, v[38:39]
	s_waitcnt vmcnt(7)
	v_lshl_add_u64 v[86:87], v[86:87], 0, v[38:39]
	s_waitcnt vmcnt(6)
	v_lshl_add_u64 v[88:89], v[88:89], 0, v[38:39]
	s_waitcnt vmcnt(5)
	v_lshl_add_u64 v[90:91], v[20:21], 0, v[38:39]
	s_waitcnt vmcnt(4)
	v_lshl_add_u64 v[84:85], v[18:19], 0, v[38:39]
	global_load_dwordx2 v[18:19], v[26:27], off
	global_load_dwordx2 v[20:21], v[28:29], off
	scratch_load_dwordx2 v[24:25], off, off offset:176 ; 8-byte Folded Reload
	scratch_load_dwordx2 v[22:23], off, off offset:184 ; 8-byte Folded Reload
	s_nop 0
	global_load_dwordx2 v[26:27], v[30:31], off
	global_load_dwordx2 v[28:29], v[32:33], off
	ds_bpermute_b32 v30, v106, v2 offset:8
	ds_bpermute_b32 v31, v106, v3 offset:8
	s_waitcnt vmcnt(9)
	v_lshl_add_u64 v[36:37], v[36:37], 0, v[38:39]
	global_load_dwordx2 v[32:33], v[34:35], off
	s_nop 0
	global_load_dwordx2 v[34:35], v[36:37], off
	scratch_load_dwordx2 v[16:17], off, off offset:192 ; 8-byte Folded Reload
	s_waitcnt vmcnt(11)
	v_lshl_add_u64 v[76:77], v[76:77], 0, v[38:39]
	s_waitcnt lgkmcnt(0)
	v_fmac_f64_e32 v[74:75], v[14:15], v[30:31]
	scratch_load_dwordx2 v[14:15], off, off offset:200 ; 8-byte Folded Reload
	s_waitcnt vmcnt(11)
	v_lshl_add_u64 v[78:79], v[78:79], 0, v[38:39]
	s_waitcnt vmcnt(10)
	v_lshl_add_u64 v[80:81], v[80:81], 0, v[38:39]
	global_load_dwordx2 v[30:31], v[76:77], off
	global_load_dwordx2 v[36:37], v[78:79], off
	s_nop 0
	global_load_dwordx2 v[76:77], v[80:81], off
	global_load_dwordx2 v[78:79], v[82:83], off
	ds_bpermute_b32 v80, v106, v2 offset:12
	ds_bpermute_b32 v81, v106, v3 offset:12
	global_load_dwordx2 v[82:83], v[86:87], off
	s_nop 0
	global_load_dwordx2 v[86:87], v[88:89], off
	ds_bpermute_b32 v88, v106, v2 offset:16
	ds_bpermute_b32 v89, v106, v3 offset:16
	scratch_load_dwordx2 v[12:13], off, off offset:208 ; 8-byte Folded Reload
	s_waitcnt lgkmcnt(2)
	v_fmac_f64_e32 v[74:75], v[10:11], v[80:81]
	scratch_load_dwordx2 v[10:11], off, off offset:216 ; 8-byte Folded Reload
	s_waitcnt lgkmcnt(0)
	v_fmac_f64_e32 v[74:75], v[6:7], v[88:89]
	ds_bpermute_b32 v88, v106, v2 offset:20
	ds_bpermute_b32 v89, v106, v3 offset:20
	s_waitcnt vmcnt(16)
	v_mul_f64 v[18:19], v[18:19], v[20:21]
	s_waitcnt vmcnt(15)
	v_lshl_add_u64 v[24:25], v[24:25], 0, v[38:39]
	s_waitcnt vmcnt(14)
	v_lshl_add_u64 v[22:23], v[22:23], 0, v[38:39]
	global_load_dwordx2 v[80:81], v[90:91], off
	s_nop 0
	global_load_dwordx2 v[84:85], v[84:85], off
	s_nop 0
	;; [unrolled: 2-line block ×3, first 2 shown]
	global_load_dwordx2 v[22:23], v[22:23], off
	ds_bpermute_b32 v20, v106, v2 offset:24
	ds_bpermute_b32 v21, v106, v3 offset:24
	s_waitcnt lgkmcnt(2)
	v_fmac_f64_e32 v[74:75], v[18:19], v[88:89]
	s_waitcnt vmcnt(16)
	v_mul_f64 v[18:19], v[26:27], v[28:29]
	s_waitcnt vmcnt(13)
	v_lshl_add_u64 v[16:17], v[16:17], 0, v[38:39]
	ds_bpermute_b32 v26, v106, v2 offset:32
	s_waitcnt lgkmcnt(1)
	v_fmac_f64_e32 v[74:75], v[18:19], v[20:21]
	s_waitcnt vmcnt(12)
	v_lshl_add_u64 v[14:15], v[14:15], 0, v[38:39]
	global_load_dwordx2 v[16:17], v[16:17], off
	s_nop 0
	global_load_dwordx2 v[14:15], v[14:15], off
	ds_bpermute_b32 v18, v106, v2 offset:28
	scratch_load_dwordx2 v[8:9], off, off offset:224 ; 8-byte Folded Reload
	scratch_load_dwordx2 v[6:7], off, off offset:232 ; 8-byte Folded Reload
	ds_bpermute_b32 v19, v106, v3 offset:28
	ds_bpermute_b32 v27, v106, v3 offset:32
	;; [unrolled: 1-line block ×4, first 2 shown]
	s_waitcnt vmcnt(9)
	v_lshl_add_u64 v[12:13], v[12:13], 0, v[38:39]
	v_mul_f64 v[20:21], v[32:33], v[34:35]
	s_waitcnt vmcnt(8)
	v_lshl_add_u64 v[10:11], v[10:11], 0, v[38:39]
	s_waitcnt lgkmcnt(3)
	v_fmac_f64_e32 v[74:75], v[20:21], v[18:19]
	v_mul_f64 v[18:19], v[30:31], v[36:37]
	s_waitcnt lgkmcnt(2)
	v_fmac_f64_e32 v[74:75], v[18:19], v[26:27]
	v_mul_f64 v[18:19], v[76:77], v[78:79]
	s_waitcnt lgkmcnt(0)
	v_fmac_f64_e32 v[74:75], v[18:19], v[28:29]
	ds_bpermute_b32 v18, v106, v2 offset:40
	ds_bpermute_b32 v19, v106, v3 offset:40
	ds_bpermute_b32 v26, v106, v2 offset:44
	ds_bpermute_b32 v27, v106, v3 offset:44
	ds_bpermute_b32 v28, v106, v2 offset:48
	ds_bpermute_b32 v29, v106, v3 offset:48
	v_mul_f64 v[20:21], v[82:83], v[86:87]
	s_waitcnt lgkmcnt(4)
	v_fmac_f64_e32 v[74:75], v[20:21], v[18:19]
	s_waitcnt vmcnt(6)
	v_mul_f64 v[18:19], v[80:81], v[84:85]
	s_waitcnt lgkmcnt(2)
	v_fmac_f64_e32 v[74:75], v[18:19], v[26:27]
	s_waitcnt vmcnt(4)
	v_mul_f64 v[18:19], v[24:25], v[22:23]
	s_waitcnt lgkmcnt(0)
	v_fmac_f64_e32 v[74:75], v[18:19], v[28:29]
	ds_bpermute_b32 v18, v106, v2 offset:52
	ds_bpermute_b32 v19, v106, v3 offset:52
	s_waitcnt vmcnt(2)
	v_mul_f64 v[14:15], v[16:17], v[14:15]
	ds_bpermute_b32 v16, v106, v2 offset:56
	s_waitcnt vmcnt(1)
	v_lshl_add_u64 v[8:9], v[8:9], 0, v[38:39]
	s_waitcnt vmcnt(0)
	v_lshl_add_u64 v[6:7], v[6:7], 0, v[38:39]
	global_load_dwordx2 v[12:13], v[12:13], off
	s_nop 0
	global_load_dwordx2 v[10:11], v[10:11], off
	s_nop 0
	;; [unrolled: 2-line block ×3, first 2 shown]
	global_load_dwordx2 v[6:7], v[6:7], off
	ds_bpermute_b32 v17, v106, v3 offset:56
	ds_bpermute_b32 v2, v106, v2 offset:60
	;; [unrolled: 1-line block ×3, first 2 shown]
	s_waitcnt lgkmcnt(4)
	v_fmac_f64_e32 v[74:75], v[14:15], v[18:19]
	s_waitcnt vmcnt(2)
	v_mul_f64 v[10:11], v[12:13], v[10:11]
	s_waitcnt lgkmcnt(2)
	v_fmac_f64_e32 v[74:75], v[10:11], v[16:17]
	s_waitcnt vmcnt(0)
	v_mul_f64 v[6:7], v[8:9], v[6:7]
	s_waitcnt lgkmcnt(0)
	v_fmac_f64_e32 v[74:75], v[6:7], v[2:3]
	v_mov_b64_e32 v[2:3], v[74:75]
.LBB128_129:                            ;   in Loop: Header=BB128_85 Depth=1
	s_add_u32 s18, s18, s3
	s_addc_u32 s19, s19, 0
	v_mov_b64_e32 v[6:7], s[8:9]
	v_cmp_ge_i64_e32 vcc, s[18:19], v[6:7]
	scratch_load_dwordx2 v[6:7], off, off   ; 8-byte Folded Reload
	s_add_u32 s6, s6, s3
	s_addc_u32 s7, s7, 0
	v_lshl_add_u64 v[102:103], v[102:103], 0, s[20:21]
	v_lshl_add_u64 v[104:105], v[104:105], 0, s[20:21]
	;; [unrolled: 1-line block ×28, first 2 shown]
	s_and_b64 vcc, exec, vcc
	s_waitcnt vmcnt(0)
	v_lshl_add_u64 v[6:7], v[6:7], 0, s[20:21]
	scratch_store_dwordx2 off, v[6:7], off  ; 8-byte Folded Spill
	scratch_load_dwordx2 v[6:7], off, off offset:8 ; 8-byte Folded Reload
	s_waitcnt vmcnt(0)
	v_lshl_add_u64 v[6:7], v[6:7], 0, s[20:21]
	scratch_store_dwordx2 off, v[6:7], off offset:8 ; 8-byte Folded Spill
	scratch_load_dwordx2 v[6:7], off, off offset:16 ; 8-byte Folded Reload
	s_waitcnt vmcnt(0)
	v_lshl_add_u64 v[6:7], v[6:7], 0, s[20:21]
	scratch_store_dwordx2 off, v[6:7], off offset:16 ; 8-byte Folded Spill
	;; [unrolled: 4-line block ×33, first 2 shown]
	s_cbranch_vccnz .LBB128_131
; %bb.130:                              ;   in Loop: Header=BB128_85 Depth=1
	v_mov_b64_e32 v[74:75], v[2:3]
	s_branch .LBB128_85
.LBB128_131:
	scratch_load_dword v47, off, off offset:316 ; 4-byte Folded Reload
.LBB128_132:
	s_waitcnt vmcnt(0)
	v_bfe_u32 v0, v47, 10, 10
	v_and_b32_e32 v5, 0x3ff, v47
	s_movk_i32 s3, 0x41
	v_mad_u32_u24 v1, v0, s3, v5
	v_lshl_add_u32 v1, v1, 3, 0
	ds_write_b64 v1, v[2:3]
	v_mov_b32_e32 v2, 0
	v_mov_b32_e32 v3, v2
	v_lshrrev_b32_e32 v4, 6, v5
	ds_write_b64 v1, v[2:3] offset:8320
	v_add_u32_e32 v1, v4, v0
	s_mov_b32 s3, 0
	v_cmp_gt_u32_e32 vcc, 64, v1
	s_waitcnt lgkmcnt(0)
	s_barrier
	s_and_saveexec_b64 s[4:5], vcc
	s_cbranch_execz .LBB128_139
; %bb.133:
	v_mbcnt_lo_u32_b32 v6, -1, 0
	v_mbcnt_hi_u32_b32 v9, -1, v6
	v_and_b32_e32 v6, 64, v9
	s_load_dwordx2 s[12:13], s[0:1], 0x30
	v_and_b32_e32 v3, 63, v5
	v_add_u32_e32 v10, 64, v6
	v_cmp_ne_u32_e64 s[0:1], 0, v5
	v_xor_b32_e32 v5, 8, v9
	s_lshl_b64 s[4:5], s[2:3], 6
	v_cmp_lt_i32_e64 s[2:3], v5, v10
	v_cmp_gt_u32_e32 vcc, 16, v3
	v_mul_u32_u24_e32 v3, 0x208, v3
	v_cndmask_b32_e64 v5, v9, v5, s[2:3]
	v_lshlrev_b32_e32 v6, 2, v5
	v_xor_b32_e32 v5, 4, v9
	v_cmp_lt_i32_e64 s[2:3], v5, v10
	v_lshlrev_b32_e32 v1, 3, v1
	s_waitcnt lgkmcnt(0)
	s_cmp_eq_u64 s[12:13], 0
	v_cndmask_b32_e64 v5, v9, v5, s[2:3]
	v_lshlrev_b32_e32 v7, 2, v5
	v_xor_b32_e32 v5, 2, v9
	v_cmp_lt_i32_e64 s[2:3], v5, v10
	s_mov_b64 s[6:7], 0
	s_cselect_b64 s[8:9], -1, 0
	v_cndmask_b32_e64 v5, v9, v5, s[2:3]
	v_lshlrev_b32_e32 v8, 2, v5
	v_xor_b32_e32 v5, 1, v9
	v_cmp_lt_i32_e64 s[2:3], v5, v10
	v_add3_u32 v10, v3, v1, 0
	v_mov_b32_e32 v1, v2
	v_cndmask_b32_e64 v5, v9, v5, s[2:3]
	v_lshlrev_b32_e32 v9, 2, v5
	v_mov_b32_e32 v5, v2
	v_lshl_add_u64 v[0:1], v[4:5], 0, v[0:1]
	v_lshl_add_u64 v[2:3], v[0:1], 0, s[4:5]
	;; [unrolled: 1-line block ×3, first 2 shown]
	s_mov_b64 s[12:13], 0x80
                                        ; implicit-def: $vgpr4_vgpr5
	s_branch .LBB128_135
.LBB128_134:                            ;   in Loop: Header=BB128_135 Depth=1
	s_or_b64 exec, exec, s[2:3]
	v_lshl_add_u64 v[0:1], v[0:1], 0, 16
	v_add_u32_e32 v11, -16, v0
	v_cmp_lt_u32_e64 s[2:3], 47, v11
	v_add_u32_e32 v10, 0x80, v10
	s_or_b64 s[6:7], s[2:3], s[6:7]
	v_lshl_add_u64 v[2:3], v[2:3], 0, s[12:13]
	s_andn2_b64 exec, exec, s[6:7]
	s_cbranch_execz .LBB128_139
.LBB128_135:                            ; =>This Inner Loop Header: Depth=1
	s_and_saveexec_b64 s[2:3], vcc
	s_cbranch_execz .LBB128_137
; %bb.136:                              ;   in Loop: Header=BB128_135 Depth=1
	ds_read_b64 v[4:5], v10
.LBB128_137:                            ;   in Loop: Header=BB128_135 Depth=1
	s_or_b64 exec, exec, s[2:3]
	s_waitcnt lgkmcnt(0)
	ds_bpermute_b32 v12, v6, v4
	ds_bpermute_b32 v13, v6, v5
	v_lshl_add_u64 v[14:15], s[4:5], 0, v[0:1]
	v_cmp_le_i64_e64 s[2:3], s[10:11], v[14:15]
	s_or_b64 s[2:3], s[0:1], s[2:3]
	s_or_b64 s[2:3], s[8:9], s[2:3]
	s_waitcnt lgkmcnt(0)
	v_add_f64 v[4:5], v[4:5], v[12:13]
	ds_bpermute_b32 v12, v7, v4
	ds_bpermute_b32 v13, v7, v5
	s_xor_b64 s[14:15], s[2:3], -1
	s_waitcnt lgkmcnt(0)
	v_add_f64 v[4:5], v[4:5], v[12:13]
	ds_bpermute_b32 v12, v8, v4
	ds_bpermute_b32 v13, v8, v5
	s_waitcnt lgkmcnt(0)
	v_add_f64 v[4:5], v[4:5], v[12:13]
	ds_bpermute_b32 v12, v9, v4
	ds_bpermute_b32 v13, v9, v5
	s_waitcnt lgkmcnt(0)
	v_add_f64 v[4:5], v[4:5], v[12:13]
	s_and_saveexec_b64 s[2:3], s[14:15]
	s_cbranch_execz .LBB128_134
; %bb.138:                              ;   in Loop: Header=BB128_135 Depth=1
	global_store_dwordx2 v[2:3], v[4:5], off
	s_branch .LBB128_134
.LBB128_139:
	s_endpgm
	.section	.rodata,"a",@progbits
	.p2align	6, 0x0
	.amdhsa_kernel _ZN2at6native12_GLOBAL__N_135GammaBetaBackwardCUDAKernelTemplateIddLj64ELj16ELj256ELb0ELb0ELb1EEEvllPKT_S5_PKT0_S8_PS3_S9_
		.amdhsa_group_segment_fixed_size 0
		.amdhsa_private_segment_fixed_size 324
		.amdhsa_kernarg_size 320
		.amdhsa_user_sgpr_count 2
		.amdhsa_user_sgpr_dispatch_ptr 0
		.amdhsa_user_sgpr_queue_ptr 0
		.amdhsa_user_sgpr_kernarg_segment_ptr 1
		.amdhsa_user_sgpr_dispatch_id 0
		.amdhsa_user_sgpr_kernarg_preload_length 0
		.amdhsa_user_sgpr_kernarg_preload_offset 0
		.amdhsa_user_sgpr_private_segment_size 0
		.amdhsa_uses_dynamic_stack 0
		.amdhsa_enable_private_segment 1
		.amdhsa_system_sgpr_workgroup_id_x 1
		.amdhsa_system_sgpr_workgroup_id_y 1
		.amdhsa_system_sgpr_workgroup_id_z 0
		.amdhsa_system_sgpr_workgroup_info 0
		.amdhsa_system_vgpr_workitem_id 1
		.amdhsa_next_free_vgpr 128
		.amdhsa_next_free_sgpr 96
		.amdhsa_accum_offset 128
		.amdhsa_reserve_vcc 1
		.amdhsa_float_round_mode_32 0
		.amdhsa_float_round_mode_16_64 0
		.amdhsa_float_denorm_mode_32 3
		.amdhsa_float_denorm_mode_16_64 3
		.amdhsa_dx10_clamp 1
		.amdhsa_ieee_mode 1
		.amdhsa_fp16_overflow 0
		.amdhsa_tg_split 0
		.amdhsa_exception_fp_ieee_invalid_op 0
		.amdhsa_exception_fp_denorm_src 0
		.amdhsa_exception_fp_ieee_div_zero 0
		.amdhsa_exception_fp_ieee_overflow 0
		.amdhsa_exception_fp_ieee_underflow 0
		.amdhsa_exception_fp_ieee_inexact 0
		.amdhsa_exception_int_div_zero 0
	.end_amdhsa_kernel
	.section	.text._ZN2at6native12_GLOBAL__N_135GammaBetaBackwardCUDAKernelTemplateIddLj64ELj16ELj256ELb0ELb0ELb1EEEvllPKT_S5_PKT0_S8_PS3_S9_,"axG",@progbits,_ZN2at6native12_GLOBAL__N_135GammaBetaBackwardCUDAKernelTemplateIddLj64ELj16ELj256ELb0ELb0ELb1EEEvllPKT_S5_PKT0_S8_PS3_S9_,comdat
.Lfunc_end128:
	.size	_ZN2at6native12_GLOBAL__N_135GammaBetaBackwardCUDAKernelTemplateIddLj64ELj16ELj256ELb0ELb0ELb1EEEvllPKT_S5_PKT0_S8_PS3_S9_, .Lfunc_end128-_ZN2at6native12_GLOBAL__N_135GammaBetaBackwardCUDAKernelTemplateIddLj64ELj16ELj256ELb0ELb0ELb1EEEvllPKT_S5_PKT0_S8_PS3_S9_
                                        ; -- End function
	.section	.AMDGPU.csdata,"",@progbits
; Kernel info:
; codeLenInByte = 14040
; NumSgprs: 102
; NumVgprs: 128
; NumAgprs: 0
; TotalNumVgprs: 128
; ScratchSize: 324
; MemoryBound: 0
; FloatMode: 240
; IeeeMode: 1
; LDSByteSize: 0 bytes/workgroup (compile time only)
; SGPRBlocks: 12
; VGPRBlocks: 15
; NumSGPRsForWavesPerEU: 102
; NumVGPRsForWavesPerEU: 128
; AccumOffset: 128
; Occupancy: 4
; WaveLimiterHint : 0
; COMPUTE_PGM_RSRC2:SCRATCH_EN: 1
; COMPUTE_PGM_RSRC2:USER_SGPR: 2
; COMPUTE_PGM_RSRC2:TRAP_HANDLER: 0
; COMPUTE_PGM_RSRC2:TGID_X_EN: 1
; COMPUTE_PGM_RSRC2:TGID_Y_EN: 1
; COMPUTE_PGM_RSRC2:TGID_Z_EN: 0
; COMPUTE_PGM_RSRC2:TIDIG_COMP_CNT: 1
; COMPUTE_PGM_RSRC3_GFX90A:ACCUM_OFFSET: 31
; COMPUTE_PGM_RSRC3_GFX90A:TG_SPLIT: 0
	.section	.text._ZN2at6native12_GLOBAL__N_135GammaBetaBackwardCUDAKernelTemplateIddLj32ELj1ELj32ELb1ELb1ELb1EEEvllPKT_S5_PKT0_S8_PS3_S9_,"axG",@progbits,_ZN2at6native12_GLOBAL__N_135GammaBetaBackwardCUDAKernelTemplateIddLj32ELj1ELj32ELb1ELb1ELb1EEEvllPKT_S5_PKT0_S8_PS3_S9_,comdat
	.globl	_ZN2at6native12_GLOBAL__N_135GammaBetaBackwardCUDAKernelTemplateIddLj32ELj1ELj32ELb1ELb1ELb1EEEvllPKT_S5_PKT0_S8_PS3_S9_ ; -- Begin function _ZN2at6native12_GLOBAL__N_135GammaBetaBackwardCUDAKernelTemplateIddLj32ELj1ELj32ELb1ELb1ELb1EEEvllPKT_S5_PKT0_S8_PS3_S9_
	.p2align	8
	.type	_ZN2at6native12_GLOBAL__N_135GammaBetaBackwardCUDAKernelTemplateIddLj32ELj1ELj32ELb1ELb1ELb1EEEvllPKT_S5_PKT0_S8_PS3_S9_,@function
_ZN2at6native12_GLOBAL__N_135GammaBetaBackwardCUDAKernelTemplateIddLj32ELj1ELj32ELb1ELb1ELb1EEEvllPKT_S5_PKT0_S8_PS3_S9_: ; @_ZN2at6native12_GLOBAL__N_135GammaBetaBackwardCUDAKernelTemplateIddLj32ELj1ELj32ELb1ELb1ELb1EEEvllPKT_S5_PKT0_S8_PS3_S9_
; %bb.0:
	s_load_dwordx4 s[8:11], s[0:1], 0x0
	s_load_dwordx2 s[16:17], s[0:1], 0x30
	s_lshl_b32 s18, s3, 5
	s_mov_b32 s19, 0
	s_mov_b32 s6, s3
	s_waitcnt lgkmcnt(0)
	v_mov_b64_e32 v[2:3], s[8:9]
	v_cmp_ge_i64_e32 vcc, s[18:19], v[2:3]
	v_mov_b64_e32 v[4:5], 0
	v_bfe_u32 v2, v0, 10, 10
	s_cbranch_vccnz .LBB129_7
; %bb.1:
	s_load_dword s3, s[0:1], 0x4c
	s_load_dword s7, s[0:1], 0x44
	s_load_dwordx4 s[12:15], s[0:1], 0x10
	s_load_dwordx2 s[22:23], s[0:1], 0x28
	v_and_b32_e32 v1, 0x3ff, v0
	s_waitcnt lgkmcnt(0)
	s_and_b32 s3, s3, 0xffff
	v_mad_u32_u24 v3, v2, s3, v1
	v_lshlrev_b32_e32 v6, 5, v2
	v_mov_b32_e32 v7, 0
	v_lshl_or_b32 v10, s2, 5, v1
	v_mbcnt_lo_u32_b32 v1, -1, 0
	v_and_b32_e32 v4, 63, v3
	v_mov_b32_e32 v5, v7
	v_mbcnt_hi_u32_b32 v1, -1, v1
	s_lshl_b32 s20, s7, 5
	v_lshl_add_u64 v[12:13], v[6:7], 0, s[18:19]
	v_cmp_gt_u32_e64 s[4:5], 32, v4
	v_mov_b32_e32 v11, v7
	v_lshlrev_b32_e32 v1, 2, v1
	v_lshl_add_u64 v[6:7], v[12:13], 0, v[4:5]
	v_mul_lo_u32 v14, s11, v12
	v_mul_lo_u32 v13, s10, v13
	v_mad_u64_u32 v[4:5], s[24:25], s10, v12, 0
	s_mul_i32 s3, s11, s20
	s_mul_hi_u32 s7, s10, s20
	v_and_b32_e32 v1, 0x100, v1
	s_mov_b32 s21, s19
	v_add3_u32 v5, v5, v13, v14
	v_lshlrev_b64 v[10:11], 3, v[10:11]
	s_add_i32 s25, s7, s3
	s_mul_i32 s24, s10, s20
	v_mov_b64_e32 v[12:13], 0
	v_or_b32_e32 v3, 4, v1
	v_or_b32_e32 v16, 8, v1
	v_or_b32_e32 v17, 12, v1
	v_or_b32_e32 v18, 16, v1
	v_or_b32_e32 v19, 20, v1
	v_or_b32_e32 v20, 24, v1
	v_or_b32_e32 v21, 28, v1
	v_or_b32_e32 v22, 32, v1
	v_or_b32_e32 v23, 36, v1
	v_or_b32_e32 v24, 40, v1
	v_or_b32_e32 v25, 44, v1
	v_or_b32_e32 v26, 48, v1
	v_or_b32_e32 v27, 52, v1
	v_or_b32_e32 v28, 56, v1
	v_or_b32_e32 v29, 60, v1
	v_or_b32_e32 v30, 64, v1
	v_or_b32_e32 v31, 0x44, v1
	v_or_b32_e32 v32, 0x48, v1
	v_or_b32_e32 v33, 0x4c, v1
	v_or_b32_e32 v34, 0x50, v1
	v_or_b32_e32 v35, 0x54, v1
	v_or_b32_e32 v36, 0x58, v1
	v_or_b32_e32 v37, 0x5c, v1
	v_or_b32_e32 v38, 0x60, v1
	v_or_b32_e32 v39, 0x64, v1
	v_or_b32_e32 v40, 0x68, v1
	v_or_b32_e32 v41, 0x6c, v1
	v_or_b32_e32 v42, 0x70, v1
	v_or_b32_e32 v43, 0x74, v1
	v_or_b32_e32 v44, 0x78, v1
	v_or_b32_e32 v45, 0x7c, v1
	v_lshl_add_u64 v[8:9], v[6:7], 3, s[22:23]
	s_lshl_b64 s[22:23], s[20:21], 3
	v_lshl_add_u64 v[10:11], v[4:5], 3, v[10:11]
	s_lshl_b64 s[24:25], s[24:25], 3
	s_lshl_b64 s[26:27], s[10:11], 3
	v_mov_b64_e32 v[4:5], v[12:13]
	s_branch .LBB129_4
.LBB129_2:                              ;   in Loop: Header=BB129_4 Depth=1
	s_or_b64 exec, exec, s[30:31]
.LBB129_3:                              ;   in Loop: Header=BB129_4 Depth=1
	s_or_b64 exec, exec, s[28:29]
	v_lshl_add_u64 v[46:47], s[12:13], 0, v[10:11]
	v_lshl_add_u64 v[50:51], s[14:15], 0, v[10:11]
	global_load_dwordx2 v[48:49], v[46:47], off
	global_load_dwordx2 v[52:53], v[50:51], off
	s_waitcnt vmcnt(2)
	ds_bpermute_b32 v54, v1, v14
	ds_bpermute_b32 v55, v1, v15
	v_lshl_add_u64 v[46:47], v[46:47], 0, s[26:27]
	v_lshl_add_u64 v[50:51], v[50:51], 0, s[26:27]
	s_add_u32 s18, s18, s20
	s_addc_u32 s19, s19, 0
	v_lshl_add_u64 v[8:9], v[8:9], 0, s[22:23]
	v_lshl_add_u64 v[6:7], v[6:7], 0, s[20:21]
	;; [unrolled: 1-line block ×3, first 2 shown]
	s_waitcnt vmcnt(0)
	v_mul_f64 v[48:49], v[48:49], v[52:53]
	global_load_dwordx2 v[52:53], v[46:47], off
	s_waitcnt lgkmcnt(0)
	v_fmac_f64_e32 v[4:5], v[48:49], v[54:55]
	global_load_dwordx2 v[48:49], v[50:51], off
	ds_bpermute_b32 v54, v3, v14
	ds_bpermute_b32 v55, v3, v15
	v_lshl_add_u64 v[46:47], v[46:47], 0, s[26:27]
	v_lshl_add_u64 v[50:51], v[50:51], 0, s[26:27]
	s_waitcnt vmcnt(0)
	v_mul_f64 v[48:49], v[52:53], v[48:49]
	global_load_dwordx2 v[52:53], v[46:47], off
	s_waitcnt lgkmcnt(0)
	v_fmac_f64_e32 v[4:5], v[48:49], v[54:55]
	global_load_dwordx2 v[48:49], v[50:51], off
	ds_bpermute_b32 v54, v16, v14
	ds_bpermute_b32 v55, v16, v15
	v_lshl_add_u64 v[46:47], v[46:47], 0, s[26:27]
	v_lshl_add_u64 v[50:51], v[50:51], 0, s[26:27]
	;; [unrolled: 10-line block ×29, first 2 shown]
	s_waitcnt vmcnt(0)
	v_mul_f64 v[48:49], v[52:53], v[48:49]
	global_load_dwordx2 v[52:53], v[46:47], off
	s_waitcnt lgkmcnt(0)
	v_fmac_f64_e32 v[4:5], v[48:49], v[54:55]
	global_load_dwordx2 v[54:55], v[50:51], off
	v_lshl_add_u64 v[46:47], v[46:47], 0, s[26:27]
	v_lshl_add_u64 v[50:51], v[50:51], 0, s[26:27]
	global_load_dwordx2 v[46:47], v[46:47], off
	ds_bpermute_b32 v48, v44, v14
	global_load_dwordx2 v[50:51], v[50:51], off
	ds_bpermute_b32 v49, v44, v15
	ds_bpermute_b32 v14, v45, v14
	;; [unrolled: 1-line block ×3, first 2 shown]
	s_waitcnt vmcnt(2)
	v_mul_f64 v[52:53], v[52:53], v[54:55]
	s_waitcnt lgkmcnt(2)
	v_fmac_f64_e32 v[4:5], v[52:53], v[48:49]
	s_waitcnt vmcnt(0)
	v_mul_f64 v[46:47], v[46:47], v[50:51]
	s_waitcnt lgkmcnt(0)
	v_fmac_f64_e32 v[4:5], v[46:47], v[14:15]
	v_mov_b64_e32 v[14:15], s[8:9]
	v_cmp_lt_i64_e32 vcc, s[18:19], v[14:15]
	s_cbranch_vccz .LBB129_7
.LBB129_4:                              ; =>This Inner Loop Header: Depth=1
	v_mov_b64_e32 v[14:15], v[12:13]
	s_and_saveexec_b64 s[28:29], s[4:5]
	s_cbranch_execz .LBB129_3
; %bb.5:                                ;   in Loop: Header=BB129_4 Depth=1
	v_cmp_gt_i64_e32 vcc, s[8:9], v[6:7]
	v_mov_b64_e32 v[14:15], 0
	s_and_saveexec_b64 s[30:31], vcc
	s_cbranch_execz .LBB129_2
; %bb.6:                                ;   in Loop: Header=BB129_4 Depth=1
	global_load_dwordx2 v[14:15], v[8:9], off
	s_branch .LBB129_2
.LBB129_7:
	s_cmp_eq_u64 s[16:17], 0
	s_cbranch_scc1 .LBB129_9
; %bb.8:
	s_load_dword s0, s[0:1], 0x4c
	v_mov_b32_e32 v3, 0
	v_mov_b32_e32 v1, s6
	s_mov_b32 s3, 0
	v_and_b32_e32 v0, 0x3ff, v0
	s_waitcnt lgkmcnt(0)
	s_lshr_b32 s0, s0, 16
	v_mad_u64_u32 v[6:7], s[0:1], s0, v1, v[2:3]
	v_mul_lo_u32 v1, v7, s10
	v_mul_lo_u32 v2, v6, s11
	v_mad_u64_u32 v[6:7], s[0:1], v6, s10, 0
	s_lshl_b64 s[0:1], s[2:3], 8
	s_add_u32 s0, s0, s16
	v_add3_u32 v7, v7, v2, v1
	s_addc_u32 s1, s1, s17
	v_lshl_add_u64 v[6:7], v[6:7], 3, s[0:1]
	v_lshlrev_b32_e32 v2, 3, v0
	v_lshl_add_u64 v[0:1], v[6:7], 0, v[2:3]
	global_store_dwordx2 v[0:1], v[4:5], off
.LBB129_9:
	s_endpgm
	.section	.rodata,"a",@progbits
	.p2align	6, 0x0
	.amdhsa_kernel _ZN2at6native12_GLOBAL__N_135GammaBetaBackwardCUDAKernelTemplateIddLj32ELj1ELj32ELb1ELb1ELb1EEEvllPKT_S5_PKT0_S8_PS3_S9_
		.amdhsa_group_segment_fixed_size 0
		.amdhsa_private_segment_fixed_size 0
		.amdhsa_kernarg_size 320
		.amdhsa_user_sgpr_count 2
		.amdhsa_user_sgpr_dispatch_ptr 0
		.amdhsa_user_sgpr_queue_ptr 0
		.amdhsa_user_sgpr_kernarg_segment_ptr 1
		.amdhsa_user_sgpr_dispatch_id 0
		.amdhsa_user_sgpr_kernarg_preload_length 0
		.amdhsa_user_sgpr_kernarg_preload_offset 0
		.amdhsa_user_sgpr_private_segment_size 0
		.amdhsa_uses_dynamic_stack 0
		.amdhsa_enable_private_segment 0
		.amdhsa_system_sgpr_workgroup_id_x 1
		.amdhsa_system_sgpr_workgroup_id_y 1
		.amdhsa_system_sgpr_workgroup_id_z 0
		.amdhsa_system_sgpr_workgroup_info 0
		.amdhsa_system_vgpr_workitem_id 1
		.amdhsa_next_free_vgpr 56
		.amdhsa_next_free_sgpr 32
		.amdhsa_accum_offset 56
		.amdhsa_reserve_vcc 1
		.amdhsa_float_round_mode_32 0
		.amdhsa_float_round_mode_16_64 0
		.amdhsa_float_denorm_mode_32 3
		.amdhsa_float_denorm_mode_16_64 3
		.amdhsa_dx10_clamp 1
		.amdhsa_ieee_mode 1
		.amdhsa_fp16_overflow 0
		.amdhsa_tg_split 0
		.amdhsa_exception_fp_ieee_invalid_op 0
		.amdhsa_exception_fp_denorm_src 0
		.amdhsa_exception_fp_ieee_div_zero 0
		.amdhsa_exception_fp_ieee_overflow 0
		.amdhsa_exception_fp_ieee_underflow 0
		.amdhsa_exception_fp_ieee_inexact 0
		.amdhsa_exception_int_div_zero 0
	.end_amdhsa_kernel
	.section	.text._ZN2at6native12_GLOBAL__N_135GammaBetaBackwardCUDAKernelTemplateIddLj32ELj1ELj32ELb1ELb1ELb1EEEvllPKT_S5_PKT0_S8_PS3_S9_,"axG",@progbits,_ZN2at6native12_GLOBAL__N_135GammaBetaBackwardCUDAKernelTemplateIddLj32ELj1ELj32ELb1ELb1ELb1EEEvllPKT_S5_PKT0_S8_PS3_S9_,comdat
.Lfunc_end129:
	.size	_ZN2at6native12_GLOBAL__N_135GammaBetaBackwardCUDAKernelTemplateIddLj32ELj1ELj32ELb1ELb1ELb1EEEvllPKT_S5_PKT0_S8_PS3_S9_, .Lfunc_end129-_ZN2at6native12_GLOBAL__N_135GammaBetaBackwardCUDAKernelTemplateIddLj32ELj1ELj32ELb1ELb1ELb1EEEvllPKT_S5_PKT0_S8_PS3_S9_
                                        ; -- End function
	.section	.AMDGPU.csdata,"",@progbits
; Kernel info:
; codeLenInByte = 2884
; NumSgprs: 38
; NumVgprs: 56
; NumAgprs: 0
; TotalNumVgprs: 56
; ScratchSize: 0
; MemoryBound: 0
; FloatMode: 240
; IeeeMode: 1
; LDSByteSize: 0 bytes/workgroup (compile time only)
; SGPRBlocks: 4
; VGPRBlocks: 6
; NumSGPRsForWavesPerEU: 38
; NumVGPRsForWavesPerEU: 56
; AccumOffset: 56
; Occupancy: 8
; WaveLimiterHint : 0
; COMPUTE_PGM_RSRC2:SCRATCH_EN: 0
; COMPUTE_PGM_RSRC2:USER_SGPR: 2
; COMPUTE_PGM_RSRC2:TRAP_HANDLER: 0
; COMPUTE_PGM_RSRC2:TGID_X_EN: 1
; COMPUTE_PGM_RSRC2:TGID_Y_EN: 1
; COMPUTE_PGM_RSRC2:TGID_Z_EN: 0
; COMPUTE_PGM_RSRC2:TIDIG_COMP_CNT: 1
; COMPUTE_PGM_RSRC3_GFX90A:ACCUM_OFFSET: 13
; COMPUTE_PGM_RSRC3_GFX90A:TG_SPLIT: 0
	.section	.text._ZN2at6native12_GLOBAL__N_135GammaBetaBackwardCUDAKernelTemplateIddLj32ELj1ELj32ELb1ELb0ELb1EEEvllPKT_S5_PKT0_S8_PS3_S9_,"axG",@progbits,_ZN2at6native12_GLOBAL__N_135GammaBetaBackwardCUDAKernelTemplateIddLj32ELj1ELj32ELb1ELb0ELb1EEEvllPKT_S5_PKT0_S8_PS3_S9_,comdat
	.globl	_ZN2at6native12_GLOBAL__N_135GammaBetaBackwardCUDAKernelTemplateIddLj32ELj1ELj32ELb1ELb0ELb1EEEvllPKT_S5_PKT0_S8_PS3_S9_ ; -- Begin function _ZN2at6native12_GLOBAL__N_135GammaBetaBackwardCUDAKernelTemplateIddLj32ELj1ELj32ELb1ELb0ELb1EEEvllPKT_S5_PKT0_S8_PS3_S9_
	.p2align	8
	.type	_ZN2at6native12_GLOBAL__N_135GammaBetaBackwardCUDAKernelTemplateIddLj32ELj1ELj32ELb1ELb0ELb1EEEvllPKT_S5_PKT0_S8_PS3_S9_,@function
_ZN2at6native12_GLOBAL__N_135GammaBetaBackwardCUDAKernelTemplateIddLj32ELj1ELj32ELb1ELb0ELb1EEEvllPKT_S5_PKT0_S8_PS3_S9_: ; @_ZN2at6native12_GLOBAL__N_135GammaBetaBackwardCUDAKernelTemplateIddLj32ELj1ELj32ELb1ELb0ELb1EEEvllPKT_S5_PKT0_S8_PS3_S9_
; %bb.0:
	s_load_dwordx8 s[12:19], s[0:1], 0x0
	s_load_dwordx2 s[10:11], s[0:1], 0x28
	s_mov_b32 s8, s3
	s_lshl_b32 s3, s2, 5
	v_mov_b32_e32 v85, v0
	s_or_b32 s20, s3, 31
	s_mov_b32 s21, 0
	s_waitcnt lgkmcnt(0)
	v_mov_b64_e32 v[0:1], s[14:15]
	v_cmp_ge_i64_e32 vcc, s[20:21], v[0:1]
	s_lshl_b32 s20, s8, 5
	v_mov_b64_e32 v[0:1], s[12:13]
	v_cmp_lt_i64_e64 s[4:5], s[20:21], v[0:1]
	s_nop 1
	v_cndmask_b32_e64 v0, 0, 1, s[4:5]
	v_cmp_ne_u32_e64 s[4:5], 1, v0
	s_cbranch_vccz .LBB130_145
; %bb.1:
	s_and_b64 vcc, exec, s[4:5]
	v_mov_b64_e32 v[6:7], 0
	s_cbranch_vccnz .LBB130_147
; %bb.2:
	v_mov_b32_e32 v1, 0
	v_bfe_u32 v2, v85, 10, 10
	v_lshlrev_b32_e32 v4, 5, v2
	v_mov_b32_e32 v5, v1
	v_accvgpr_write_b32 a1, v2
	v_lshl_add_u64 v[2:3], v[4:5], 0, s[20:21]
	v_lshl_add_u64 v[6:7], v[2:3], 0, 31
	v_mul_lo_u32 v8, s15, v6
	v_mul_lo_u32 v9, s14, v7
	v_mad_u64_u32 v[6:7], s[28:29], s14, v6, 0
	v_add3_u32 v7, v7, v9, v8
	v_lshlrev_b64 v[6:7], 3, v[6:7]
	v_lshl_add_u64 v[8:9], s[16:17], 0, v[6:7]
	v_lshl_add_u64 v[10:11], s[18:19], 0, v[6:7]
	v_lshl_add_u64 v[6:7], v[2:3], 0, 30
	v_mul_lo_u32 v12, s15, v6
	v_mul_lo_u32 v13, s14, v7
	v_mad_u64_u32 v[6:7], s[30:31], s14, v6, 0
	v_add3_u32 v7, v7, v13, v12
	v_lshlrev_b64 v[6:7], 3, v[6:7]
	v_lshl_add_u64 v[12:13], s[16:17], 0, v[6:7]
	;; [unrolled: 8-line block ×19, first 2 shown]
	v_lshl_add_u64 v[82:83], s[18:19], 0, v[6:7]
	v_lshl_add_u64 v[6:7], v[2:3], 0, 12
	v_and_b32_e32 v0, 0x3ff, v85
	v_mov_b32_e32 v159, v85
	v_mul_lo_u32 v84, s15, v6
	v_mul_lo_u32 v85, s14, v7
	v_mad_u64_u32 v[6:7], s[30:31], s14, v6, 0
	v_add3_u32 v7, v7, v85, v84
	v_lshlrev_b64 v[6:7], 3, v[6:7]
	v_lshl_add_u64 v[84:85], s[16:17], 0, v[6:7]
	v_lshl_add_u64 v[86:87], s[18:19], 0, v[6:7]
	v_lshl_add_u64 v[6:7], v[2:3], 0, 11
	v_mul_lo_u32 v88, s15, v6
	v_mul_lo_u32 v89, s14, v7
	v_mad_u64_u32 v[6:7], s[30:31], s14, v6, 0
	v_add3_u32 v7, v7, v89, v88
	v_lshlrev_b64 v[6:7], 3, v[6:7]
	v_lshl_add_u64 v[88:89], s[16:17], 0, v[6:7]
	v_lshl_add_u64 v[90:91], s[18:19], 0, v[6:7]
	v_lshl_add_u64 v[6:7], v[2:3], 0, 10
	v_mul_lo_u32 v92, s15, v6
	v_mul_lo_u32 v93, s14, v7
	v_mad_u64_u32 v[6:7], s[30:31], s14, v6, 0
	v_add3_u32 v7, v7, v93, v92
	v_lshlrev_b64 v[6:7], 3, v[6:7]
	v_lshl_add_u64 v[92:93], s[16:17], 0, v[6:7]
	v_lshl_add_u64 v[94:95], s[18:19], 0, v[6:7]
	v_lshl_add_u64 v[6:7], v[2:3], 0, 9
	v_mul_lo_u32 v96, s15, v6
	v_mul_lo_u32 v97, s14, v7
	v_mad_u64_u32 v[6:7], s[30:31], s14, v6, 0
	v_add3_u32 v7, v7, v97, v96
	v_lshlrev_b64 v[6:7], 3, v[6:7]
	v_lshl_add_u64 v[96:97], s[16:17], 0, v[6:7]
	v_lshl_add_u64 v[98:99], s[18:19], 0, v[6:7]
	v_lshl_add_u64 v[6:7], v[2:3], 0, 8
	v_mul_lo_u32 v100, s15, v6
	v_mul_lo_u32 v101, s14, v7
	v_mad_u64_u32 v[6:7], s[30:31], s14, v6, 0
	v_add3_u32 v7, v7, v101, v100
	v_lshlrev_b64 v[6:7], 3, v[6:7]
	v_lshl_add_u64 v[100:101], s[16:17], 0, v[6:7]
	v_lshl_add_u64 v[102:103], s[18:19], 0, v[6:7]
	v_lshl_add_u64 v[6:7], v[2:3], 0, 7
	v_mul_lo_u32 v104, s15, v6
	v_mul_lo_u32 v105, s14, v7
	v_mad_u64_u32 v[6:7], s[30:31], s14, v6, 0
	v_add3_u32 v7, v7, v105, v104
	v_lshlrev_b64 v[6:7], 3, v[6:7]
	v_lshl_add_u64 v[104:105], s[16:17], 0, v[6:7]
	v_lshl_add_u64 v[106:107], s[18:19], 0, v[6:7]
	v_lshl_add_u64 v[6:7], v[2:3], 0, 6
	v_mul_lo_u32 v108, s15, v6
	v_mul_lo_u32 v109, s14, v7
	v_mad_u64_u32 v[6:7], s[30:31], s14, v6, 0
	v_add3_u32 v7, v7, v109, v108
	v_lshlrev_b64 v[6:7], 3, v[6:7]
	v_lshl_add_u64 v[108:109], s[16:17], 0, v[6:7]
	v_lshl_add_u64 v[110:111], s[18:19], 0, v[6:7]
	v_lshl_add_u64 v[6:7], v[2:3], 0, 5
	v_mul_lo_u32 v112, s15, v6
	v_mul_lo_u32 v113, s14, v7
	v_mad_u64_u32 v[6:7], s[30:31], s14, v6, 0
	v_add3_u32 v7, v7, v113, v112
	v_lshlrev_b64 v[6:7], 3, v[6:7]
	v_lshl_add_u64 v[112:113], s[16:17], 0, v[6:7]
	v_lshl_add_u64 v[114:115], s[18:19], 0, v[6:7]
	v_lshl_add_u64 v[6:7], v[2:3], 0, 4
	v_mul_lo_u32 v116, s15, v6
	v_mul_lo_u32 v117, s14, v7
	v_mad_u64_u32 v[6:7], s[30:31], s14, v6, 0
	v_add3_u32 v7, v7, v117, v116
	v_lshlrev_b64 v[6:7], 3, v[6:7]
	v_lshl_add_u64 v[116:117], s[16:17], 0, v[6:7]
	v_lshl_add_u64 v[118:119], s[18:19], 0, v[6:7]
	v_lshl_add_u64 v[6:7], v[2:3], 0, 3
	v_mul_lo_u32 v120, s15, v6
	v_mul_lo_u32 v121, s14, v7
	v_mad_u64_u32 v[6:7], s[30:31], s14, v6, 0
	v_add3_u32 v7, v7, v121, v120
	v_lshlrev_b64 v[6:7], 3, v[6:7]
	v_lshl_add_u64 v[120:121], s[16:17], 0, v[6:7]
	v_lshl_add_u64 v[122:123], s[18:19], 0, v[6:7]
	v_lshl_add_u64 v[6:7], v[2:3], 0, 2
	v_mul_lo_u32 v124, s15, v6
	v_mul_lo_u32 v125, s14, v7
	v_mad_u64_u32 v[6:7], s[30:31], s14, v6, 0
	v_add3_u32 v7, v7, v125, v124
	s_load_dword s9, s[0:1], 0x44
	v_lshlrev_b64 v[6:7], 3, v[6:7]
	v_lshl_add_u64 v[124:125], s[16:17], 0, v[6:7]
	v_lshl_add_u64 v[126:127], s[18:19], 0, v[6:7]
	v_mov_b64_e32 v[6:7], s[14:15]
	v_mad_u64_u32 v[6:7], s[30:31], s14, v2, v[6:7]
	v_mul_lo_u32 v132, s14, v3
	v_mul_lo_u32 v133, s15, v2
	v_mad_u64_u32 v[2:3], s[30:31], s14, v2, 0
	v_add3_u32 v3, v3, v132, v133
	s_add_u32 s24, s0, 64
	v_lshlrev_b64 v[2:3], 3, v[2:3]
	s_addc_u32 s25, s1, 0
	s_waitcnt lgkmcnt(0)
	s_lshl_b32 s22, s9, 5
	v_add3_u32 v7, v133, v7, v132
	v_lshl_add_u64 v[132:133], s[16:17], 0, v[2:3]
	v_lshl_add_u64 v[134:135], s[18:19], 0, v[2:3]
	v_mbcnt_lo_u32_b32 v2, -1, 0
	s_mul_i32 s9, s15, s22
	s_mul_hi_u32 s28, s14, s22
	v_mbcnt_hi_u32_b32 v2, -1, v2
	v_accvgpr_write_b32 a0, v0
	v_add_u32_e32 v0, s3, v0
	s_add_i32 s29, s28, s9
	s_mul_i32 s28, s14, s22
	v_lshlrev_b64 v[6:7], 3, v[6:7]
	v_lshlrev_b32_e32 v2, 2, v2
	s_mov_b32 s23, 0
	v_cmp_gt_i64_e64 s[6:7], s[14:15], v[0:1]
	v_accvgpr_write_b32 a3, v1
	v_lshlrev_b64 v[0:1], 3, v[0:1]
	s_mov_b64 s[26:27], 31
	s_lshl_b64 s[28:29], s[28:29], 3
	v_lshl_add_u64 v[128:129], s[16:17], 0, v[6:7]
	v_lshl_add_u64 v[130:131], s[18:19], 0, v[6:7]
	v_mov_b64_e32 v[136:137], 0
	v_and_b32_e32 v158, 0x100, v2
	s_mov_b64 s[30:31], s[20:21]
.LBB130_3:                              ; =>This Inner Loop Header: Depth=1
	s_add_u32 s34, s20, s26
	s_addc_u32 s35, 0, s27
	v_mov_b64_e32 v[2:3], s[12:13]
	v_cmp_ge_i64_e32 vcc, s[34:35], v[2:3]
	v_lshl_add_u64 v[138:139], s[20:21], 0, v[4:5]
	s_cbranch_vccz .LBB130_73
; %bb.4:                                ;   in Loop: Header=BB130_3 Depth=1
	s_load_dword s9, s[24:25], 0xc
	v_accvgpr_read_b32 v2, a0
	v_accvgpr_read_b32 v3, a1
	v_mov_b64_e32 v[6:7], 0
	v_mov_b64_e32 v[140:141], v[6:7]
	s_waitcnt lgkmcnt(0)
	s_and_b32 s9, s9, 0xffff
	v_mad_u32_u24 v2, v3, s9, v2
	v_and_b32_e32 v2, 63, v2
	v_accvgpr_read_b32 v3, a3
	v_accvgpr_write_b32 a2, v2
	v_accvgpr_write_b32 a3, v3
	v_cmp_gt_u32_e32 vcc, 32, v2
	s_and_saveexec_b64 s[34:35], vcc
	s_cbranch_execz .LBB130_8
; %bb.5:                                ;   in Loop: Header=BB130_3 Depth=1
	v_accvgpr_read_b32 v2, a2
	v_accvgpr_read_b32 v3, a3
	v_lshl_add_u64 v[2:3], v[138:139], 0, v[2:3]
	v_cmp_gt_i64_e32 vcc, s[12:13], v[2:3]
	v_mov_b64_e32 v[140:141], 0
	s_and_saveexec_b64 s[36:37], vcc
	s_cbranch_execz .LBB130_7
; %bb.6:                                ;   in Loop: Header=BB130_3 Depth=1
	v_lshl_add_u64 v[2:3], v[2:3], 3, s[10:11]
	global_load_dwordx2 v[140:141], v[2:3], off
.LBB130_7:                              ;   in Loop: Header=BB130_3 Depth=1
	s_or_b64 exec, exec, s[36:37]
.LBB130_8:                              ;   in Loop: Header=BB130_3 Depth=1
	s_or_b64 exec, exec, s[34:35]
	v_cmp_gt_i64_e32 vcc, s[12:13], v[138:139]
	s_and_b64 s[36:37], s[6:7], vcc
	v_mov_b64_e32 v[156:157], v[6:7]
	s_and_saveexec_b64 s[34:35], s[36:37]
	s_cbranch_execz .LBB130_10
; %bb.9:                                ;   in Loop: Header=BB130_3 Depth=1
	v_lshl_add_u64 v[2:3], v[132:133], 0, v[0:1]
	global_load_dwordx2 v[6:7], v[2:3], off
	v_lshl_add_u64 v[2:3], v[134:135], 0, v[0:1]
	global_load_dwordx2 v[156:157], v[2:3], off
.LBB130_10:                             ;   in Loop: Header=BB130_3 Depth=1
	s_or_b64 exec, exec, s[34:35]
	v_lshl_add_u64 v[2:3], v[138:139], 0, 1
	v_mov_b64_e32 v[144:145], 0
	v_cmp_gt_i64_e32 vcc, s[12:13], v[2:3]
	v_accvgpr_write_b32 a8, v144
	s_and_b64 s[36:37], s[6:7], vcc
	v_mov_b64_e32 v[160:161], v[144:145]
	v_accvgpr_write_b32 a9, v145
	s_and_saveexec_b64 s[34:35], s[36:37]
	s_cbranch_execz .LBB130_12
; %bb.11:                               ;   in Loop: Header=BB130_3 Depth=1
	v_lshl_add_u64 v[2:3], v[128:129], 0, v[0:1]
	global_load_dwordx2 v[160:161], v[2:3], off
	v_lshl_add_u64 v[2:3], v[130:131], 0, v[0:1]
	global_load_dwordx2 a[8:9], v[2:3], off
.LBB130_12:                             ;   in Loop: Header=BB130_3 Depth=1
	s_or_b64 exec, exec, s[34:35]
	v_lshl_add_u64 v[2:3], v[138:139], 0, 2
	v_cmp_gt_i64_e32 vcc, s[12:13], v[2:3]
	s_and_b64 s[36:37], s[6:7], vcc
	v_mov_b64_e32 v[164:165], v[144:145]
	s_and_saveexec_b64 s[34:35], s[36:37]
	s_cbranch_execz .LBB130_14
; %bb.13:                               ;   in Loop: Header=BB130_3 Depth=1
	v_lshl_add_u64 v[2:3], v[124:125], 0, v[0:1]
	global_load_dwordx2 v[144:145], v[2:3], off
	v_lshl_add_u64 v[2:3], v[126:127], 0, v[0:1]
	global_load_dwordx2 v[164:165], v[2:3], off
.LBB130_14:                             ;   in Loop: Header=BB130_3 Depth=1
	s_or_b64 exec, exec, s[34:35]
	v_lshl_add_u64 v[2:3], v[138:139], 0, 3
	v_mov_b64_e32 v[152:153], 0
	v_cmp_gt_i64_e32 vcc, s[12:13], v[2:3]
	v_accvgpr_write_b32 a12, v152
	v_accvgpr_write_b32 a16, v152
	s_and_b64 s[36:37], s[6:7], vcc
	v_accvgpr_write_b32 a13, v153
	v_accvgpr_write_b32 a17, v153
	s_and_saveexec_b64 s[34:35], s[36:37]
	s_cbranch_execz .LBB130_16
; %bb.15:                               ;   in Loop: Header=BB130_3 Depth=1
	v_lshl_add_u64 v[2:3], v[120:121], 0, v[0:1]
	global_load_dwordx2 a[12:13], v[2:3], off
	v_lshl_add_u64 v[2:3], v[122:123], 0, v[0:1]
	global_load_dwordx2 a[16:17], v[2:3], off
.LBB130_16:                             ;   in Loop: Header=BB130_3 Depth=1
	s_or_b64 exec, exec, s[34:35]
	v_lshl_add_u64 v[2:3], v[138:139], 0, 4
	v_cmp_gt_i64_e32 vcc, s[12:13], v[2:3]
	v_accvgpr_write_b32 a14, v152
	s_and_b64 s[36:37], s[6:7], vcc
	v_accvgpr_write_b32 a15, v153
	s_and_saveexec_b64 s[34:35], s[36:37]
	s_cbranch_execz .LBB130_18
; %bb.17:                               ;   in Loop: Header=BB130_3 Depth=1
	v_lshl_add_u64 v[2:3], v[116:117], 0, v[0:1]
	global_load_dwordx2 v[152:153], v[2:3], off
	v_lshl_add_u64 v[2:3], v[118:119], 0, v[0:1]
	global_load_dwordx2 a[14:15], v[2:3], off
.LBB130_18:                             ;   in Loop: Header=BB130_3 Depth=1
	s_or_b64 exec, exec, s[34:35]
	v_lshl_add_u64 v[2:3], v[138:139], 0, 5
	v_mov_b64_e32 v[162:163], 0
	v_cmp_gt_i64_e32 vcc, s[12:13], v[2:3]
	v_accvgpr_write_b32 a18, v162
	s_and_b64 s[36:37], s[6:7], vcc
	v_accvgpr_write_b32 a19, v163
	v_mov_b64_e32 v[166:167], v[162:163]
	s_and_saveexec_b64 s[34:35], s[36:37]
	s_cbranch_execz .LBB130_20
; %bb.19:                               ;   in Loop: Header=BB130_3 Depth=1
	v_lshl_add_u64 v[2:3], v[112:113], 0, v[0:1]
	global_load_dwordx2 a[18:19], v[2:3], off
	v_lshl_add_u64 v[2:3], v[114:115], 0, v[0:1]
	global_load_dwordx2 v[166:167], v[2:3], off
.LBB130_20:                             ;   in Loop: Header=BB130_3 Depth=1
	s_or_b64 exec, exec, s[34:35]
	v_lshl_add_u64 v[2:3], v[138:139], 0, 6
	v_cmp_gt_i64_e32 vcc, s[12:13], v[2:3]
	s_and_b64 s[36:37], s[6:7], vcc
	v_mov_b64_e32 v[176:177], v[162:163]
	s_and_saveexec_b64 s[34:35], s[36:37]
	s_cbranch_execz .LBB130_22
; %bb.21:                               ;   in Loop: Header=BB130_3 Depth=1
	v_lshl_add_u64 v[2:3], v[108:109], 0, v[0:1]
	global_load_dwordx2 v[162:163], v[2:3], off
	v_lshl_add_u64 v[2:3], v[110:111], 0, v[0:1]
	global_load_dwordx2 v[176:177], v[2:3], off
.LBB130_22:                             ;   in Loop: Header=BB130_3 Depth=1
	s_or_b64 exec, exec, s[34:35]
	v_lshl_add_u64 v[2:3], v[138:139], 0, 7
	v_cmp_gt_i64_e32 vcc, s[12:13], v[2:3]
	v_mov_b64_e32 v[168:169], 0
	s_and_b64 s[36:37], s[6:7], vcc
	v_mov_b64_e32 v[170:171], v[168:169]
	v_mov_b64_e32 v[172:173], v[168:169]
	s_and_saveexec_b64 s[34:35], s[36:37]
	s_cbranch_execz .LBB130_24
; %bb.23:                               ;   in Loop: Header=BB130_3 Depth=1
	v_lshl_add_u64 v[2:3], v[104:105], 0, v[0:1]
	global_load_dwordx2 v[170:171], v[2:3], off
	v_lshl_add_u64 v[2:3], v[106:107], 0, v[0:1]
	global_load_dwordx2 v[172:173], v[2:3], off
.LBB130_24:                             ;   in Loop: Header=BB130_3 Depth=1
	s_or_b64 exec, exec, s[34:35]
	v_lshl_add_u64 v[2:3], v[138:139], 0, 8
	v_cmp_gt_i64_e32 vcc, s[12:13], v[2:3]
	s_and_b64 s[36:37], s[6:7], vcc
	v_mov_b64_e32 v[178:179], v[168:169]
	s_and_saveexec_b64 s[34:35], s[36:37]
	s_cbranch_execz .LBB130_26
; %bb.25:                               ;   in Loop: Header=BB130_3 Depth=1
	v_lshl_add_u64 v[2:3], v[100:101], 0, v[0:1]
	global_load_dwordx2 v[168:169], v[2:3], off
	v_lshl_add_u64 v[2:3], v[102:103], 0, v[0:1]
	global_load_dwordx2 v[178:179], v[2:3], off
.LBB130_26:                             ;   in Loop: Header=BB130_3 Depth=1
	s_or_b64 exec, exec, s[34:35]
	v_lshl_add_u64 v[2:3], v[138:139], 0, 9
	v_cmp_gt_i64_e32 vcc, s[12:13], v[2:3]
	v_mov_b64_e32 v[174:175], 0
	s_and_b64 s[36:37], s[6:7], vcc
	v_mov_b64_e32 v[180:181], v[174:175]
	;; [unrolled: 28-line block ×12, first 2 shown]
	v_mov_b64_e32 v[150:151], v[146:147]
	s_and_saveexec_b64 s[34:35], s[36:37]
	s_cbranch_execz .LBB130_68
; %bb.67:                               ;   in Loop: Header=BB130_3 Depth=1
	v_lshl_add_u64 v[142:143], v[16:17], 0, v[0:1]
	global_load_dwordx2 v[148:149], v[142:143], off
	v_lshl_add_u64 v[142:143], v[18:19], 0, v[0:1]
	global_load_dwordx2 v[150:151], v[142:143], off
.LBB130_68:                             ;   in Loop: Header=BB130_3 Depth=1
	s_or_b64 exec, exec, s[34:35]
	v_lshl_add_u64 v[142:143], v[138:139], 0, 30
	v_cmp_gt_i64_e32 vcc, s[12:13], v[142:143]
	s_and_b64 s[36:37], s[6:7], vcc
	v_mov_b64_e32 v[154:155], v[146:147]
	s_and_saveexec_b64 s[34:35], s[36:37]
	s_cbranch_execz .LBB130_70
; %bb.69:                               ;   in Loop: Header=BB130_3 Depth=1
	v_lshl_add_u64 v[142:143], v[12:13], 0, v[0:1]
	global_load_dwordx2 v[146:147], v[142:143], off
	v_lshl_add_u64 v[142:143], v[14:15], 0, v[0:1]
	global_load_dwordx2 v[154:155], v[142:143], off
.LBB130_70:                             ;   in Loop: Header=BB130_3 Depth=1
	s_or_b64 exec, exec, s[34:35]
	v_lshl_add_u64 v[142:143], v[138:139], 0, 31
	s_waitcnt vmcnt(0)
	v_accvgpr_write_b32 a10, v164
	v_accvgpr_write_b32 a6, v160
	v_cmp_gt_i64_e32 vcc, s[12:13], v[142:143]
	v_accvgpr_write_b32 a11, v165
	v_accvgpr_write_b32 a7, v161
	v_mov_b64_e32 v[160:161], v[156:157]
	s_and_b64 s[36:37], s[6:7], vcc
	v_mov_b64_e32 v[142:143], 0
	s_and_saveexec_b64 s[34:35], s[36:37]
	s_cbranch_execz .LBB130_72
; %bb.71:                               ;   in Loop: Header=BB130_3 Depth=1
	v_lshl_add_u64 v[142:143], v[8:9], 0, v[0:1]
	v_lshl_add_u64 v[156:157], v[10:11], 0, v[0:1]
	global_load_dwordx2 v[142:143], v[142:143], off
	s_nop 0
	global_load_dwordx2 v[156:157], v[156:157], off
	s_waitcnt vmcnt(0)
	v_mul_f64 v[142:143], v[142:143], v[156:157]
.LBB130_72:                             ;   in Loop: Header=BB130_3 Depth=1
	s_or_b64 exec, exec, s[34:35]
	ds_bpermute_b32 v156, v158, v140
	ds_bpermute_b32 v157, v158, v141
	v_mul_f64 v[6:7], v[6:7], v[160:161]
	v_accvgpr_read_b32 v161, a7
	v_accvgpr_read_b32 v165, a9
	;; [unrolled: 1-line block ×3, first 2 shown]
	s_waitcnt lgkmcnt(0)
	v_fma_f64 v[6:7], v[6:7], v[156:157], v[136:137]
	ds_bpermute_b32 v156, v158, v140 offset:4
	ds_bpermute_b32 v157, v158, v141 offset:4
	v_accvgpr_read_b32 v164, a8
	v_mul_f64 v[160:161], v[160:161], v[164:165]
	v_mul_f64 v[2:3], v[252:253], v[2:3]
	s_waitcnt lgkmcnt(0)
	v_fmac_f64_e32 v[6:7], v[160:161], v[156:157]
	ds_bpermute_b32 v156, v158, v140 offset:8
	ds_bpermute_b32 v157, v158, v141 offset:8
	v_accvgpr_read_b32 v161, a11
	v_accvgpr_read_b32 v160, a10
	v_mul_f64 v[144:145], v[144:145], v[160:161]
	v_accvgpr_read_b32 v161, a17
	s_waitcnt lgkmcnt(0)
	v_fmac_f64_e32 v[6:7], v[144:145], v[156:157]
	ds_bpermute_b32 v144, v158, v140 offset:12
	ds_bpermute_b32 v145, v158, v141 offset:12
	v_accvgpr_read_b32 v157, a13
	v_accvgpr_read_b32 v156, a12
	;; [unrolled: 1-line block ×3, first 2 shown]
	v_mul_f64 v[156:157], v[156:157], v[160:161]
	s_waitcnt lgkmcnt(0)
	v_fmac_f64_e32 v[6:7], v[156:157], v[144:145]
	ds_bpermute_b32 v144, v158, v140 offset:16
	ds_bpermute_b32 v145, v158, v141 offset:16
	v_accvgpr_read_b32 v157, a15
	v_accvgpr_read_b32 v156, a14
	v_mul_f64 v[152:153], v[152:153], v[156:157]
	s_waitcnt lgkmcnt(0)
	v_fmac_f64_e32 v[6:7], v[152:153], v[144:145]
	ds_bpermute_b32 v144, v158, v140 offset:20
	ds_bpermute_b32 v145, v158, v141 offset:20
	v_accvgpr_read_b32 v153, a19
	v_accvgpr_read_b32 v152, a18
	v_mul_f64 v[152:153], v[152:153], v[166:167]
	s_waitcnt lgkmcnt(0)
	v_fmac_f64_e32 v[6:7], v[152:153], v[144:145]
	ds_bpermute_b32 v144, v158, v140 offset:24
	ds_bpermute_b32 v145, v158, v141 offset:24
	v_mul_f64 v[152:153], v[162:163], v[176:177]
	s_waitcnt lgkmcnt(0)
	v_fmac_f64_e32 v[6:7], v[152:153], v[144:145]
	ds_bpermute_b32 v144, v158, v140 offset:28
	ds_bpermute_b32 v145, v158, v141 offset:28
	;; [unrolled: 5-line block ×22, first 2 shown]
	s_waitcnt lgkmcnt(0)
	v_fmac_f64_e32 v[6:7], v[2:3], v[144:145]
	ds_bpermute_b32 v2, v158, v140 offset:112
	ds_bpermute_b32 v3, v158, v141 offset:112
	v_mul_f64 v[144:145], v[246:247], v[254:255]
	s_waitcnt lgkmcnt(0)
	v_fmac_f64_e32 v[6:7], v[144:145], v[2:3]
	ds_bpermute_b32 v2, v158, v140 offset:116
	ds_bpermute_b32 v3, v158, v141 offset:116
	v_mul_f64 v[144:145], v[148:149], v[150:151]
	;; [unrolled: 5-line block ×3, first 2 shown]
	s_waitcnt lgkmcnt(0)
	v_fmac_f64_e32 v[6:7], v[144:145], v[2:3]
	ds_bpermute_b32 v2, v158, v140 offset:124
	ds_bpermute_b32 v3, v158, v141 offset:124
	s_branch .LBB130_143
.LBB130_73:                             ;   in Loop: Header=BB130_3 Depth=1
                                        ; implicit-def: $vgpr6_vgpr7
                                        ; implicit-def: $vgpr142_vgpr143
                                        ; implicit-def: $vgpr2
	s_cbranch_execz .LBB130_143
; %bb.74:                               ;   in Loop: Header=BB130_3 Depth=1
	s_load_dword s9, s[24:25], 0x0
	v_accvgpr_read_b32 v7, a3
	s_waitcnt lgkmcnt(0)
	v_accvgpr_read_b32 v3, a0
	v_accvgpr_read_b32 v6, a1
	v_mov_b64_e32 v[140:141], 0
	s_cmp_lt_u32 s2, s9
	s_cselect_b32 s9, 12, 18
	s_add_u32 s34, s24, s9
	s_addc_u32 s35, s25, 0
	global_load_ushort v2, v7, s[34:35]
	s_waitcnt vmcnt(0)
	v_mad_u32_u24 v2, v6, v2, v3
	v_and_b32_e32 v6, 63, v2
	v_accvgpr_write_b32 a2, v6
	v_accvgpr_write_b32 a3, v7
	v_cmp_gt_u32_e32 vcc, 32, v6
	v_mov_b64_e32 v[6:7], v[140:141]
	s_and_saveexec_b64 s[34:35], vcc
	s_cbranch_execz .LBB130_78
; %bb.75:                               ;   in Loop: Header=BB130_3 Depth=1
	v_accvgpr_read_b32 v2, a2
	v_accvgpr_read_b32 v3, a3
	v_lshl_add_u64 v[2:3], v[138:139], 0, v[2:3]
	v_cmp_gt_i64_e32 vcc, s[12:13], v[2:3]
	v_mov_b64_e32 v[6:7], 0
	s_and_saveexec_b64 s[36:37], vcc
	s_cbranch_execz .LBB130_77
; %bb.76:                               ;   in Loop: Header=BB130_3 Depth=1
	v_lshl_add_u64 v[2:3], v[2:3], 3, s[10:11]
	global_load_dwordx2 v[6:7], v[2:3], off
.LBB130_77:                             ;   in Loop: Header=BB130_3 Depth=1
	s_or_b64 exec, exec, s[36:37]
.LBB130_78:                             ;   in Loop: Header=BB130_3 Depth=1
	s_or_b64 exec, exec, s[34:35]
	v_mov_b64_e32 v[152:153], v[140:141]
	s_and_saveexec_b64 s[34:35], s[6:7]
	s_cbranch_execz .LBB130_80
; %bb.79:                               ;   in Loop: Header=BB130_3 Depth=1
	v_lshl_add_u64 v[2:3], v[132:133], 0, v[0:1]
	global_load_dwordx2 v[140:141], v[2:3], off
	v_lshl_add_u64 v[2:3], v[134:135], 0, v[0:1]
	global_load_dwordx2 v[152:153], v[2:3], off
.LBB130_80:                             ;   in Loop: Header=BB130_3 Depth=1
	s_or_b64 exec, exec, s[34:35]
	v_mov_b64_e32 v[138:139], 0
	v_accvgpr_write_b32 a6, v138
	v_mov_b64_e32 v[154:155], v[138:139]
	v_accvgpr_write_b32 a7, v139
	s_and_saveexec_b64 s[34:35], s[6:7]
	s_cbranch_execz .LBB130_82
; %bb.81:                               ;   in Loop: Header=BB130_3 Depth=1
	v_lshl_add_u64 v[2:3], v[128:129], 0, v[0:1]
	global_load_dwordx2 v[154:155], v[2:3], off
	v_lshl_add_u64 v[2:3], v[130:131], 0, v[0:1]
	global_load_dwordx2 a[6:7], v[2:3], off
.LBB130_82:                             ;   in Loop: Header=BB130_3 Depth=1
	s_or_b64 exec, exec, s[34:35]
	v_accvgpr_write_b32 a8, v138
	v_accvgpr_write_b32 a9, v139
	s_and_saveexec_b64 s[34:35], s[6:7]
	s_cbranch_execz .LBB130_84
; %bb.83:                               ;   in Loop: Header=BB130_3 Depth=1
	v_lshl_add_u64 v[2:3], v[124:125], 0, v[0:1]
	global_load_dwordx2 v[138:139], v[2:3], off
	v_lshl_add_u64 v[2:3], v[126:127], 0, v[0:1]
	global_load_dwordx2 a[8:9], v[2:3], off
.LBB130_84:                             ;   in Loop: Header=BB130_3 Depth=1
	s_or_b64 exec, exec, s[34:35]
	v_mov_b64_e32 v[144:145], 0
	v_accvgpr_write_b32 a12, v144
	v_accvgpr_write_b32 a13, v145
	v_mov_b64_e32 v[160:161], v[144:145]
	s_and_saveexec_b64 s[34:35], s[6:7]
	s_cbranch_execz .LBB130_86
; %bb.85:                               ;   in Loop: Header=BB130_3 Depth=1
	v_lshl_add_u64 v[2:3], v[120:121], 0, v[0:1]
	global_load_dwordx2 a[12:13], v[2:3], off
	v_lshl_add_u64 v[2:3], v[122:123], 0, v[0:1]
	global_load_dwordx2 v[160:161], v[2:3], off
.LBB130_86:                             ;   in Loop: Header=BB130_3 Depth=1
	s_or_b64 exec, exec, s[34:35]
	v_accvgpr_write_b32 a10, v144
	v_accvgpr_write_b32 a11, v145
	s_and_saveexec_b64 s[34:35], s[6:7]
	s_cbranch_execz .LBB130_88
; %bb.87:                               ;   in Loop: Header=BB130_3 Depth=1
	v_lshl_add_u64 v[2:3], v[116:117], 0, v[0:1]
	global_load_dwordx2 v[144:145], v[2:3], off
	v_lshl_add_u64 v[2:3], v[118:119], 0, v[0:1]
	global_load_dwordx2 a[10:11], v[2:3], off
.LBB130_88:                             ;   in Loop: Header=BB130_3 Depth=1
	s_or_b64 exec, exec, s[34:35]
	v_mov_b64_e32 v[156:157], 0
	v_mov_b64_e32 v[164:165], v[156:157]
	v_mov_b64_e32 v[168:169], v[156:157]
	s_and_saveexec_b64 s[34:35], s[6:7]
	s_cbranch_execz .LBB130_90
; %bb.89:                               ;   in Loop: Header=BB130_3 Depth=1
	v_lshl_add_u64 v[2:3], v[112:113], 0, v[0:1]
	global_load_dwordx2 v[164:165], v[2:3], off
	v_lshl_add_u64 v[2:3], v[114:115], 0, v[0:1]
	global_load_dwordx2 v[168:169], v[2:3], off
.LBB130_90:                             ;   in Loop: Header=BB130_3 Depth=1
	s_or_b64 exec, exec, s[34:35]
	v_mov_b64_e32 v[174:175], v[156:157]
	s_and_saveexec_b64 s[34:35], s[6:7]
	s_cbranch_execz .LBB130_92
; %bb.91:                               ;   in Loop: Header=BB130_3 Depth=1
	v_lshl_add_u64 v[2:3], v[108:109], 0, v[0:1]
	global_load_dwordx2 v[156:157], v[2:3], off
	v_lshl_add_u64 v[2:3], v[110:111], 0, v[0:1]
	global_load_dwordx2 v[174:175], v[2:3], off
.LBB130_92:                             ;   in Loop: Header=BB130_3 Depth=1
	s_or_b64 exec, exec, s[34:35]
	v_mov_b64_e32 v[162:163], 0
	v_mov_b64_e32 v[170:171], v[162:163]
	v_mov_b64_e32 v[172:173], v[162:163]
	s_and_saveexec_b64 s[34:35], s[6:7]
	s_cbranch_execz .LBB130_94
; %bb.93:                               ;   in Loop: Header=BB130_3 Depth=1
	v_lshl_add_u64 v[2:3], v[104:105], 0, v[0:1]
	global_load_dwordx2 v[170:171], v[2:3], off
	v_lshl_add_u64 v[2:3], v[106:107], 0, v[0:1]
	global_load_dwordx2 v[172:173], v[2:3], off
.LBB130_94:                             ;   in Loop: Header=BB130_3 Depth=1
	s_or_b64 exec, exec, s[34:35]
	v_mov_b64_e32 v[176:177], v[162:163]
	;; [unrolled: 22-line block ×3, first 2 shown]
	s_and_saveexec_b64 s[34:35], s[6:7]
	s_cbranch_execz .LBB130_100
; %bb.99:                               ;   in Loop: Header=BB130_3 Depth=1
	v_lshl_add_u64 v[2:3], v[92:93], 0, v[0:1]
	global_load_dwordx2 v[166:167], v[2:3], off
	v_lshl_add_u64 v[2:3], v[94:95], 0, v[0:1]
	global_load_dwordx2 v[178:179], v[2:3], off
.LBB130_100:                            ;   in Loop: Header=BB130_3 Depth=1
	s_or_b64 exec, exec, s[34:35]
	v_mov_b64_e32 v[180:181], 0
	v_mov_b64_e32 v[188:189], v[180:181]
	v_mov_b64_e32 v[192:193], v[180:181]
	s_and_saveexec_b64 s[34:35], s[6:7]
	s_cbranch_execz .LBB130_102
; %bb.101:                              ;   in Loop: Header=BB130_3 Depth=1
	v_lshl_add_u64 v[2:3], v[88:89], 0, v[0:1]
	global_load_dwordx2 v[188:189], v[2:3], off
	v_lshl_add_u64 v[2:3], v[90:91], 0, v[0:1]
	global_load_dwordx2 v[192:193], v[2:3], off
.LBB130_102:                            ;   in Loop: Header=BB130_3 Depth=1
	s_or_b64 exec, exec, s[34:35]
	v_mov_b64_e32 v[198:199], v[180:181]
	s_and_saveexec_b64 s[34:35], s[6:7]
	s_cbranch_execz .LBB130_104
; %bb.103:                              ;   in Loop: Header=BB130_3 Depth=1
	v_lshl_add_u64 v[2:3], v[84:85], 0, v[0:1]
	global_load_dwordx2 v[180:181], v[2:3], off
	v_lshl_add_u64 v[2:3], v[86:87], 0, v[0:1]
	global_load_dwordx2 v[198:199], v[2:3], off
.LBB130_104:                            ;   in Loop: Header=BB130_3 Depth=1
	s_or_b64 exec, exec, s[34:35]
	v_mov_b64_e32 v[186:187], 0
	v_mov_b64_e32 v[194:195], v[186:187]
	v_mov_b64_e32 v[196:197], v[186:187]
	s_and_saveexec_b64 s[34:35], s[6:7]
	s_cbranch_execz .LBB130_106
; %bb.105:                              ;   in Loop: Header=BB130_3 Depth=1
	v_lshl_add_u64 v[2:3], v[80:81], 0, v[0:1]
	global_load_dwordx2 v[194:195], v[2:3], off
	v_lshl_add_u64 v[2:3], v[82:83], 0, v[0:1]
	global_load_dwordx2 v[196:197], v[2:3], off
.LBB130_106:                            ;   in Loop: Header=BB130_3 Depth=1
	s_or_b64 exec, exec, s[34:35]
	v_mov_b64_e32 v[200:201], v[186:187]
	s_and_saveexec_b64 s[34:35], s[6:7]
	s_cbranch_execz .LBB130_108
; %bb.107:                              ;   in Loop: Header=BB130_3 Depth=1
	v_lshl_add_u64 v[2:3], v[76:77], 0, v[0:1]
	global_load_dwordx2 v[186:187], v[2:3], off
	v_lshl_add_u64 v[2:3], v[78:79], 0, v[0:1]
	global_load_dwordx2 v[200:201], v[2:3], off
.LBB130_108:                            ;   in Loop: Header=BB130_3 Depth=1
	;; [unrolled: 22-line block ×10, first 2 shown]
	s_or_b64 exec, exec, s[34:35]
	s_waitcnt vmcnt(1)
	v_accvgpr_write_b32 a4, v154
	v_accvgpr_write_b32 a5, v155
	v_mov_b64_e32 v[142:143], 0
	s_and_saveexec_b64 s[34:35], s[6:7]
	s_cbranch_execz .LBB130_142
; %bb.141:                              ;   in Loop: Header=BB130_3 Depth=1
	v_lshl_add_u64 v[142:143], v[8:9], 0, v[0:1]
	v_lshl_add_u64 v[154:155], v[10:11], 0, v[0:1]
	global_load_dwordx2 v[142:143], v[142:143], off
	s_nop 0
	global_load_dwordx2 v[154:155], v[154:155], off
	s_waitcnt vmcnt(0)
	v_mul_f64 v[142:143], v[142:143], v[154:155]
.LBB130_142:                            ;   in Loop: Header=BB130_3 Depth=1
	s_or_b64 exec, exec, s[34:35]
	s_waitcnt vmcnt(0)
	ds_bpermute_b32 v154, v158, v6
	ds_bpermute_b32 v155, v158, v7
	v_mul_f64 v[140:141], v[140:141], v[152:153]
	v_accvgpr_read_b32 v153, a7
	v_accvgpr_read_b32 v152, a6
	v_mul_f64 v[2:3], v[238:239], v[2:3]
	s_waitcnt lgkmcnt(0)
	v_fmac_f64_e32 v[136:137], v[140:141], v[154:155]
	ds_bpermute_b32 v140, v158, v6 offset:4
	ds_bpermute_b32 v141, v158, v7 offset:4
	v_accvgpr_read_b32 v155, a5
	v_accvgpr_read_b32 v154, a4
	v_mul_f64 v[154:155], v[154:155], v[152:153]
	v_accvgpr_read_b32 v153, a9
	s_waitcnt lgkmcnt(0)
	v_fmac_f64_e32 v[136:137], v[154:155], v[140:141]
	ds_bpermute_b32 v140, v158, v6 offset:8
	ds_bpermute_b32 v141, v158, v7 offset:8
	v_accvgpr_read_b32 v152, a8
	v_mul_f64 v[138:139], v[138:139], v[152:153]
	s_waitcnt lgkmcnt(0)
	v_fmac_f64_e32 v[136:137], v[138:139], v[140:141]
	ds_bpermute_b32 v138, v158, v6 offset:12
	ds_bpermute_b32 v139, v158, v7 offset:12
	v_accvgpr_read_b32 v141, a13
	v_accvgpr_read_b32 v140, a12
	v_mul_f64 v[140:141], v[140:141], v[160:161]
	s_waitcnt lgkmcnt(0)
	v_fmac_f64_e32 v[136:137], v[140:141], v[138:139]
	ds_bpermute_b32 v138, v158, v6 offset:16
	ds_bpermute_b32 v139, v158, v7 offset:16
	v_accvgpr_read_b32 v141, a11
	v_accvgpr_read_b32 v140, a10
	v_mul_f64 v[140:141], v[144:145], v[140:141]
	s_waitcnt lgkmcnt(0)
	v_fmac_f64_e32 v[136:137], v[140:141], v[138:139]
	ds_bpermute_b32 v138, v158, v6 offset:20
	ds_bpermute_b32 v139, v158, v7 offset:20
	v_mul_f64 v[140:141], v[164:165], v[168:169]
	s_waitcnt lgkmcnt(0)
	v_fmac_f64_e32 v[136:137], v[140:141], v[138:139]
	ds_bpermute_b32 v138, v158, v6 offset:24
	ds_bpermute_b32 v139, v158, v7 offset:24
	;; [unrolled: 5-line block ×24, first 2 shown]
	s_waitcnt lgkmcnt(0)
	v_fmac_f64_e32 v[136:137], v[2:3], v[138:139]
	ds_bpermute_b32 v2, v158, v6 offset:116
	ds_bpermute_b32 v3, v158, v7 offset:116
	v_mul_f64 v[138:139], v[146:147], v[148:149]
	s_waitcnt lgkmcnt(0)
	v_fmac_f64_e32 v[136:137], v[138:139], v[2:3]
	ds_bpermute_b32 v2, v158, v6 offset:120
	ds_bpermute_b32 v3, v158, v7 offset:120
	v_mul_f64 v[138:139], v[250:251], v[150:151]
	s_waitcnt lgkmcnt(0)
	v_fmac_f64_e32 v[136:137], v[138:139], v[2:3]
	ds_bpermute_b32 v2, v158, v6 offset:124
	ds_bpermute_b32 v3, v158, v7 offset:124
	v_mov_b64_e32 v[6:7], v[136:137]
.LBB130_143:                            ;   in Loop: Header=BB130_3 Depth=1
	s_add_u32 s30, s30, s22
	s_waitcnt lgkmcnt(0)
	v_fmac_f64_e32 v[6:7], v[142:143], v[2:3]
	s_addc_u32 s31, s31, 0
	v_mov_b64_e32 v[2:3], s[12:13]
	s_add_u32 s26, s26, s22
	v_cmp_lt_i64_e32 vcc, s[30:31], v[2:3]
	v_lshl_add_u64 v[8:9], v[8:9], 0, s[28:29]
	v_lshl_add_u64 v[10:11], v[10:11], 0, s[28:29]
	v_lshl_add_u64 v[12:13], v[12:13], 0, s[28:29]
	v_lshl_add_u64 v[14:15], v[14:15], 0, s[28:29]
	v_lshl_add_u64 v[16:17], v[16:17], 0, s[28:29]
	v_lshl_add_u64 v[18:19], v[18:19], 0, s[28:29]
	v_lshl_add_u64 v[20:21], v[20:21], 0, s[28:29]
	v_lshl_add_u64 v[22:23], v[22:23], 0, s[28:29]
	v_lshl_add_u64 v[24:25], v[24:25], 0, s[28:29]
	v_lshl_add_u64 v[26:27], v[26:27], 0, s[28:29]
	v_lshl_add_u64 v[28:29], v[28:29], 0, s[28:29]
	v_lshl_add_u64 v[30:31], v[30:31], 0, s[28:29]
	v_lshl_add_u64 v[32:33], v[32:33], 0, s[28:29]
	v_lshl_add_u64 v[34:35], v[34:35], 0, s[28:29]
	v_lshl_add_u64 v[36:37], v[36:37], 0, s[28:29]
	v_lshl_add_u64 v[38:39], v[38:39], 0, s[28:29]
	v_lshl_add_u64 v[40:41], v[40:41], 0, s[28:29]
	v_lshl_add_u64 v[42:43], v[42:43], 0, s[28:29]
	v_lshl_add_u64 v[44:45], v[44:45], 0, s[28:29]
	v_lshl_add_u64 v[46:47], v[46:47], 0, s[28:29]
	v_lshl_add_u64 v[48:49], v[48:49], 0, s[28:29]
	v_lshl_add_u64 v[50:51], v[50:51], 0, s[28:29]
	v_lshl_add_u64 v[52:53], v[52:53], 0, s[28:29]
	v_lshl_add_u64 v[54:55], v[54:55], 0, s[28:29]
	v_lshl_add_u64 v[56:57], v[56:57], 0, s[28:29]
	v_lshl_add_u64 v[58:59], v[58:59], 0, s[28:29]
	v_lshl_add_u64 v[60:61], v[60:61], 0, s[28:29]
	v_lshl_add_u64 v[62:63], v[62:63], 0, s[28:29]
	v_lshl_add_u64 v[64:65], v[64:65], 0, s[28:29]
	v_lshl_add_u64 v[66:67], v[66:67], 0, s[28:29]
	v_lshl_add_u64 v[68:69], v[68:69], 0, s[28:29]
	v_lshl_add_u64 v[70:71], v[70:71], 0, s[28:29]
	v_lshl_add_u64 v[72:73], v[72:73], 0, s[28:29]
	v_lshl_add_u64 v[74:75], v[74:75], 0, s[28:29]
	v_lshl_add_u64 v[76:77], v[76:77], 0, s[28:29]
	v_lshl_add_u64 v[78:79], v[78:79], 0, s[28:29]
	v_lshl_add_u64 v[80:81], v[80:81], 0, s[28:29]
	v_lshl_add_u64 v[82:83], v[82:83], 0, s[28:29]
	v_lshl_add_u64 v[84:85], v[84:85], 0, s[28:29]
	v_lshl_add_u64 v[86:87], v[86:87], 0, s[28:29]
	v_lshl_add_u64 v[88:89], v[88:89], 0, s[28:29]
	v_lshl_add_u64 v[90:91], v[90:91], 0, s[28:29]
	v_lshl_add_u64 v[92:93], v[92:93], 0, s[28:29]
	v_lshl_add_u64 v[94:95], v[94:95], 0, s[28:29]
	v_lshl_add_u64 v[96:97], v[96:97], 0, s[28:29]
	v_lshl_add_u64 v[98:99], v[98:99], 0, s[28:29]
	v_lshl_add_u64 v[100:101], v[100:101], 0, s[28:29]
	v_lshl_add_u64 v[102:103], v[102:103], 0, s[28:29]
	v_lshl_add_u64 v[104:105], v[104:105], 0, s[28:29]
	v_lshl_add_u64 v[106:107], v[106:107], 0, s[28:29]
	v_lshl_add_u64 v[108:109], v[108:109], 0, s[28:29]
	v_lshl_add_u64 v[110:111], v[110:111], 0, s[28:29]
	v_lshl_add_u64 v[112:113], v[112:113], 0, s[28:29]
	v_lshl_add_u64 v[114:115], v[114:115], 0, s[28:29]
	v_lshl_add_u64 v[116:117], v[116:117], 0, s[28:29]
	v_lshl_add_u64 v[118:119], v[118:119], 0, s[28:29]
	v_lshl_add_u64 v[120:121], v[120:121], 0, s[28:29]
	v_lshl_add_u64 v[122:123], v[122:123], 0, s[28:29]
	v_lshl_add_u64 v[124:125], v[124:125], 0, s[28:29]
	v_lshl_add_u64 v[126:127], v[126:127], 0, s[28:29]
	v_lshl_add_u64 v[128:129], v[128:129], 0, s[28:29]
	v_lshl_add_u64 v[130:131], v[130:131], 0, s[28:29]
	v_lshl_add_u64 v[4:5], v[4:5], 0, s[22:23]
	v_lshl_add_u64 v[132:133], v[132:133], 0, s[28:29]
	v_lshl_add_u64 v[134:135], v[134:135], 0, s[28:29]
	s_addc_u32 s27, s27, 0
	s_cbranch_vccz .LBB130_146
; %bb.144:                              ;   in Loop: Header=BB130_3 Depth=1
	v_mov_b64_e32 v[136:137], v[6:7]
	s_branch .LBB130_3
.LBB130_145:
                                        ; implicit-def: $vgpr6_vgpr7
	s_load_dwordx2 s[6:7], s[0:1], 0x30
	s_branch .LBB130_148
.LBB130_146:
	v_mov_b32_e32 v85, v159
.LBB130_147:
	s_load_dwordx2 s[6:7], s[0:1], 0x30
	s_cbranch_execnz .LBB130_228
.LBB130_148:
	s_and_b64 vcc, exec, s[4:5]
	v_mov_b64_e32 v[6:7], 0
	s_cbranch_vccnz .LBB130_228
; %bb.149:
	v_and_b32_e32 v0, 0x3ff, v85
	v_add_u32_e32 v130, s3, v0
	v_mov_b32_e32 v131, 0
	v_bfe_u32 v31, v85, 10, 10
	v_lshlrev_b64 v[4:5], 3, v[130:131]
	v_lshlrev_b32_e32 v130, 8, v31
	v_accvgpr_write_b32 a0, v0
	v_lshl_add_u64 v[0:1], s[20:21], 3, v[130:131]
	v_lshl_add_u64 v[6:7], v[0:1], 0, 8
	v_mov_b64_e32 v[2:3], s[16:17]
	v_lshl_add_u64 v[10:11], v[0:1], 0, 16
	v_lshl_add_u64 v[12:13], v[0:1], 0, 24
	;; [unrolled: 1-line block ×7, first 2 shown]
	v_mov_b64_e32 v[8:9], s[18:19]
	v_mad_u64_u32 v[90:91], s[4:5], s14, v6, v[2:3]
	v_mad_u64_u32 v[92:93], s[4:5], s14, v10, v[2:3]
	;; [unrolled: 1-line block ×9, first 2 shown]
	v_mul_lo_u32 v7, s14, v7
	v_mul_lo_u32 v24, s15, v6
	s_mov_b64 s[4:5], 0x48
	v_add3_u32 v91, v24, v91, v7
	v_add3_u32 v107, v24, v107, v7
	v_lshl_add_u64 v[6:7], v[0:1], 0, s[4:5]
	v_mad_u64_u32 v[110:111], s[4:5], s14, v12, v[8:9]
	v_mad_u64_u32 v[112:113], s[4:5], s14, v6, v[2:3]
	;; [unrolled: 1-line block ×3, first 2 shown]
	v_mul_lo_u32 v11, s14, v11
	v_mul_lo_u32 v25, s15, v10
	;; [unrolled: 1-line block ×4, first 2 shown]
	v_mad_u64_u32 v[108:109], s[22:23], s14, v10, v[8:9]
	s_mov_b64 s[4:5], 0x50
	v_add3_u32 v93, v25, v93, v11
	v_add3_u32 v95, v26, v95, v13
	v_mul_lo_u32 v21, s14, v21
	v_mul_lo_u32 v30, s15, v20
	v_add3_u32 v109, v25, v109, v11
	v_add3_u32 v111, v26, v111, v13
	v_lshl_add_u64 v[10:11], v[0:1], 0, s[4:5]
	v_mad_u64_u32 v[12:13], s[4:5], s14, v20, v[8:9]
	v_add3_u32 v13, v30, v13, v21
	v_accvgpr_write_b32 a37, v13
	v_mul_lo_u32 v23, s14, v23
	v_mul_lo_u32 v24, s15, v22
	v_accvgpr_write_b32 a36, v12
	v_mad_u64_u32 v[12:13], s[22:23], s14, v22, v[8:9]
	v_mad_u64_u32 v[118:119], s[4:5], s14, v18, v[8:9]
	;; [unrolled: 1-line block ×3, first 2 shown]
	v_add3_u32 v13, v24, v13, v23
	v_mul_lo_u32 v17, s14, v17
	v_mul_lo_u32 v28, s15, v16
	v_mad_u64_u32 v[116:117], s[22:23], s14, v16, v[8:9]
	s_mov_b64 s[4:5], 0x58
	v_accvgpr_write_b32 a39, v13
	v_mul_lo_u32 v27, s15, v14
	v_add3_u32 v99, v28, v99, v17
	v_mul_lo_u32 v7, s14, v7
	v_mul_lo_u32 v14, s15, v6
	v_add3_u32 v117, v28, v117, v17
	v_accvgpr_write_b32 a38, v12
	v_lshl_add_u64 v[12:13], v[0:1], 0, s[4:5]
	v_mad_u64_u32 v[16:17], s[4:5], s14, v6, v[8:9]
	v_mul_lo_u32 v15, s14, v15
	v_mul_lo_u32 v19, s14, v19
	;; [unrolled: 1-line block ×3, first 2 shown]
	v_add3_u32 v17, v14, v17, v7
	v_add3_u32 v97, v27, v97, v15
	v_add3_u32 v101, v29, v101, v19
	v_add3_u32 v115, v27, v115, v15
	v_add3_u32 v119, v29, v119, v19
	v_mul_lo_u32 v11, s14, v11
	v_mul_lo_u32 v15, s15, v10
	v_accvgpr_write_b32 a41, v17
	v_mad_u64_u32 v[18:19], s[4:5], s14, v10, v[8:9]
	v_add3_u32 v113, v14, v113, v7
	v_add3_u32 v121, v15, v121, v11
	v_accvgpr_write_b32 a40, v16
	v_mad_u64_u32 v[16:17], s[4:5], s14, v12, v[2:3]
	v_mul_lo_u32 v6, s14, v13
	v_add3_u32 v19, v15, v19, v11
	v_mul_lo_u32 v7, s15, v12
	v_mad_u64_u32 v[10:11], s[22:23], s14, v12, v[8:9]
	s_mov_b64 s[4:5], 0x60
	v_add3_u32 v11, v7, v11, v6
	v_add3_u32 v17, v7, v17, v6
	v_accvgpr_write_b32 a47, v11
	v_lshl_add_u64 v[6:7], v[0:1], 0, s[4:5]
	v_accvgpr_write_b32 a46, v10
	v_mul_lo_u32 v7, s14, v7
	v_mul_lo_u32 v10, s15, v6
	v_mad_u64_u32 v[12:13], s[4:5], s14, v6, v[2:3]
	v_add3_u32 v13, v10, v13, v7
	v_accvgpr_write_b32 a49, v13
	v_accvgpr_write_b32 a48, v12
	v_mad_u64_u32 v[12:13], s[4:5], s14, v6, v[8:9]
	v_add3_u32 v13, v10, v13, v7
	s_mov_b64 s[4:5], 0x68
	v_accvgpr_write_b32 a51, v13
	v_lshl_add_u64 v[6:7], v[0:1], 0, s[4:5]
	v_accvgpr_write_b32 a50, v12
	v_mul_lo_u32 v7, s14, v7
	v_mul_lo_u32 v10, s15, v6
	v_mad_u64_u32 v[12:13], s[4:5], s14, v6, v[2:3]
	v_add3_u32 v13, v10, v13, v7
	v_accvgpr_write_b32 a53, v13
	v_accvgpr_write_b32 a52, v12
	v_mad_u64_u32 v[12:13], s[4:5], s14, v6, v[8:9]
	v_add3_u32 v13, v10, v13, v7
	s_mov_b64 s[4:5], 0x70
	;; [unrolled: 12-line block ×17, first 2 shown]
	v_accvgpr_write_b32 a115, v13
	v_lshl_add_u64 v[6:7], v[0:1], 0, s[4:5]
	v_accvgpr_write_b32 a114, v12
	v_mul_lo_u32 v7, s14, v7
	v_mul_lo_u32 v10, s15, v6
	v_mad_u64_u32 v[12:13], s[4:5], s14, v6, v[2:3]
	v_add3_u32 v13, v10, v13, v7
	v_accvgpr_write_b32 a117, v13
	v_accvgpr_write_b32 a116, v12
	v_mad_u64_u32 v[12:13], s[4:5], s14, v6, v[8:9]
	s_mov_b64 s[4:5], 0xf0
	v_add3_u32 v13, v10, v13, v7
	v_lshl_add_u64 v[6:7], v[0:1], 0, s[4:5]
	v_mad_u64_u32 v[122:123], s[4:5], s14, v6, v[2:3]
	v_mad_u64_u32 v[124:125], s[4:5], s14, v6, v[8:9]
	s_mov_b64 s[4:5], 0xf8
	v_mul_lo_u32 v7, s14, v7
	v_mul_lo_u32 v10, s15, v6
	v_lshl_add_u64 v[0:1], v[0:1], 0, s[4:5]
	v_lshlrev_b32_e32 v130, 5, v31
	v_add3_u32 v123, v10, v123, v7
	v_add3_u32 v125, v10, v125, v7
	v_mad_u64_u32 v[126:127], s[4:5], s14, v0, v[2:3]
	v_mad_u64_u32 v[128:129], s[4:5], s14, v0, v[8:9]
	v_mul_lo_u32 v1, s14, v1
	v_mul_lo_u32 v0, s15, v0
	v_lshl_add_u64 v[6:7], v[130:131], 0, s[20:21]
	v_add3_u32 v127, v0, v127, v1
	v_add3_u32 v129, v0, v129, v1
	v_lshl_add_u64 v[0:1], v[6:7], 0, 31
	v_mul_lo_u32 v2, s15, v0
	v_mul_lo_u32 v3, s14, v1
	v_mad_u64_u32 v[0:1], s[4:5], s14, v0, 0
	v_add3_u32 v1, v1, v3, v2
	v_lshl_add_u64 v[2:3], v[6:7], 0, 30
	v_mul_lo_u32 v8, s15, v2
	v_mul_lo_u32 v9, s14, v3
	v_mad_u64_u32 v[2:3], s[4:5], s14, v2, 0
	;; [unrolled: 5-line block ×3, first 2 shown]
	v_accvgpr_write_b32 a119, v13
	v_add3_u32 v9, v9, v11, v10
	v_lshl_add_u64 v[10:11], v[6:7], 0, 28
	v_accvgpr_write_b32 a118, v12
	v_mul_lo_u32 v12, s15, v10
	v_mul_lo_u32 v13, s14, v11
	v_mad_u64_u32 v[10:11], s[4:5], s14, v10, 0
	v_add3_u32 v11, v11, v13, v12
	v_lshl_add_u64 v[12:13], v[6:7], 0, 27
	v_mul_lo_u32 v14, s15, v12
	v_mul_lo_u32 v15, s14, v13
	v_mad_u64_u32 v[12:13], s[4:5], s14, v12, 0
	v_accvgpr_write_b32 a43, v17
	v_add3_u32 v13, v13, v15, v14
	v_lshl_add_u64 v[14:15], v[6:7], 0, 26
	v_accvgpr_write_b32 a42, v16
	v_mul_lo_u32 v16, s15, v14
	v_mul_lo_u32 v17, s14, v15
	v_mad_u64_u32 v[14:15], s[4:5], s14, v14, 0
	v_accvgpr_write_b32 a45, v19
	v_add3_u32 v15, v15, v17, v16
	v_lshl_add_u64 v[16:17], v[6:7], 0, 25
	v_accvgpr_write_b32 a44, v18
	v_mul_lo_u32 v18, s15, v16
	v_mul_lo_u32 v19, s14, v17
	v_mad_u64_u32 v[16:17], s[4:5], s14, v16, 0
	v_add3_u32 v17, v17, v19, v18
	v_lshl_add_u64 v[18:19], v[6:7], 0, 24
	v_add3_u32 v103, v30, v103, v21
	v_mul_lo_u32 v20, s15, v18
	v_mul_lo_u32 v21, s14, v19
	v_mad_u64_u32 v[18:19], s[4:5], s14, v18, 0
	v_add3_u32 v19, v19, v21, v20
	v_lshl_add_u64 v[20:21], v[6:7], 0, 23
	v_add3_u32 v105, v24, v105, v23
	v_mul_lo_u32 v22, s15, v20
	v_mul_lo_u32 v23, s14, v21
	v_mad_u64_u32 v[20:21], s[4:5], s14, v20, 0
	v_add3_u32 v21, v21, v23, v22
	v_lshl_add_u64 v[22:23], v[6:7], 0, 22
	v_mul_lo_u32 v24, s15, v22
	v_mul_lo_u32 v25, s14, v23
	v_mad_u64_u32 v[22:23], s[4:5], s14, v22, 0
	v_add3_u32 v23, v23, v25, v24
	v_lshl_add_u64 v[24:25], v[6:7], 0, 21
	;; [unrolled: 5-line block ×4, first 2 shown]
	v_accvgpr_write_b32 a1, v31
	v_mul_lo_u32 v30, s15, v28
	v_mul_lo_u32 v31, s14, v29
	v_mad_u64_u32 v[28:29], s[4:5], s14, v28, 0
	v_add3_u32 v29, v29, v31, v30
	v_lshl_add_u64 v[30:31], v[6:7], 0, 18
	v_mul_lo_u32 v32, s15, v30
	v_mul_lo_u32 v33, s14, v31
	v_mad_u64_u32 v[30:31], s[4:5], s14, v30, 0
	v_add3_u32 v31, v31, v33, v32
	v_lshl_add_u64 v[32:33], v[6:7], 0, 17
	;; [unrolled: 5-line block ×6, first 2 shown]
	v_lshlrev_b64 v[0:1], 3, v[0:1]
	v_mul_lo_u32 v42, s15, v40
	v_mul_lo_u32 v43, s14, v41
	v_mad_u64_u32 v[40:41], s[4:5], s14, v40, 0
	v_lshl_add_u64 v[136:137], s[16:17], 0, v[0:1]
	v_lshl_add_u64 v[138:139], s[18:19], 0, v[0:1]
	v_lshlrev_b64 v[0:1], 3, v[2:3]
	v_add3_u32 v41, v41, v43, v42
	v_lshl_add_u64 v[42:43], v[6:7], 0, 12
	v_lshl_add_u64 v[140:141], s[16:17], 0, v[0:1]
	v_lshl_add_u64 v[142:143], s[18:19], 0, v[0:1]
	v_lshlrev_b64 v[0:1], 3, v[8:9]
	v_mul_lo_u32 v44, s15, v42
	v_mul_lo_u32 v45, s14, v43
	v_mad_u64_u32 v[42:43], s[4:5], s14, v42, 0
	v_lshl_add_u64 v[144:145], s[16:17], 0, v[0:1]
	v_lshl_add_u64 v[146:147], s[18:19], 0, v[0:1]
	v_lshlrev_b64 v[0:1], 3, v[10:11]
	v_add3_u32 v43, v43, v45, v44
	v_lshl_add_u64 v[44:45], v[6:7], 0, 11
	v_lshl_add_u64 v[148:149], s[16:17], 0, v[0:1]
	v_lshl_add_u64 v[150:151], s[18:19], 0, v[0:1]
	;; [unrolled: 11-line block ×11, first 2 shown]
	v_lshlrev_b64 v[0:1], 3, v[48:49]
	v_mul_lo_u32 v64, s15, v62
	v_mul_lo_u32 v65, s14, v63
	v_mad_u64_u32 v[62:63], s[4:5], s14, v62, 0
	s_load_dword s3, s[0:1], 0x44
	v_lshl_add_u64 v[224:225], s[16:17], 0, v[0:1]
	v_lshl_add_u64 v[226:227], s[18:19], 0, v[0:1]
	v_lshlrev_b64 v[0:1], 3, v[50:51]
	v_add3_u32 v63, v63, v65, v64
	v_mov_b64_e32 v[64:65], s[14:15]
	v_lshl_add_u64 v[228:229], s[16:17], 0, v[0:1]
	v_lshl_add_u64 v[230:231], s[18:19], 0, v[0:1]
	v_lshlrev_b64 v[0:1], 3, v[52:53]
	v_mad_u64_u32 v[64:65], s[4:5], s14, v6, v[64:65]
	v_mul_lo_u32 v66, s15, v6
	v_mul_lo_u32 v67, s14, v7
	v_mad_u64_u32 v[6:7], s[4:5], s14, v6, 0
	v_lshl_add_u64 v[232:233], s[16:17], 0, v[0:1]
	v_lshl_add_u64 v[234:235], s[18:19], 0, v[0:1]
	v_lshlrev_b64 v[0:1], 3, v[54:55]
	v_add3_u32 v7, v7, v67, v66
	v_lshl_add_u64 v[236:237], s[16:17], 0, v[0:1]
	v_lshl_add_u64 v[238:239], s[18:19], 0, v[0:1]
	v_lshlrev_b64 v[0:1], 3, v[56:57]
	s_add_u32 s22, s0, 64
	v_lshlrev_b64 v[6:7], 3, v[6:7]
	v_lshl_add_u64 v[240:241], s[16:17], 0, v[0:1]
	v_lshl_add_u64 v[242:243], s[18:19], 0, v[0:1]
	v_lshlrev_b64 v[0:1], 3, v[58:59]
	s_addc_u32 s23, s1, 0
	s_waitcnt lgkmcnt(0)
	s_lshl_b32 s4, s3, 5
	v_lshl_add_u64 v[132:133], s[16:17], 0, v[6:7]
	v_lshl_add_u64 v[134:135], s[18:19], 0, v[6:7]
	;; [unrolled: 1-line block ×4, first 2 shown]
	v_lshlrev_b64 v[0:1], 3, v[60:61]
	v_mbcnt_lo_u32_b32 v6, -1, 0
	v_add3_u32 v65, v66, v65, v67
	s_mul_i32 s3, s15, s4
	s_mul_hi_u32 s9, s14, s4
	v_lshl_add_u64 v[248:249], s[16:17], 0, v[0:1]
	v_lshl_add_u64 v[250:251], s[18:19], 0, v[0:1]
	v_lshlrev_b64 v[0:1], 3, v[62:63]
	v_mbcnt_hi_u32_b32 v6, -1, v6
	s_add_i32 s25, s9, s3
	s_mul_i32 s24, s14, s4
	v_lshl_add_u64 v[252:253], s[16:17], 0, v[0:1]
	v_lshl_add_u64 v[254:255], s[18:19], 0, v[0:1]
	v_lshlrev_b64 v[0:1], 3, v[64:65]
	v_lshlrev_b32_e32 v6, 2, v6
	v_accvgpr_write_b32 a3, v131
	s_mov_b32 s5, 0
	s_lshl_b64 s[24:25], s[24:25], 3
	s_mov_b64 s[26:27], 31
	v_lshl_add_u64 v[2:3], s[16:17], 0, v[0:1]
	v_lshl_add_u64 v[0:1], s[18:19], 0, v[0:1]
	v_and_b32_e32 v84, 0x100, v6
	s_mov_b64 s[16:17], s[20:21]
	v_mov_b64_e32 v[8:9], 0
.LBB130_150:                            ; =>This Inner Loop Header: Depth=1
	s_add_u32 s18, s20, s26
	s_addc_u32 s19, 0, s27
	v_mov_b64_e32 v[6:7], s[12:13]
	v_cmp_ge_i64_e32 vcc, s[18:19], v[6:7]
	v_lshl_add_u64 v[10:11], s[20:21], 0, v[130:131]
	s_cbranch_vccz .LBB130_220
; %bb.151:                              ;   in Loop: Header=BB130_150 Depth=1
	s_load_dword s3, s[22:23], 0xc
	v_accvgpr_read_b32 v12, a0
	v_accvgpr_read_b32 v13, a1
	v_mov_b64_e32 v[6:7], 0
	s_waitcnt lgkmcnt(0)
	s_and_b32 s3, s3, 0xffff
	v_mad_u32_u24 v12, v13, s3, v12
	v_and_b32_e32 v12, 63, v12
	v_accvgpr_read_b32 v13, a3
	v_accvgpr_write_b32 a2, v12
	v_accvgpr_write_b32 a3, v13
	v_cmp_gt_u32_e32 vcc, 32, v12
	v_mov_b64_e32 v[12:13], v[6:7]
	s_and_saveexec_b64 s[18:19], vcc
	s_cbranch_execz .LBB130_155
; %bb.152:                              ;   in Loop: Header=BB130_150 Depth=1
	v_accvgpr_read_b32 v13, a3
	v_accvgpr_read_b32 v12, a2
	v_lshl_add_u64 v[14:15], v[10:11], 0, v[12:13]
	v_cmp_gt_i64_e32 vcc, s[12:13], v[14:15]
	v_mov_b64_e32 v[12:13], 0
	s_and_saveexec_b64 s[28:29], vcc
	s_cbranch_execz .LBB130_154
; %bb.153:                              ;   in Loop: Header=BB130_150 Depth=1
	v_lshl_add_u64 v[12:13], v[14:15], 3, s[10:11]
	global_load_dwordx2 v[12:13], v[12:13], off
.LBB130_154:                            ;   in Loop: Header=BB130_150 Depth=1
	s_or_b64 exec, exec, s[28:29]
.LBB130_155:                            ;   in Loop: Header=BB130_150 Depth=1
	s_or_b64 exec, exec, s[18:19]
	v_cmp_gt_i64_e32 vcc, s[12:13], v[10:11]
	v_mov_b64_e32 v[80:81], v[6:7]
	s_and_saveexec_b64 s[18:19], vcc
	s_cbranch_execz .LBB130_157
; %bb.156:                              ;   in Loop: Header=BB130_150 Depth=1
	v_lshl_add_u64 v[6:7], v[132:133], 0, v[4:5]
	v_lshl_add_u64 v[14:15], v[134:135], 0, v[4:5]
	global_load_dwordx2 v[6:7], v[6:7], off
	s_nop 0
	global_load_dwordx2 v[80:81], v[14:15], off
.LBB130_157:                            ;   in Loop: Header=BB130_150 Depth=1
	s_or_b64 exec, exec, s[18:19]
	v_lshl_add_u64 v[14:15], v[10:11], 0, 1
	v_cmp_gt_i64_e32 vcc, s[12:13], v[14:15]
	v_mov_b64_e32 v[14:15], 0
	v_mov_b64_e32 v[86:87], v[14:15]
	;; [unrolled: 1-line block ×3, first 2 shown]
	s_and_saveexec_b64 s[18:19], vcc
	s_cbranch_execz .LBB130_159
; %bb.158:                              ;   in Loop: Header=BB130_150 Depth=1
	v_lshl_add_u64 v[16:17], v[2:3], 0, v[4:5]
	global_load_dwordx2 v[86:87], v[16:17], off
	v_lshl_add_u64 v[16:17], v[0:1], 0, v[4:5]
	global_load_dwordx2 v[88:89], v[16:17], off
.LBB130_159:                            ;   in Loop: Header=BB130_150 Depth=1
	s_or_b64 exec, exec, s[18:19]
	v_lshl_add_u64 v[16:17], v[10:11], 0, 2
	v_cmp_gt_i64_e32 vcc, s[12:13], v[16:17]
	v_mov_b64_e32 v[44:45], v[14:15]
	s_and_saveexec_b64 s[18:19], vcc
	s_cbranch_execz .LBB130_161
; %bb.160:                              ;   in Loop: Header=BB130_150 Depth=1
	v_lshl_add_u64 v[14:15], v[252:253], 0, v[4:5]
	v_lshl_add_u64 v[16:17], v[254:255], 0, v[4:5]
	global_load_dwordx2 v[14:15], v[14:15], off
	s_nop 0
	global_load_dwordx2 v[44:45], v[16:17], off
.LBB130_161:                            ;   in Loop: Header=BB130_150 Depth=1
	s_or_b64 exec, exec, s[18:19]
	v_lshl_add_u64 v[16:17], v[10:11], 0, 3
	v_cmp_gt_i64_e32 vcc, s[12:13], v[16:17]
	v_mov_b64_e32 v[16:17], 0
	v_accvgpr_write_b32 a14, v16
	v_accvgpr_write_b32 a16, v16
	v_accvgpr_write_b32 a15, v17
	v_accvgpr_write_b32 a17, v17
	s_and_saveexec_b64 s[18:19], vcc
	s_cbranch_execz .LBB130_163
; %bb.162:                              ;   in Loop: Header=BB130_150 Depth=1
	v_lshl_add_u64 v[18:19], v[248:249], 0, v[4:5]
	global_load_dwordx2 a[14:15], v[18:19], off
	v_lshl_add_u64 v[18:19], v[250:251], 0, v[4:5]
	global_load_dwordx2 a[16:17], v[18:19], off
.LBB130_163:                            ;   in Loop: Header=BB130_150 Depth=1
	s_or_b64 exec, exec, s[18:19]
	v_lshl_add_u64 v[18:19], v[10:11], 0, 4
	v_accvgpr_write_b32 a12, v16
	v_cmp_gt_i64_e32 vcc, s[12:13], v[18:19]
	v_accvgpr_write_b32 a13, v17
	s_and_saveexec_b64 s[18:19], vcc
	s_cbranch_execz .LBB130_165
; %bb.164:                              ;   in Loop: Header=BB130_150 Depth=1
	v_lshl_add_u64 v[16:17], v[244:245], 0, v[4:5]
	v_lshl_add_u64 v[18:19], v[246:247], 0, v[4:5]
	global_load_dwordx2 v[16:17], v[16:17], off
	s_nop 0
	global_load_dwordx2 a[12:13], v[18:19], off
.LBB130_165:                            ;   in Loop: Header=BB130_150 Depth=1
	s_or_b64 exec, exec, s[18:19]
	v_lshl_add_u64 v[18:19], v[10:11], 0, 5
	v_cmp_gt_i64_e32 vcc, s[12:13], v[18:19]
	v_mov_b64_e32 v[18:19], 0
	v_accvgpr_write_b32 a18, v18
	v_accvgpr_write_b32 a21, v19
	v_accvgpr_write_b32 a19, v19
	v_accvgpr_write_b32 a20, v18
	s_and_saveexec_b64 s[18:19], vcc
	s_cbranch_execz .LBB130_167
; %bb.166:                              ;   in Loop: Header=BB130_150 Depth=1
	v_lshl_add_u64 v[20:21], v[240:241], 0, v[4:5]
	global_load_dwordx2 a[18:19], v[20:21], off
	v_lshl_add_u64 v[20:21], v[242:243], 0, v[4:5]
	global_load_dwordx2 a[20:21], v[20:21], off
.LBB130_167:                            ;   in Loop: Header=BB130_150 Depth=1
	s_or_b64 exec, exec, s[18:19]
	v_lshl_add_u64 v[20:21], v[10:11], 0, 6
	v_accvgpr_write_b32 a27, v19
	v_cmp_gt_i64_e32 vcc, s[12:13], v[20:21]
	v_accvgpr_write_b32 a26, v18
	;; [unrolled: 30-line block ×7, first 2 shown]
	s_and_saveexec_b64 s[18:19], vcc
	s_cbranch_execz .LBB130_189
; %bb.188:                              ;   in Loop: Header=BB130_150 Depth=1
	v_lshl_add_u64 v[28:29], v[196:197], 0, v[4:5]
	v_lshl_add_u64 v[30:31], v[198:199], 0, v[4:5]
	global_load_dwordx2 v[28:29], v[28:29], off
	s_nop 0
	global_load_dwordx2 a[132:133], v[30:31], off
.LBB130_189:                            ;   in Loop: Header=BB130_150 Depth=1
	s_or_b64 exec, exec, s[18:19]
	v_mov_b64_e32 v[36:37], 0
	v_lshl_add_u64 v[30:31], v[10:11], 0, 17
	v_accvgpr_write_b32 a139, v37
	v_accvgpr_write_b32 a141, v37
	v_cmp_gt_i64_e32 vcc, s[12:13], v[30:31]
	v_accvgpr_write_b32 a138, v36
	v_accvgpr_write_b32 a140, v36
	s_and_saveexec_b64 s[18:19], vcc
	s_cbranch_execz .LBB130_191
; %bb.190:                              ;   in Loop: Header=BB130_150 Depth=1
	v_lshl_add_u64 v[30:31], v[192:193], 0, v[4:5]
	global_load_dwordx2 a[138:139], v[30:31], off
	v_lshl_add_u64 v[30:31], v[194:195], 0, v[4:5]
	global_load_dwordx2 a[140:141], v[30:31], off
.LBB130_191:                            ;   in Loop: Header=BB130_150 Depth=1
	s_or_b64 exec, exec, s[18:19]
	v_lshl_add_u64 v[30:31], v[10:11], 0, 18
	v_cmp_gt_i64_e32 vcc, s[12:13], v[30:31]
	v_mov_b64_e32 v[50:51], v[36:37]
	s_and_saveexec_b64 s[18:19], vcc
	s_cbranch_execz .LBB130_193
; %bb.192:                              ;   in Loop: Header=BB130_150 Depth=1
	v_lshl_add_u64 v[30:31], v[188:189], 0, v[4:5]
	global_load_dwordx2 v[36:37], v[30:31], off
	v_lshl_add_u64 v[30:31], v[190:191], 0, v[4:5]
	global_load_dwordx2 v[50:51], v[30:31], off
.LBB130_193:                            ;   in Loop: Header=BB130_150 Depth=1
	s_or_b64 exec, exec, s[18:19]
	v_mov_b64_e32 v[40:41], 0
	v_lshl_add_u64 v[30:31], v[10:11], 0, 19
	v_accvgpr_write_b32 a143, v41
	v_cmp_gt_i64_e32 vcc, s[12:13], v[30:31]
	v_accvgpr_write_b32 a142, v40
	v_mov_b64_e32 v[48:49], v[40:41]
	s_and_saveexec_b64 s[18:19], vcc
	s_cbranch_execz .LBB130_195
; %bb.194:                              ;   in Loop: Header=BB130_150 Depth=1
	v_lshl_add_u64 v[30:31], v[184:185], 0, v[4:5]
	global_load_dwordx2 a[142:143], v[30:31], off
	v_lshl_add_u64 v[30:31], v[186:187], 0, v[4:5]
	global_load_dwordx2 v[48:49], v[30:31], off
.LBB130_195:                            ;   in Loop: Header=BB130_150 Depth=1
	s_or_b64 exec, exec, s[18:19]
	v_lshl_add_u64 v[30:31], v[10:11], 0, 20
	v_cmp_gt_i64_e32 vcc, s[12:13], v[30:31]
	v_mov_b64_e32 v[52:53], v[40:41]
	s_and_saveexec_b64 s[18:19], vcc
	s_cbranch_execz .LBB130_197
; %bb.196:                              ;   in Loop: Header=BB130_150 Depth=1
	v_lshl_add_u64 v[30:31], v[180:181], 0, v[4:5]
	global_load_dwordx2 v[40:41], v[30:31], off
	v_lshl_add_u64 v[30:31], v[182:183], 0, v[4:5]
	global_load_dwordx2 v[52:53], v[30:31], off
.LBB130_197:                            ;   in Loop: Header=BB130_150 Depth=1
	s_or_b64 exec, exec, s[18:19]
	v_lshl_add_u64 v[30:31], v[10:11], 0, 21
	v_mov_b64_e32 v[46:47], 0
	v_cmp_gt_i64_e32 vcc, s[12:13], v[30:31]
	v_mov_b64_e32 v[56:57], v[46:47]
	v_mov_b64_e32 v[58:59], v[46:47]
	s_and_saveexec_b64 s[18:19], vcc
	s_cbranch_execz .LBB130_199
; %bb.198:                              ;   in Loop: Header=BB130_150 Depth=1
	v_lshl_add_u64 v[30:31], v[176:177], 0, v[4:5]
	global_load_dwordx2 v[56:57], v[30:31], off
	v_lshl_add_u64 v[30:31], v[178:179], 0, v[4:5]
	global_load_dwordx2 v[58:59], v[30:31], off
.LBB130_199:                            ;   in Loop: Header=BB130_150 Depth=1
	s_or_b64 exec, exec, s[18:19]
	v_lshl_add_u64 v[30:31], v[10:11], 0, 22
	v_cmp_gt_i64_e32 vcc, s[12:13], v[30:31]
	v_mov_b64_e32 v[54:55], v[46:47]
	s_and_saveexec_b64 s[18:19], vcc
	s_cbranch_execz .LBB130_201
; %bb.200:                              ;   in Loop: Header=BB130_150 Depth=1
	v_lshl_add_u64 v[30:31], v[172:173], 0, v[4:5]
	global_load_dwordx2 v[46:47], v[30:31], off
	v_lshl_add_u64 v[30:31], v[174:175], 0, v[4:5]
	global_load_dwordx2 v[54:55], v[30:31], off
.LBB130_201:                            ;   in Loop: Header=BB130_150 Depth=1
	s_or_b64 exec, exec, s[18:19]
	v_lshl_add_u64 v[30:31], v[10:11], 0, 23
	v_mov_b64_e32 v[32:33], 0
	v_cmp_gt_i64_e32 vcc, s[12:13], v[30:31]
	v_mov_b64_e32 v[34:35], v[32:33]
	;; [unrolled: 26-line block ×4, first 2 shown]
	v_mov_b64_e32 v[30:31], v[38:39]
	s_and_saveexec_b64 s[18:19], vcc
	s_cbranch_execz .LBB130_211
; %bb.210:                              ;   in Loop: Header=BB130_150 Depth=1
	v_lshl_add_u64 v[30:31], v[152:153], 0, v[4:5]
	global_load_dwordx2 v[76:77], v[30:31], off
	v_lshl_add_u64 v[30:31], v[154:155], 0, v[4:5]
	global_load_dwordx2 v[30:31], v[30:31], off
.LBB130_211:                            ;   in Loop: Header=BB130_150 Depth=1
	s_or_b64 exec, exec, s[18:19]
	v_lshl_add_u64 v[42:43], v[10:11], 0, 28
	v_cmp_gt_i64_e32 vcc, s[12:13], v[42:43]
	v_mov_b64_e32 v[74:75], v[38:39]
	s_and_saveexec_b64 s[18:19], vcc
	s_cbranch_execz .LBB130_213
; %bb.212:                              ;   in Loop: Header=BB130_150 Depth=1
	v_lshl_add_u64 v[38:39], v[148:149], 0, v[4:5]
	v_lshl_add_u64 v[42:43], v[150:151], 0, v[4:5]
	global_load_dwordx2 v[38:39], v[38:39], off
	s_nop 0
	global_load_dwordx2 v[74:75], v[42:43], off
.LBB130_213:                            ;   in Loop: Header=BB130_150 Depth=1
	s_or_b64 exec, exec, s[18:19]
	v_lshl_add_u64 v[42:43], v[10:11], 0, 29
	v_mov_b64_e32 v[72:73], 0
	v_cmp_gt_i64_e32 vcc, s[12:13], v[42:43]
	v_mov_b64_e32 v[78:79], v[72:73]
	v_mov_b64_e32 v[82:83], v[72:73]
	s_and_saveexec_b64 s[18:19], vcc
	s_cbranch_execz .LBB130_215
; %bb.214:                              ;   in Loop: Header=BB130_150 Depth=1
	v_lshl_add_u64 v[42:43], v[144:145], 0, v[4:5]
	global_load_dwordx2 v[78:79], v[42:43], off
	v_lshl_add_u64 v[42:43], v[146:147], 0, v[4:5]
	global_load_dwordx2 v[82:83], v[42:43], off
.LBB130_215:                            ;   in Loop: Header=BB130_150 Depth=1
	s_or_b64 exec, exec, s[18:19]
	v_lshl_add_u64 v[42:43], v[10:11], 0, 30
	v_cmp_gt_i64_e32 vcc, s[12:13], v[42:43]
	v_mov_b64_e32 v[42:43], v[72:73]
	s_and_saveexec_b64 s[18:19], vcc
	s_cbranch_execz .LBB130_217
; %bb.216:                              ;   in Loop: Header=BB130_150 Depth=1
	v_lshl_add_u64 v[42:43], v[140:141], 0, v[4:5]
	global_load_dwordx2 v[72:73], v[42:43], off
	v_lshl_add_u64 v[42:43], v[142:143], 0, v[4:5]
	global_load_dwordx2 v[42:43], v[42:43], off
.LBB130_217:                            ;   in Loop: Header=BB130_150 Depth=1
	s_or_b64 exec, exec, s[18:19]
	s_waitcnt vmcnt(0)
	v_accvgpr_write_b32 a10, v44
	v_accvgpr_write_b32 a11, v45
	v_mov_b64_e32 v[44:45], v[88:89]
	v_accvgpr_write_b32 a6, v86
	v_mov_b64_e32 v[88:89], v[80:81]
	v_lshl_add_u64 v[80:81], v[10:11], 0, 31
	v_accvgpr_write_b32 a7, v87
	v_cmp_gt_i64_e32 vcc, s[12:13], v[80:81]
	v_mov_b64_e32 v[80:81], 0
	s_and_saveexec_b64 s[18:19], vcc
	s_cbranch_execz .LBB130_219
; %bb.218:                              ;   in Loop: Header=BB130_150 Depth=1
	v_lshl_add_u64 v[80:81], v[136:137], 0, v[4:5]
	v_lshl_add_u64 v[86:87], v[138:139], 0, v[4:5]
	global_load_dwordx2 v[80:81], v[80:81], off
	s_nop 0
	global_load_dwordx2 v[86:87], v[86:87], off
	s_waitcnt vmcnt(0)
	v_mul_f64 v[80:81], v[80:81], v[86:87]
.LBB130_219:                            ;   in Loop: Header=BB130_150 Depth=1
	s_or_b64 exec, exec, s[18:19]
	ds_bpermute_b32 v86, v84, v12
	ds_bpermute_b32 v87, v84, v13
	v_mul_f64 v[6:7], v[6:7], v[88:89]
	v_accvgpr_read_b32 v89, a7
	v_accvgpr_read_b32 v88, a6
	v_mul_f64 v[88:89], v[88:89], v[44:45]
	s_waitcnt lgkmcnt(0)
	v_fma_f64 v[6:7], v[6:7], v[86:87], v[8:9]
	ds_bpermute_b32 v86, v84, v12 offset:4
	ds_bpermute_b32 v87, v84, v13 offset:4
	v_accvgpr_read_b32 v45, a11
	v_accvgpr_read_b32 v44, a10
	v_mul_f64 v[14:15], v[14:15], v[44:45]
	v_accvgpr_read_b32 v45, a15
	s_waitcnt lgkmcnt(0)
	v_fmac_f64_e32 v[6:7], v[88:89], v[86:87]
	ds_bpermute_b32 v86, v84, v12 offset:8
	ds_bpermute_b32 v87, v84, v13 offset:8
	v_accvgpr_read_b32 v44, a14
	s_waitcnt lgkmcnt(0)
	v_fmac_f64_e32 v[6:7], v[14:15], v[86:87]
	ds_bpermute_b32 v14, v84, v12 offset:12
	ds_bpermute_b32 v15, v84, v13 offset:12
	v_accvgpr_read_b32 v87, a17
	v_accvgpr_read_b32 v86, a16
	v_mul_f64 v[86:87], v[44:45], v[86:87]
	v_accvgpr_read_b32 v45, a13
	s_waitcnt lgkmcnt(0)
	v_fmac_f64_e32 v[6:7], v[86:87], v[14:15]
	ds_bpermute_b32 v14, v84, v12 offset:16
	ds_bpermute_b32 v15, v84, v13 offset:16
	v_accvgpr_read_b32 v44, a12
	v_mul_f64 v[16:17], v[16:17], v[44:45]
	v_accvgpr_read_b32 v45, a21
	v_accvgpr_read_b32 v44, a20
	s_waitcnt lgkmcnt(0)
	v_fmac_f64_e32 v[6:7], v[16:17], v[14:15]
	ds_bpermute_b32 v14, v84, v12 offset:20
	ds_bpermute_b32 v15, v84, v13 offset:20
	v_accvgpr_read_b32 v16, a18
	v_accvgpr_read_b32 v17, a19
	v_mul_f64 v[16:17], v[16:17], v[44:45]
	s_waitcnt lgkmcnt(0)
	v_fmac_f64_e32 v[6:7], v[16:17], v[14:15]
	ds_bpermute_b32 v14, v84, v12 offset:24
	ds_bpermute_b32 v15, v84, v13 offset:24
	v_accvgpr_read_b32 v16, a26
	v_accvgpr_read_b32 v17, a27
	v_mul_f64 v[16:17], v[18:19], v[16:17]
	v_accvgpr_read_b32 v18, a24
	s_waitcnt lgkmcnt(0)
	v_fmac_f64_e32 v[6:7], v[16:17], v[14:15]
	ds_bpermute_b32 v14, v84, v12 offset:28
	ds_bpermute_b32 v15, v84, v13 offset:28
	v_accvgpr_read_b32 v16, a22
	v_accvgpr_read_b32 v17, a23
	v_accvgpr_read_b32 v19, a25
	v_mul_f64 v[16:17], v[16:17], v[18:19]
	s_waitcnt lgkmcnt(0)
	v_fmac_f64_e32 v[6:7], v[16:17], v[14:15]
	ds_bpermute_b32 v14, v84, v12 offset:32
	ds_bpermute_b32 v15, v84, v13 offset:32
	v_accvgpr_read_b32 v16, a28
	v_accvgpr_read_b32 v17, a29
	v_mul_f64 v[16:17], v[20:21], v[16:17]
	v_accvgpr_read_b32 v18, a34
	s_waitcnt lgkmcnt(0)
	v_fmac_f64_e32 v[6:7], v[16:17], v[14:15]
	ds_bpermute_b32 v14, v84, v12 offset:36
	ds_bpermute_b32 v15, v84, v13 offset:36
	v_accvgpr_read_b32 v16, a32
	;; [unrolled: 16-line block ×6, first 2 shown]
	v_accvgpr_read_b32 v17, a139
	v_accvgpr_read_b32 v19, a141
	v_mul_f64 v[16:17], v[16:17], v[18:19]
	s_waitcnt lgkmcnt(0)
	v_fmac_f64_e32 v[6:7], v[16:17], v[14:15]
	ds_bpermute_b32 v14, v84, v12 offset:72
	ds_bpermute_b32 v15, v84, v13 offset:72
	v_mul_f64 v[16:17], v[36:37], v[50:51]
	s_waitcnt lgkmcnt(0)
	v_fmac_f64_e32 v[6:7], v[16:17], v[14:15]
	ds_bpermute_b32 v14, v84, v12 offset:76
	ds_bpermute_b32 v15, v84, v13 offset:76
	v_accvgpr_read_b32 v16, a142
	v_accvgpr_read_b32 v17, a143
	v_mul_f64 v[16:17], v[16:17], v[48:49]
	s_waitcnt lgkmcnt(0)
	v_fmac_f64_e32 v[6:7], v[16:17], v[14:15]
	ds_bpermute_b32 v14, v84, v12 offset:80
	ds_bpermute_b32 v15, v84, v13 offset:80
	v_mul_f64 v[16:17], v[40:41], v[52:53]
	s_waitcnt lgkmcnt(0)
	v_fmac_f64_e32 v[6:7], v[16:17], v[14:15]
	ds_bpermute_b32 v14, v84, v12 offset:84
	ds_bpermute_b32 v15, v84, v13 offset:84
	;; [unrolled: 5-line block ×11, first 2 shown]
	ds_bpermute_b32 v12, v84, v12 offset:124
	ds_bpermute_b32 v13, v84, v13 offset:124
	v_mul_f64 v[16:17], v[72:73], v[42:43]
	s_waitcnt lgkmcnt(2)
	v_fmac_f64_e32 v[6:7], v[16:17], v[14:15]
	s_waitcnt lgkmcnt(0)
	v_fmac_f64_e32 v[6:7], v[80:81], v[12:13]
	s_branch .LBB130_226
.LBB130_220:                            ;   in Loop: Header=BB130_150 Depth=1
                                        ; implicit-def: $vgpr6_vgpr7
	s_cbranch_execz .LBB130_226
; %bb.221:                              ;   in Loop: Header=BB130_150 Depth=1
	s_load_dword s3, s[22:23], 0x0
	v_accvgpr_read_b32 v13, a3
	v_accvgpr_read_b32 v7, a0
	;; [unrolled: 1-line block ×3, first 2 shown]
	s_waitcnt lgkmcnt(0)
	s_cmp_lt_u32 s2, s3
	s_cselect_b32 s3, 12, 18
	s_add_u32 s18, s22, s3
	s_addc_u32 s19, s23, 0
	global_load_ushort v6, v13, s[18:19]
	s_waitcnt vmcnt(0)
	v_mad_u32_u24 v6, v12, v6, v7
	v_and_b32_e32 v12, 63, v6
	v_accvgpr_write_b32 a2, v12
	v_accvgpr_write_b32 a3, v13
	v_cmp_gt_u32_e32 vcc, 32, v12
	v_mov_b64_e32 v[6:7], 0
	s_and_saveexec_b64 s[18:19], vcc
	s_cbranch_execz .LBB130_225
; %bb.222:                              ;   in Loop: Header=BB130_150 Depth=1
	v_accvgpr_read_b32 v7, a3
	v_accvgpr_read_b32 v6, a2
	v_lshl_add_u64 v[10:11], v[10:11], 0, v[6:7]
	v_cmp_gt_i64_e32 vcc, s[12:13], v[10:11]
	v_mov_b64_e32 v[6:7], 0
	s_and_saveexec_b64 s[28:29], vcc
	s_cbranch_execz .LBB130_224
; %bb.223:                              ;   in Loop: Header=BB130_150 Depth=1
	v_lshl_add_u64 v[6:7], v[10:11], 3, s[10:11]
	global_load_dwordx2 v[6:7], v[6:7], off
.LBB130_224:                            ;   in Loop: Header=BB130_150 Depth=1
	s_or_b64 exec, exec, s[28:29]
.LBB130_225:                            ;   in Loop: Header=BB130_150 Depth=1
	s_or_b64 exec, exec, s[18:19]
	v_lshl_add_u64 v[10:11], v[132:133], 0, v[4:5]
	global_load_dwordx2 v[24:25], v[10:11], off
	v_lshl_add_u64 v[10:11], v[134:135], 0, v[4:5]
	global_load_dwordx2 v[26:27], v[10:11], off
	;; [unrolled: 2-line block ×15, first 2 shown]
	v_accvgpr_read_b32 v10, a36
	v_accvgpr_read_b32 v11, a37
	v_lshl_add_u64 v[10:11], v[10:11], 0, v[4:5]
	global_load_dwordx2 v[54:55], v[10:11], off
	v_lshl_add_u64 v[10:11], v[104:105], 0, v[4:5]
	global_load_dwordx2 v[56:57], v[10:11], off
	v_accvgpr_read_b32 v10, a38
	v_accvgpr_read_b32 v11, a39
	v_lshl_add_u64 v[10:11], v[10:11], 0, v[4:5]
	global_load_dwordx2 v[58:59], v[10:11], off
	v_lshl_add_u64 v[10:11], v[112:113], 0, v[4:5]
	global_load_dwordx2 v[60:61], v[10:11], off
	;; [unrolled: 6-line block ×3, first 2 shown]
	v_accvgpr_read_b32 v10, a44
	v_accvgpr_read_b32 v11, a45
	v_lshl_add_u64 v[10:11], v[10:11], 0, v[4:5]
	global_load_dwordx2 v[66:67], v[10:11], off
	v_accvgpr_read_b32 v10, a42
	v_accvgpr_read_b32 v11, a43
	v_lshl_add_u64 v[10:11], v[10:11], 0, v[4:5]
	global_load_dwordx2 v[68:69], v[10:11], off
	;; [unrolled: 4-line block ×11, first 2 shown]
	v_accvgpr_read_b32 v10, a64
	v_accvgpr_read_b32 v11, a65
	v_lshl_add_u64 v[10:11], v[10:11], 0, v[4:5]
	v_accvgpr_write_b32 a4, v90
	v_accvgpr_write_b32 a5, v91
	global_load_dwordx2 v[90:91], v[10:11], off
	v_accvgpr_read_b32 v10, a66
	v_accvgpr_read_b32 v11, a67
	v_lshl_add_u64 v[10:11], v[10:11], 0, v[4:5]
	v_accvgpr_write_b32 a6, v92
	v_accvgpr_write_b32 a7, v93
	global_load_dwordx2 v[92:93], v[10:11], off
	;; [unrolled: 6-line block ×14, first 2 shown]
	v_accvgpr_read_b32 v10, a92
	v_accvgpr_read_b32 v11, a93
	v_accvgpr_write_b32 a34, v120
	v_lshl_add_u64 v[10:11], v[10:11], 0, v[4:5]
	v_accvgpr_write_b32 a35, v121
	s_waitcnt vmcnt(46)
	ds_bpermute_b32 v120, v84, v6
	ds_bpermute_b32 v121, v84, v7
	global_load_dwordx2 v[20:21], v[10:11], off
	v_accvgpr_read_b32 v10, a94
	v_accvgpr_read_b32 v11, a95
	v_lshl_add_u64 v[10:11], v[10:11], 0, v[4:5]
	global_load_dwordx2 v[22:23], v[10:11], off
	v_accvgpr_read_b32 v10, a96
	s_waitcnt vmcnt(46)
	v_mul_f64 v[24:25], v[24:25], v[26:27]
	v_accvgpr_read_b32 v11, a97
	s_waitcnt lgkmcnt(0)
	v_fmac_f64_e32 v[8:9], v[24:25], v[120:121]
	ds_bpermute_b32 v120, v84, v6 offset:4
	ds_bpermute_b32 v121, v84, v7 offset:4
	v_lshl_add_u64 v[10:11], v[10:11], 0, v[4:5]
	global_load_dwordx2 v[12:13], v[10:11], off
	v_accvgpr_read_b32 v10, a98
	v_accvgpr_read_b32 v11, a99
	v_lshl_add_u64 v[10:11], v[10:11], 0, v[4:5]
	s_waitcnt vmcnt(45)
	v_mul_f64 v[28:29], v[28:29], v[30:31]
	global_load_dwordx2 v[16:17], v[10:11], off
	v_accvgpr_read_b32 v10, a100
	s_waitcnt lgkmcnt(0)
	v_fmac_f64_e32 v[8:9], v[28:29], v[120:121]
	ds_bpermute_b32 v120, v84, v6 offset:8
	ds_bpermute_b32 v121, v84, v7 offset:8
	v_accvgpr_read_b32 v11, a101
	v_lshl_add_u64 v[10:11], v[10:11], 0, v[4:5]
	global_load_dwordx2 v[14:15], v[10:11], off
	v_accvgpr_read_b32 v10, a102
	v_accvgpr_read_b32 v11, a103
	s_waitcnt vmcnt(45)
	v_mul_f64 v[32:33], v[32:33], v[34:35]
	v_lshl_add_u64 v[10:11], v[10:11], 0, v[4:5]
	s_waitcnt lgkmcnt(0)
	v_fmac_f64_e32 v[8:9], v[32:33], v[120:121]
	ds_bpermute_b32 v120, v84, v6 offset:12
	ds_bpermute_b32 v121, v84, v7 offset:12
	global_load_dwordx2 v[18:19], v[10:11], off
	v_accvgpr_write_b32 a32, v118
	v_accvgpr_read_b32 v10, a104
	v_accvgpr_write_b32 a33, v119
	v_accvgpr_read_b32 v119, a107
	v_accvgpr_read_b32 v11, a105
	;; [unrolled: 1-line block ×5, first 2 shown]
	s_waitcnt vmcnt(44)
	v_mul_f64 v[36:37], v[36:37], v[38:39]
	v_lshl_add_u64 v[10:11], v[10:11], 0, v[4:5]
	v_lshl_add_u64 v[118:119], v[118:119], 0, v[4:5]
	v_accvgpr_read_b32 v27, a109
	v_accvgpr_read_b32 v25, a111
	;; [unrolled: 1-line block ×4, first 2 shown]
	s_waitcnt lgkmcnt(0)
	v_fmac_f64_e32 v[8:9], v[36:37], v[120:121]
	ds_bpermute_b32 v120, v84, v6 offset:16
	ds_bpermute_b32 v121, v84, v7 offset:16
	global_load_dwordx2 v[10:11], v[10:11], off
	v_lshl_add_u64 v[26:27], v[26:27], 0, v[4:5]
	global_load_dwordx2 v[118:119], v[118:119], off
	v_lshl_add_u64 v[24:25], v[24:25], 0, v[4:5]
	v_accvgpr_read_b32 v31, a113
	v_accvgpr_read_b32 v29, a115
	global_load_dwordx2 v[26:27], v[26:27], off
	v_lshl_add_u64 v[30:31], v[30:31], 0, v[4:5]
	global_load_dwordx2 v[24:25], v[24:25], off
	v_lshl_add_u64 v[28:29], v[28:29], 0, v[4:5]
	global_load_dwordx2 v[30:31], v[30:31], off
	s_waitcnt vmcnt(47)
	v_mul_f64 v[40:41], v[40:41], v[42:43]
	global_load_dwordx2 v[28:29], v[28:29], off
	v_accvgpr_read_b32 v34, a116
	v_accvgpr_read_b32 v32, a118
	s_waitcnt lgkmcnt(0)
	v_fmac_f64_e32 v[8:9], v[40:41], v[120:121]
	ds_bpermute_b32 v40, v84, v6 offset:20
	ds_bpermute_b32 v41, v84, v7 offset:20
	v_accvgpr_read_b32 v35, a117
	v_accvgpr_read_b32 v33, a119
	v_lshl_add_u64 v[34:35], v[34:35], 0, v[4:5]
	v_lshl_add_u64 v[32:33], v[32:33], 0, v[4:5]
	global_load_dwordx2 v[34:35], v[34:35], off
	v_lshl_add_u64 v[38:39], v[122:123], 0, v[4:5]
	global_load_dwordx2 v[32:33], v[32:33], off
	;; [unrolled: 2-line block ×4, first 2 shown]
	v_lshl_add_u64 v[120:121], v[128:129], 0, v[4:5]
	s_waitcnt vmcnt(50)
	v_mul_f64 v[44:45], v[44:45], v[46:47]
	global_load_dwordx2 v[42:43], v[42:43], off
	s_waitcnt lgkmcnt(0)
	v_fmac_f64_e32 v[8:9], v[44:45], v[40:41]
	global_load_dwordx2 v[44:45], v[120:121], off
	ds_bpermute_b32 v46, v84, v6 offset:24
	ds_bpermute_b32 v47, v84, v7 offset:24
	;; [unrolled: 1-line block ×4, first 2 shown]
	s_waitcnt vmcnt(50)
	v_mul_f64 v[48:49], v[48:49], v[50:51]
	ds_bpermute_b32 v50, v84, v6 offset:40
	s_waitcnt lgkmcnt(3)
	v_fmac_f64_e32 v[8:9], v[48:49], v[46:47]
	s_waitcnt vmcnt(48)
	v_mul_f64 v[46:47], v[52:53], v[54:55]
	s_waitcnt lgkmcnt(1)
	v_fmac_f64_e32 v[8:9], v[46:47], v[40:41]
	ds_bpermute_b32 v40, v84, v6 offset:32
	ds_bpermute_b32 v41, v84, v7 offset:32
	ds_bpermute_b32 v48, v84, v6 offset:36
	ds_bpermute_b32 v49, v84, v7 offset:36
	ds_bpermute_b32 v51, v84, v7 offset:40
	s_waitcnt vmcnt(46)
	v_mul_f64 v[46:47], v[56:57], v[58:59]
	s_waitcnt lgkmcnt(3)
	v_fmac_f64_e32 v[8:9], v[46:47], v[40:41]
	s_waitcnt vmcnt(44)
	v_mul_f64 v[40:41], v[60:61], v[62:63]
	s_waitcnt lgkmcnt(1)
	v_fmac_f64_e32 v[8:9], v[40:41], v[48:49]
	s_waitcnt vmcnt(42)
	v_mul_f64 v[40:41], v[64:65], v[66:67]
	s_waitcnt lgkmcnt(0)
	v_fmac_f64_e32 v[8:9], v[40:41], v[50:51]
	ds_bpermute_b32 v40, v84, v6 offset:44
	ds_bpermute_b32 v41, v84, v7 offset:44
	ds_bpermute_b32 v48, v84, v6 offset:48
	ds_bpermute_b32 v49, v84, v7 offset:48
	ds_bpermute_b32 v50, v84, v6 offset:52
	ds_bpermute_b32 v51, v84, v7 offset:52
	s_waitcnt vmcnt(40)
	v_mul_f64 v[46:47], v[68:69], v[70:71]
	s_waitcnt lgkmcnt(4)
	v_fmac_f64_e32 v[8:9], v[46:47], v[40:41]
	s_waitcnt vmcnt(38)
	v_mul_f64 v[40:41], v[72:73], v[74:75]
	s_waitcnt lgkmcnt(2)
	v_fmac_f64_e32 v[8:9], v[40:41], v[48:49]
	s_waitcnt vmcnt(36)
	v_mul_f64 v[40:41], v[76:77], v[78:79]
	s_waitcnt lgkmcnt(0)
	v_fmac_f64_e32 v[8:9], v[40:41], v[50:51]
	ds_bpermute_b32 v40, v84, v6 offset:56
	;; [unrolled: 18-line block ×5, first 2 shown]
	ds_bpermute_b32 v41, v84, v7 offset:92
	s_waitcnt vmcnt(16)
	v_mul_f64 v[20:21], v[20:21], v[22:23]
	ds_bpermute_b32 v22, v84, v6 offset:96
	ds_bpermute_b32 v23, v84, v7 offset:96
	;; [unrolled: 1-line block ×4, first 2 shown]
	s_waitcnt lgkmcnt(4)
	v_fmac_f64_e32 v[8:9], v[20:21], v[40:41]
	s_waitcnt vmcnt(14)
	v_mul_f64 v[12:13], v[12:13], v[16:17]
	s_waitcnt lgkmcnt(2)
	v_fmac_f64_e32 v[8:9], v[12:13], v[22:23]
	s_waitcnt vmcnt(12)
	v_mul_f64 v[12:13], v[14:15], v[18:19]
	s_waitcnt lgkmcnt(0)
	v_fmac_f64_e32 v[8:9], v[12:13], v[46:47]
	ds_bpermute_b32 v12, v84, v6 offset:104
	ds_bpermute_b32 v13, v84, v7 offset:104
	;; [unrolled: 1-line block ×6, first 2 shown]
	s_waitcnt vmcnt(10)
	v_mul_f64 v[10:11], v[10:11], v[118:119]
	s_waitcnt lgkmcnt(4)
	v_fmac_f64_e32 v[8:9], v[10:11], v[12:13]
	s_waitcnt vmcnt(8)
	v_mul_f64 v[10:11], v[26:27], v[24:25]
	s_waitcnt lgkmcnt(2)
	v_fmac_f64_e32 v[8:9], v[10:11], v[14:15]
	;; [unrolled: 4-line block ×3, first 2 shown]
	ds_bpermute_b32 v10, v84, v6 offset:116
	ds_bpermute_b32 v11, v84, v7 offset:116
	;; [unrolled: 1-line block ×6, first 2 shown]
	s_waitcnt vmcnt(4)
	v_mul_f64 v[12:13], v[34:35], v[32:33]
	s_waitcnt lgkmcnt(4)
	v_fmac_f64_e32 v[8:9], v[12:13], v[10:11]
	s_waitcnt vmcnt(2)
	v_mul_f64 v[10:11], v[38:39], v[36:37]
	s_waitcnt lgkmcnt(2)
	v_fmac_f64_e32 v[8:9], v[10:11], v[14:15]
	s_waitcnt vmcnt(0)
	v_mul_f64 v[10:11], v[42:43], v[44:45]
	v_accvgpr_read_b32 v121, a35
	v_accvgpr_read_b32 v93, a7
	;; [unrolled: 1-line block ×16, first 2 shown]
	s_waitcnt lgkmcnt(0)
	v_fmac_f64_e32 v[8:9], v[10:11], v[6:7]
	v_accvgpr_read_b32 v120, a34
	v_accvgpr_read_b32 v92, a6
	;; [unrolled: 1-line block ×16, first 2 shown]
	v_mov_b64_e32 v[6:7], v[8:9]
.LBB130_226:                            ;   in Loop: Header=BB130_150 Depth=1
	s_add_u32 s16, s16, s4
	s_addc_u32 s17, s17, 0
	v_mov_b64_e32 v[8:9], s[12:13]
	v_cmp_ge_i64_e32 vcc, s[16:17], v[8:9]
	v_accvgpr_read_b32 v8, a42
	v_accvgpr_read_b32 v9, a43
	v_lshl_add_u64 v[8:9], v[8:9], 0, s[24:25]
	v_accvgpr_write_b32 a43, v9
	v_accvgpr_write_b32 a42, v8
	v_accvgpr_read_b32 v8, a48
	v_accvgpr_read_b32 v9, a49
	v_lshl_add_u64 v[8:9], v[8:9], 0, s[24:25]
	v_accvgpr_write_b32 a49, v9
	v_accvgpr_write_b32 a48, v8
	;; [unrolled: 5-line block ×41, first 2 shown]
	v_accvgpr_read_b32 v8, a118
	v_accvgpr_read_b32 v9, a119
	s_add_u32 s26, s26, s4
	v_lshl_add_u64 v[130:131], v[130:131], 0, s[4:5]
	v_lshl_add_u64 v[90:91], v[90:91], 0, s[24:25]
	;; [unrolled: 1-line block ×86, first 2 shown]
	s_addc_u32 s27, s27, 0
	s_cbranch_vccnz .LBB130_228
; %bb.227:                              ;   in Loop: Header=BB130_150 Depth=1
	v_accvgpr_write_b32 a119, v9
	v_accvgpr_write_b32 a118, v8
	v_mov_b64_e32 v[8:9], v[6:7]
	s_branch .LBB130_150
.LBB130_228:
	s_mov_b32 s3, 0
	s_lshl_b64 s[2:3], s[2:3], 5
	v_and_b32_e32 v0, 0x3ff, v85
	v_or_b32_e32 v0, s2, v0
	v_mov_b32_e32 v1, s3
	s_waitcnt lgkmcnt(0)
	s_cmp_lg_u64 s[6:7], 0
	v_cmp_gt_i64_e32 vcc, s[14:15], v[0:1]
	s_cselect_b64 s[2:3], -1, 0
	s_and_b64 s[2:3], vcc, s[2:3]
	s_and_saveexec_b64 s[4:5], s[2:3]
	s_cbranch_execz .LBB130_230
; %bb.229:
	s_load_dword s0, s[0:1], 0x4c
	v_bfe_u32 v2, v85, 10, 10
	v_mov_b32_e32 v3, 0
	v_mov_b32_e32 v4, s8
	s_waitcnt lgkmcnt(0)
	s_lshr_b32 s0, s0, 16
	v_mad_u64_u32 v[2:3], s[0:1], s0, v4, v[2:3]
	v_mul_lo_u32 v4, v3, s14
	v_mul_lo_u32 v5, v2, s15
	v_mad_u64_u32 v[2:3], s[0:1], v2, s14, 0
	v_add3_u32 v3, v3, v5, v4
	v_lshl_add_u64 v[2:3], v[2:3], 3, s[6:7]
	v_lshl_add_u64 v[0:1], v[0:1], 3, v[2:3]
	global_store_dwordx2 v[0:1], v[6:7], off
.LBB130_230:
	s_endpgm
	.section	.rodata,"a",@progbits
	.p2align	6, 0x0
	.amdhsa_kernel _ZN2at6native12_GLOBAL__N_135GammaBetaBackwardCUDAKernelTemplateIddLj32ELj1ELj32ELb1ELb0ELb1EEEvllPKT_S5_PKT0_S8_PS3_S9_
		.amdhsa_group_segment_fixed_size 0
		.amdhsa_private_segment_fixed_size 0
		.amdhsa_kernarg_size 320
		.amdhsa_user_sgpr_count 2
		.amdhsa_user_sgpr_dispatch_ptr 0
		.amdhsa_user_sgpr_queue_ptr 0
		.amdhsa_user_sgpr_kernarg_segment_ptr 1
		.amdhsa_user_sgpr_dispatch_id 0
		.amdhsa_user_sgpr_kernarg_preload_length 0
		.amdhsa_user_sgpr_kernarg_preload_offset 0
		.amdhsa_user_sgpr_private_segment_size 0
		.amdhsa_uses_dynamic_stack 0
		.amdhsa_enable_private_segment 0
		.amdhsa_system_sgpr_workgroup_id_x 1
		.amdhsa_system_sgpr_workgroup_id_y 1
		.amdhsa_system_sgpr_workgroup_id_z 0
		.amdhsa_system_sgpr_workgroup_info 0
		.amdhsa_system_vgpr_workitem_id 1
		.amdhsa_next_free_vgpr 400
		.amdhsa_next_free_sgpr 38
		.amdhsa_accum_offset 256
		.amdhsa_reserve_vcc 1
		.amdhsa_float_round_mode_32 0
		.amdhsa_float_round_mode_16_64 0
		.amdhsa_float_denorm_mode_32 3
		.amdhsa_float_denorm_mode_16_64 3
		.amdhsa_dx10_clamp 1
		.amdhsa_ieee_mode 1
		.amdhsa_fp16_overflow 0
		.amdhsa_tg_split 0
		.amdhsa_exception_fp_ieee_invalid_op 0
		.amdhsa_exception_fp_denorm_src 0
		.amdhsa_exception_fp_ieee_div_zero 0
		.amdhsa_exception_fp_ieee_overflow 0
		.amdhsa_exception_fp_ieee_underflow 0
		.amdhsa_exception_fp_ieee_inexact 0
		.amdhsa_exception_int_div_zero 0
	.end_amdhsa_kernel
	.section	.text._ZN2at6native12_GLOBAL__N_135GammaBetaBackwardCUDAKernelTemplateIddLj32ELj1ELj32ELb1ELb0ELb1EEEvllPKT_S5_PKT0_S8_PS3_S9_,"axG",@progbits,_ZN2at6native12_GLOBAL__N_135GammaBetaBackwardCUDAKernelTemplateIddLj32ELj1ELj32ELb1ELb0ELb1EEEvllPKT_S5_PKT0_S8_PS3_S9_,comdat
.Lfunc_end130:
	.size	_ZN2at6native12_GLOBAL__N_135GammaBetaBackwardCUDAKernelTemplateIddLj32ELj1ELj32ELb1ELb0ELb1EEEvllPKT_S5_PKT0_S8_PS3_S9_, .Lfunc_end130-_ZN2at6native12_GLOBAL__N_135GammaBetaBackwardCUDAKernelTemplateIddLj32ELj1ELj32ELb1ELb0ELb1EEEvllPKT_S5_PKT0_S8_PS3_S9_
                                        ; -- End function
	.section	.AMDGPU.csdata,"",@progbits
; Kernel info:
; codeLenInByte = 24424
; NumSgprs: 44
; NumVgprs: 256
; NumAgprs: 144
; TotalNumVgprs: 400
; ScratchSize: 0
; MemoryBound: 1
; FloatMode: 240
; IeeeMode: 1
; LDSByteSize: 0 bytes/workgroup (compile time only)
; SGPRBlocks: 5
; VGPRBlocks: 49
; NumSGPRsForWavesPerEU: 44
; NumVGPRsForWavesPerEU: 400
; AccumOffset: 256
; Occupancy: 1
; WaveLimiterHint : 0
; COMPUTE_PGM_RSRC2:SCRATCH_EN: 0
; COMPUTE_PGM_RSRC2:USER_SGPR: 2
; COMPUTE_PGM_RSRC2:TRAP_HANDLER: 0
; COMPUTE_PGM_RSRC2:TGID_X_EN: 1
; COMPUTE_PGM_RSRC2:TGID_Y_EN: 1
; COMPUTE_PGM_RSRC2:TGID_Z_EN: 0
; COMPUTE_PGM_RSRC2:TIDIG_COMP_CNT: 1
; COMPUTE_PGM_RSRC3_GFX90A:ACCUM_OFFSET: 63
; COMPUTE_PGM_RSRC3_GFX90A:TG_SPLIT: 0
	.section	.text._ZN2at6native12_GLOBAL__N_135GammaBetaBackwardCUDAKernelTemplateIddLj32ELj1ELj8ELb1ELb1ELb1EEEvllPKT_S5_PKT0_S8_PS3_S9_,"axG",@progbits,_ZN2at6native12_GLOBAL__N_135GammaBetaBackwardCUDAKernelTemplateIddLj32ELj1ELj8ELb1ELb1ELb1EEEvllPKT_S5_PKT0_S8_PS3_S9_,comdat
	.globl	_ZN2at6native12_GLOBAL__N_135GammaBetaBackwardCUDAKernelTemplateIddLj32ELj1ELj8ELb1ELb1ELb1EEEvllPKT_S5_PKT0_S8_PS3_S9_ ; -- Begin function _ZN2at6native12_GLOBAL__N_135GammaBetaBackwardCUDAKernelTemplateIddLj32ELj1ELj8ELb1ELb1ELb1EEEvllPKT_S5_PKT0_S8_PS3_S9_
	.p2align	8
	.type	_ZN2at6native12_GLOBAL__N_135GammaBetaBackwardCUDAKernelTemplateIddLj32ELj1ELj8ELb1ELb1ELb1EEEvllPKT_S5_PKT0_S8_PS3_S9_,@function
_ZN2at6native12_GLOBAL__N_135GammaBetaBackwardCUDAKernelTemplateIddLj32ELj1ELj8ELb1ELb1ELb1EEEvllPKT_S5_PKT0_S8_PS3_S9_: ; @_ZN2at6native12_GLOBAL__N_135GammaBetaBackwardCUDAKernelTemplateIddLj32ELj1ELj8ELb1ELb1ELb1EEEvllPKT_S5_PKT0_S8_PS3_S9_
; %bb.0:
	s_load_dwordx4 s[8:11], s[0:1], 0x0
	s_load_dwordx2 s[16:17], s[0:1], 0x30
	s_lshl_b32 s18, s3, 3
	s_mov_b32 s19, 0
	s_mov_b32 s6, s3
	s_waitcnt lgkmcnt(0)
	v_mov_b64_e32 v[2:3], s[8:9]
	v_cmp_ge_i64_e32 vcc, s[18:19], v[2:3]
	v_mov_b64_e32 v[4:5], 0
	v_bfe_u32 v2, v0, 10, 10
	s_cbranch_vccnz .LBB131_7
; %bb.1:
	s_load_dword s3, s[0:1], 0x4c
	s_load_dword s7, s[0:1], 0x44
	s_load_dwordx4 s[12:15], s[0:1], 0x10
	s_load_dwordx2 s[22:23], s[0:1], 0x28
	v_and_b32_e32 v1, 0x3ff, v0
	s_waitcnt lgkmcnt(0)
	s_and_b32 s3, s3, 0xffff
	v_mad_u32_u24 v3, v2, s3, v1
	v_lshlrev_b32_e32 v6, 3, v2
	v_mov_b32_e32 v7, 0
	v_lshl_or_b32 v10, s2, 5, v1
	v_mbcnt_lo_u32_b32 v1, -1, 0
	v_and_b32_e32 v4, 63, v3
	v_mov_b32_e32 v5, v7
	v_mbcnt_hi_u32_b32 v1, -1, v1
	s_lshl_b32 s20, s7, 3
	v_lshl_add_u64 v[12:13], v[6:7], 0, s[18:19]
	v_cmp_gt_u32_e64 s[4:5], 8, v4
	v_mov_b32_e32 v11, v7
	v_lshlrev_b32_e32 v1, 2, v1
	v_lshl_add_u64 v[6:7], v[12:13], 0, v[4:5]
	v_mul_lo_u32 v14, s11, v12
	v_mul_lo_u32 v13, s10, v13
	v_mad_u64_u32 v[4:5], s[24:25], s10, v12, 0
	s_mul_i32 s3, s11, s20
	s_mul_hi_u32 s7, s10, s20
	v_and_b32_e32 v1, 0x100, v1
	s_mov_b32 s21, s19
	v_add3_u32 v5, v5, v13, v14
	v_lshlrev_b64 v[10:11], 3, v[10:11]
	s_add_i32 s25, s7, s3
	s_mul_i32 s24, s10, s20
	v_mov_b64_e32 v[12:13], 0
	v_or_b32_e32 v3, 4, v1
	v_or_b32_e32 v18, 8, v1
	v_or_b32_e32 v19, 12, v1
	v_or_b32_e32 v20, 16, v1
	v_or_b32_e32 v21, 20, v1
	v_or_b32_e32 v22, 24, v1
	v_or_b32_e32 v23, 28, v1
	v_lshl_add_u64 v[8:9], v[6:7], 3, s[22:23]
	s_lshl_b64 s[22:23], s[20:21], 3
	v_lshl_add_u64 v[10:11], v[4:5], 3, v[10:11]
	s_lshl_b64 s[24:25], s[24:25], 3
	s_lshl_b64 s[26:27], s[10:11], 3
	v_mov_b64_e32 v[14:15], s[8:9]
	v_mov_b64_e32 v[4:5], v[12:13]
	s_branch .LBB131_4
.LBB131_2:                              ;   in Loop: Header=BB131_4 Depth=1
	s_or_b64 exec, exec, s[30:31]
.LBB131_3:                              ;   in Loop: Header=BB131_4 Depth=1
	s_or_b64 exec, exec, s[28:29]
	v_lshl_add_u64 v[24:25], s[12:13], 0, v[10:11]
	v_lshl_add_u64 v[28:29], s[14:15], 0, v[10:11]
	global_load_dwordx2 v[26:27], v[24:25], off
	global_load_dwordx2 v[30:31], v[28:29], off
	v_lshl_add_u64 v[24:25], v[24:25], 0, s[26:27]
	v_lshl_add_u64 v[28:29], v[28:29], 0, s[26:27]
	global_load_dwordx2 v[32:33], v[24:25], off
	global_load_dwordx2 v[34:35], v[28:29], off
	;; [unrolled: 4-line block ×7, first 2 shown]
	v_lshl_add_u64 v[24:25], v[24:25], 0, s[26:27]
	v_lshl_add_u64 v[28:29], v[28:29], 0, s[26:27]
	global_load_dwordx2 v[24:25], v[24:25], off
	s_waitcnt vmcnt(15)
	ds_bpermute_b32 v56, v1, v16
	global_load_dwordx2 v[28:29], v[28:29], off
	ds_bpermute_b32 v57, v1, v17
	s_add_u32 s18, s18, s20
	s_addc_u32 s19, s19, 0
	v_cmp_lt_i64_e32 vcc, s[18:19], v[14:15]
	v_lshl_add_u64 v[8:9], v[8:9], 0, s[22:23]
	v_lshl_add_u64 v[6:7], v[6:7], 0, s[20:21]
	;; [unrolled: 1-line block ×3, first 2 shown]
	s_and_b64 vcc, exec, vcc
	s_waitcnt vmcnt(14)
	v_mul_f64 v[26:27], v[26:27], v[30:31]
	s_waitcnt lgkmcnt(0)
	v_fmac_f64_e32 v[4:5], v[26:27], v[56:57]
	ds_bpermute_b32 v26, v3, v16
	ds_bpermute_b32 v27, v3, v17
	s_waitcnt vmcnt(12)
	v_mul_f64 v[30:31], v[32:33], v[34:35]
	s_waitcnt lgkmcnt(0)
	v_fmac_f64_e32 v[4:5], v[30:31], v[26:27]
	ds_bpermute_b32 v26, v18, v16
	ds_bpermute_b32 v27, v18, v17
	;; [unrolled: 6-line block ×5, first 2 shown]
	s_waitcnt vmcnt(4)
	v_mul_f64 v[30:31], v[48:49], v[50:51]
	s_waitcnt vmcnt(0)
	v_mul_f64 v[24:25], v[24:25], v[28:29]
	s_waitcnt lgkmcnt(0)
	v_fmac_f64_e32 v[4:5], v[30:31], v[26:27]
	ds_bpermute_b32 v26, v22, v16
	ds_bpermute_b32 v27, v22, v17
	;; [unrolled: 1-line block ×4, first 2 shown]
	v_mul_f64 v[30:31], v[52:53], v[54:55]
	s_waitcnt lgkmcnt(2)
	v_fmac_f64_e32 v[4:5], v[30:31], v[26:27]
	s_waitcnt lgkmcnt(0)
	v_fmac_f64_e32 v[4:5], v[24:25], v[16:17]
	s_cbranch_vccz .LBB131_7
.LBB131_4:                              ; =>This Inner Loop Header: Depth=1
	v_mov_b64_e32 v[16:17], v[12:13]
	s_and_saveexec_b64 s[28:29], s[4:5]
	s_cbranch_execz .LBB131_3
; %bb.5:                                ;   in Loop: Header=BB131_4 Depth=1
	v_cmp_gt_i64_e32 vcc, s[8:9], v[6:7]
	v_mov_b64_e32 v[16:17], 0
	s_and_saveexec_b64 s[30:31], vcc
	s_cbranch_execz .LBB131_2
; %bb.6:                                ;   in Loop: Header=BB131_4 Depth=1
	global_load_dwordx2 v[16:17], v[8:9], off
	s_branch .LBB131_2
.LBB131_7:
	s_cmp_eq_u64 s[16:17], 0
	s_cbranch_scc1 .LBB131_9
; %bb.8:
	s_load_dword s0, s[0:1], 0x4c
	v_mov_b32_e32 v3, 0
	v_mov_b32_e32 v1, s6
	s_mov_b32 s3, 0
	v_and_b32_e32 v0, 0x3ff, v0
	s_waitcnt lgkmcnt(0)
	s_lshr_b32 s0, s0, 16
	v_mad_u64_u32 v[6:7], s[0:1], s0, v1, v[2:3]
	v_mul_lo_u32 v1, v7, s10
	v_mul_lo_u32 v2, v6, s11
	v_mad_u64_u32 v[6:7], s[0:1], v6, s10, 0
	s_lshl_b64 s[0:1], s[2:3], 8
	s_add_u32 s0, s0, s16
	v_add3_u32 v7, v7, v2, v1
	s_addc_u32 s1, s1, s17
	v_lshl_add_u64 v[6:7], v[6:7], 3, s[0:1]
	v_lshlrev_b32_e32 v2, 3, v0
	v_lshl_add_u64 v[0:1], v[6:7], 0, v[2:3]
	global_store_dwordx2 v[0:1], v[4:5], off
.LBB131_9:
	s_endpgm
	.section	.rodata,"a",@progbits
	.p2align	6, 0x0
	.amdhsa_kernel _ZN2at6native12_GLOBAL__N_135GammaBetaBackwardCUDAKernelTemplateIddLj32ELj1ELj8ELb1ELb1ELb1EEEvllPKT_S5_PKT0_S8_PS3_S9_
		.amdhsa_group_segment_fixed_size 0
		.amdhsa_private_segment_fixed_size 0
		.amdhsa_kernarg_size 320
		.amdhsa_user_sgpr_count 2
		.amdhsa_user_sgpr_dispatch_ptr 0
		.amdhsa_user_sgpr_queue_ptr 0
		.amdhsa_user_sgpr_kernarg_segment_ptr 1
		.amdhsa_user_sgpr_dispatch_id 0
		.amdhsa_user_sgpr_kernarg_preload_length 0
		.amdhsa_user_sgpr_kernarg_preload_offset 0
		.amdhsa_user_sgpr_private_segment_size 0
		.amdhsa_uses_dynamic_stack 0
		.amdhsa_enable_private_segment 0
		.amdhsa_system_sgpr_workgroup_id_x 1
		.amdhsa_system_sgpr_workgroup_id_y 1
		.amdhsa_system_sgpr_workgroup_id_z 0
		.amdhsa_system_sgpr_workgroup_info 0
		.amdhsa_system_vgpr_workitem_id 1
		.amdhsa_next_free_vgpr 58
		.amdhsa_next_free_sgpr 32
		.amdhsa_accum_offset 60
		.amdhsa_reserve_vcc 1
		.amdhsa_float_round_mode_32 0
		.amdhsa_float_round_mode_16_64 0
		.amdhsa_float_denorm_mode_32 3
		.amdhsa_float_denorm_mode_16_64 3
		.amdhsa_dx10_clamp 1
		.amdhsa_ieee_mode 1
		.amdhsa_fp16_overflow 0
		.amdhsa_tg_split 0
		.amdhsa_exception_fp_ieee_invalid_op 0
		.amdhsa_exception_fp_denorm_src 0
		.amdhsa_exception_fp_ieee_div_zero 0
		.amdhsa_exception_fp_ieee_overflow 0
		.amdhsa_exception_fp_ieee_underflow 0
		.amdhsa_exception_fp_ieee_inexact 0
		.amdhsa_exception_int_div_zero 0
	.end_amdhsa_kernel
	.section	.text._ZN2at6native12_GLOBAL__N_135GammaBetaBackwardCUDAKernelTemplateIddLj32ELj1ELj8ELb1ELb1ELb1EEEvllPKT_S5_PKT0_S8_PS3_S9_,"axG",@progbits,_ZN2at6native12_GLOBAL__N_135GammaBetaBackwardCUDAKernelTemplateIddLj32ELj1ELj8ELb1ELb1ELb1EEEvllPKT_S5_PKT0_S8_PS3_S9_,comdat
.Lfunc_end131:
	.size	_ZN2at6native12_GLOBAL__N_135GammaBetaBackwardCUDAKernelTemplateIddLj32ELj1ELj8ELb1ELb1ELb1EEEvllPKT_S5_PKT0_S8_PS3_S9_, .Lfunc_end131-_ZN2at6native12_GLOBAL__N_135GammaBetaBackwardCUDAKernelTemplateIddLj32ELj1ELj8ELb1ELb1ELb1EEEvllPKT_S5_PKT0_S8_PS3_S9_
                                        ; -- End function
	.section	.AMDGPU.csdata,"",@progbits
; Kernel info:
; codeLenInByte = 1096
; NumSgprs: 38
; NumVgprs: 58
; NumAgprs: 0
; TotalNumVgprs: 58
; ScratchSize: 0
; MemoryBound: 0
; FloatMode: 240
; IeeeMode: 1
; LDSByteSize: 0 bytes/workgroup (compile time only)
; SGPRBlocks: 4
; VGPRBlocks: 7
; NumSGPRsForWavesPerEU: 38
; NumVGPRsForWavesPerEU: 58
; AccumOffset: 60
; Occupancy: 8
; WaveLimiterHint : 0
; COMPUTE_PGM_RSRC2:SCRATCH_EN: 0
; COMPUTE_PGM_RSRC2:USER_SGPR: 2
; COMPUTE_PGM_RSRC2:TRAP_HANDLER: 0
; COMPUTE_PGM_RSRC2:TGID_X_EN: 1
; COMPUTE_PGM_RSRC2:TGID_Y_EN: 1
; COMPUTE_PGM_RSRC2:TGID_Z_EN: 0
; COMPUTE_PGM_RSRC2:TIDIG_COMP_CNT: 1
; COMPUTE_PGM_RSRC3_GFX90A:ACCUM_OFFSET: 14
; COMPUTE_PGM_RSRC3_GFX90A:TG_SPLIT: 0
	.section	.text._ZN2at6native12_GLOBAL__N_135GammaBetaBackwardCUDAKernelTemplateIddLj32ELj1ELj8ELb1ELb0ELb1EEEvllPKT_S5_PKT0_S8_PS3_S9_,"axG",@progbits,_ZN2at6native12_GLOBAL__N_135GammaBetaBackwardCUDAKernelTemplateIddLj32ELj1ELj8ELb1ELb0ELb1EEEvllPKT_S5_PKT0_S8_PS3_S9_,comdat
	.globl	_ZN2at6native12_GLOBAL__N_135GammaBetaBackwardCUDAKernelTemplateIddLj32ELj1ELj8ELb1ELb0ELb1EEEvllPKT_S5_PKT0_S8_PS3_S9_ ; -- Begin function _ZN2at6native12_GLOBAL__N_135GammaBetaBackwardCUDAKernelTemplateIddLj32ELj1ELj8ELb1ELb0ELb1EEEvllPKT_S5_PKT0_S8_PS3_S9_
	.p2align	8
	.type	_ZN2at6native12_GLOBAL__N_135GammaBetaBackwardCUDAKernelTemplateIddLj32ELj1ELj8ELb1ELb0ELb1EEEvllPKT_S5_PKT0_S8_PS3_S9_,@function
_ZN2at6native12_GLOBAL__N_135GammaBetaBackwardCUDAKernelTemplateIddLj32ELj1ELj8ELb1ELb0ELb1EEEvllPKT_S5_PKT0_S8_PS3_S9_: ; @_ZN2at6native12_GLOBAL__N_135GammaBetaBackwardCUDAKernelTemplateIddLj32ELj1ELj8ELb1ELb0ELb1EEEvllPKT_S5_PKT0_S8_PS3_S9_
; %bb.0:
	s_load_dwordx8 s[36:43], s[0:1], 0x0
	s_load_dwordx2 s[10:11], s[0:1], 0x28
	s_mov_b32 s8, s3
	s_lshl_b32 s3, s2, 5
	s_or_b32 s28, s3, 31
	s_mov_b32 s29, 0
	s_waitcnt lgkmcnt(0)
	v_mov_b64_e32 v[2:3], s[38:39]
	v_cmp_ge_i64_e32 vcc, s[28:29], v[2:3]
	s_lshl_b32 s28, s8, 3
	v_mov_b64_e32 v[2:3], s[36:37]
	v_cmp_lt_i64_e64 s[4:5], s[28:29], v[2:3]
	s_nop 1
	v_cndmask_b32_e64 v1, 0, 1, s[4:5]
	v_cmp_ne_u32_e64 s[4:5], 1, v1
	s_cbranch_vccz .LBB132_49
; %bb.1:
	s_and_b64 vcc, exec, s[4:5]
	v_mov_b64_e32 v[2:3], 0
	s_cbranch_vccnz .LBB132_50
; %bb.2:
	v_mov_b32_e32 v5, 0
	v_bfe_u32 v92, v0, 10, 10
	s_load_dword s9, s[0:1], 0x44
	v_lshlrev_b32_e32 v50, 3, v92
	v_mov_b32_e32 v51, v5
	v_and_b32_e32 v1, 0x3ff, v0
	v_lshl_add_u64 v[2:3], v[50:51], 0, s[28:29]
	v_add_u32_e32 v4, s3, v1
	v_lshl_add_u64 v[6:7], v[2:3], 0, 7
	s_add_u32 s30, s0, 64
	v_cmp_gt_i64_e64 s[6:7], s[38:39], v[4:5]
	v_lshlrev_b64 v[52:53], 3, v[4:5]
	v_mul_lo_u32 v4, s39, v6
	v_mul_lo_u32 v8, s38, v7
	v_mad_u64_u32 v[6:7], s[14:15], s38, v6, 0
	s_addc_u32 s31, s1, 0
	s_waitcnt lgkmcnt(0)
	s_lshl_b32 s34, s9, 3
	v_add3_u32 v7, v7, v8, v4
	v_lshlrev_b64 v[6:7], 3, v[6:7]
	s_mul_i32 s9, s39, s34
	s_mul_hi_u32 s13, s38, s34
	v_lshl_add_u64 v[54:55], s[40:41], 0, v[6:7]
	s_add_i32 s15, s13, s9
	s_mul_i32 s14, s38, s34
	v_lshl_add_u64 v[56:57], s[42:43], 0, v[6:7]
	v_lshl_add_u64 v[6:7], v[2:3], 0, 6
	s_lshl_b64 s[46:47], s[14:15], 3
	v_mul_lo_u32 v4, s39, v6
	v_mul_lo_u32 v8, s38, v7
	v_mad_u64_u32 v[6:7], s[14:15], s38, v6, 0
	v_add3_u32 v7, v7, v8, v4
	v_lshlrev_b64 v[6:7], 3, v[6:7]
	v_lshl_add_u64 v[58:59], s[40:41], 0, v[6:7]
	v_lshl_add_u64 v[60:61], s[42:43], 0, v[6:7]
	v_lshl_add_u64 v[6:7], v[2:3], 0, 5
	v_mul_lo_u32 v4, s39, v6
	v_mul_lo_u32 v8, s38, v7
	v_mad_u64_u32 v[6:7], s[14:15], s38, v6, 0
	v_add3_u32 v7, v7, v8, v4
	v_lshlrev_b64 v[6:7], 3, v[6:7]
	v_lshl_add_u64 v[62:63], s[40:41], 0, v[6:7]
	v_lshl_add_u64 v[64:65], s[42:43], 0, v[6:7]
	v_lshl_add_u64 v[6:7], v[2:3], 0, 4
	;; [unrolled: 8-line block ×4, first 2 shown]
	v_mul_lo_u32 v4, s39, v6
	v_mul_lo_u32 v8, s38, v7
	v_mad_u64_u32 v[6:7], s[14:15], s38, v6, 0
	v_add3_u32 v7, v7, v8, v4
	v_lshlrev_b64 v[6:7], 3, v[6:7]
	v_lshl_add_u64 v[74:75], s[40:41], 0, v[6:7]
	v_lshl_add_u64 v[76:77], s[42:43], 0, v[6:7]
	v_mov_b64_e32 v[6:7], s[38:39]
	v_mad_u64_u32 v[6:7], s[14:15], s38, v2, v[6:7]
	v_mul_lo_u32 v4, s38, v3
	v_mul_lo_u32 v8, s39, v2
	v_mad_u64_u32 v[2:3], s[14:15], s38, v2, 0
	v_add3_u32 v3, v3, v4, v8
	v_lshlrev_b64 v[2:3], 3, v[2:3]
	v_lshl_add_u64 v[82:83], s[40:41], 0, v[2:3]
	v_lshl_add_u64 v[84:85], s[42:43], 0, v[2:3]
	v_mbcnt_lo_u32_b32 v2, -1, 0
	v_add3_u32 v7, v8, v7, v4
	v_mbcnt_hi_u32_b32 v2, -1, v2
	s_mov_b32 s12, 0
	v_lshlrev_b64 v[6:7], 3, v[6:7]
	v_lshlrev_b32_e32 v2, 2, v2
	s_mov_b32 s35, s12
	s_mov_b64 s[44:45], 7
	v_lshl_add_u64 v[78:79], s[40:41], 0, v[6:7]
	v_lshl_add_u64 v[80:81], s[42:43], 0, v[6:7]
	v_mov_b64_e32 v[86:87], 0
	v_and_b32_e32 v93, 0x100, v2
	s_mov_b64 s[48:49], s[28:29]
.LBB132_3:                              ; =>This Inner Loop Header: Depth=1
	s_add_u32 s14, s28, s44
	s_addc_u32 s15, 0, s45
	v_mov_b64_e32 v[2:3], s[36:37]
	v_cmp_ge_i64_e32 vcc, s[14:15], v[2:3]
	v_lshl_add_u64 v[88:89], s[28:29], 0, v[50:51]
	s_cbranch_vccz .LBB132_25
; %bb.4:                                ;   in Loop: Header=BB132_3 Depth=1
	s_load_dword s9, s[30:31], 0xc
	v_mov_b64_e32 v[90:91], 0
	s_waitcnt lgkmcnt(0)
	s_and_b32 s9, s9, 0xffff
	v_mad_u32_u24 v2, v92, s9, v1
	v_and_b32_e32 v4, 63, v2
	v_cmp_gt_u32_e32 vcc, 8, v4
	s_and_saveexec_b64 s[14:15], vcc
	s_cbranch_execz .LBB132_8
; %bb.5:                                ;   in Loop: Header=BB132_3 Depth=1
	v_lshl_add_u64 v[2:3], v[88:89], 0, v[4:5]
	v_cmp_gt_i64_e32 vcc, s[36:37], v[2:3]
	v_mov_b64_e32 v[90:91], 0
	s_and_saveexec_b64 s[16:17], vcc
	s_cbranch_execz .LBB132_7
; %bb.6:                                ;   in Loop: Header=BB132_3 Depth=1
	v_lshl_add_u64 v[2:3], v[2:3], 3, s[10:11]
	global_load_dwordx2 v[90:91], v[2:3], off
.LBB132_7:                              ;   in Loop: Header=BB132_3 Depth=1
	s_or_b64 exec, exec, s[16:17]
.LBB132_8:                              ;   in Loop: Header=BB132_3 Depth=1
	s_or_b64 exec, exec, s[14:15]
	s_mov_b32 s26, s12
	s_mov_b32 s27, s12
	;; [unrolled: 1-line block ×15, first 2 shown]
	v_mov_b64_e32 v[32:33], s[26:27]
	v_cmp_gt_i64_e32 vcc, s[36:37], v[88:89]
	v_mov_b64_e32 v[30:31], s[24:25]
	v_mov_b64_e32 v[28:29], s[22:23]
	;; [unrolled: 1-line block ×8, first 2 shown]
	s_and_b64 s[50:51], s[6:7], vcc
	v_mov_b64_e32 v[46:47], v[30:31]
	v_mov_b64_e32 v[44:45], v[28:29]
	;; [unrolled: 1-line block ×7, first 2 shown]
	s_and_saveexec_b64 s[14:15], s[50:51]
	s_cbranch_execz .LBB132_10
; %bb.9:                                ;   in Loop: Header=BB132_3 Depth=1
	v_lshl_add_u64 v[2:3], v[82:83], 0, v[52:53]
	global_load_dwordx2 v[2:3], v[2:3], off
	v_lshl_add_u64 v[6:7], v[84:85], 0, v[52:53]
	global_load_dwordx2 v[18:19], v[6:7], off
	v_mov_b32_e32 v16, v5
	v_mov_b32_e32 v17, v5
	;; [unrolled: 1-line block ×13, first 2 shown]
	s_waitcnt vmcnt(1)
	v_mov_b64_e32 v[48:49], v[16:17]
	v_mov_b32_e32 v20, v5
	v_mov_b32_e32 v21, v5
	;; [unrolled: 1-line block ×14, first 2 shown]
	v_mov_b64_e32 v[46:47], v[14:15]
	v_mov_b64_e32 v[44:45], v[12:13]
	;; [unrolled: 1-line block ×7, first 2 shown]
.LBB132_10:                             ;   in Loop: Header=BB132_3 Depth=1
	s_or_b64 exec, exec, s[14:15]
	v_lshl_add_u64 v[2:3], v[88:89], 0, 1
	v_cmp_gt_i64_e32 vcc, s[36:37], v[2:3]
	s_and_b64 s[16:17], s[6:7], vcc
	s_and_saveexec_b64 s[14:15], s[16:17]
	s_cbranch_execz .LBB132_12
; %bb.11:                               ;   in Loop: Header=BB132_3 Depth=1
	v_lshl_add_u64 v[2:3], v[78:79], 0, v[52:53]
	global_load_dwordx2 v[36:37], v[2:3], off
	v_lshl_add_u64 v[2:3], v[80:81], 0, v[52:53]
	global_load_dwordx2 v[20:21], v[2:3], off
.LBB132_12:                             ;   in Loop: Header=BB132_3 Depth=1
	s_or_b64 exec, exec, s[14:15]
	v_lshl_add_u64 v[2:3], v[88:89], 0, 2
	v_cmp_gt_i64_e32 vcc, s[36:37], v[2:3]
	s_and_b64 s[16:17], s[6:7], vcc
	s_and_saveexec_b64 s[14:15], s[16:17]
	s_cbranch_execz .LBB132_14
; %bb.13:                               ;   in Loop: Header=BB132_3 Depth=1
	v_lshl_add_u64 v[2:3], v[74:75], 0, v[52:53]
	global_load_dwordx2 v[38:39], v[2:3], off
	v_lshl_add_u64 v[2:3], v[76:77], 0, v[52:53]
	global_load_dwordx2 v[22:23], v[2:3], off
.LBB132_14:                             ;   in Loop: Header=BB132_3 Depth=1
	;; [unrolled: 12-line block ×7, first 2 shown]
	s_or_b64 exec, exec, s[14:15]
	s_waitcnt vmcnt(0)
	ds_bpermute_b32 v2, v93, v90
	ds_bpermute_b32 v3, v93, v91
	ds_bpermute_b32 v6, v93, v90 offset:4
	ds_bpermute_b32 v7, v93, v91 offset:4
	v_mul_f64 v[8:9], v[18:19], v[34:35]
	ds_bpermute_b32 v10, v93, v90 offset:12
	s_waitcnt lgkmcnt(3)
	v_fma_f64 v[2:3], v[8:9], v[2:3], v[86:87]
	v_mul_f64 v[8:9], v[20:21], v[36:37]
	s_waitcnt lgkmcnt(1)
	v_fmac_f64_e32 v[2:3], v[8:9], v[6:7]
	ds_bpermute_b32 v6, v93, v90 offset:8
	ds_bpermute_b32 v7, v93, v91 offset:8
	;; [unrolled: 1-line block ×5, first 2 shown]
	v_mul_f64 v[8:9], v[22:23], v[38:39]
	s_waitcnt lgkmcnt(3)
	v_fmac_f64_e32 v[2:3], v[8:9], v[6:7]
	v_mul_f64 v[6:7], v[24:25], v[40:41]
	s_waitcnt lgkmcnt(2)
	v_fmac_f64_e32 v[2:3], v[6:7], v[10:11]
	v_mul_f64 v[6:7], v[26:27], v[42:43]
	ds_bpermute_b32 v8, v93, v90 offset:20
	ds_bpermute_b32 v9, v93, v91 offset:20
	s_waitcnt lgkmcnt(2)
	v_fmac_f64_e32 v[2:3], v[6:7], v[12:13]
	ds_bpermute_b32 v12, v93, v90 offset:24
	ds_bpermute_b32 v13, v93, v91 offset:24
	;; [unrolled: 1-line block ×4, first 2 shown]
	v_mul_f64 v[10:11], v[28:29], v[44:45]
	s_waitcnt lgkmcnt(4)
	v_fmac_f64_e32 v[2:3], v[10:11], v[8:9]
	v_mul_f64 v[8:9], v[30:31], v[46:47]
	s_waitcnt lgkmcnt(2)
	v_fmac_f64_e32 v[2:3], v[8:9], v[12:13]
	s_branch .LBB132_40
.LBB132_25:                             ;   in Loop: Header=BB132_3 Depth=1
                                        ; implicit-def: $vgpr2_vgpr3
                                        ; implicit-def: $vgpr18_vgpr19_vgpr20_vgpr21_vgpr22_vgpr23_vgpr24_vgpr25_vgpr26_vgpr27_vgpr28_vgpr29_vgpr30_vgpr31_vgpr32_vgpr33
                                        ; implicit-def: $vgpr34_vgpr35_vgpr36_vgpr37_vgpr38_vgpr39_vgpr40_vgpr41_vgpr42_vgpr43_vgpr44_vgpr45_vgpr46_vgpr47_vgpr48_vgpr49
                                        ; implicit-def: $vgpr6
	s_cbranch_execz .LBB132_40
; %bb.26:                               ;   in Loop: Header=BB132_3 Depth=1
	s_load_dword s9, s[30:31], 0x0
	v_mov_b64_e32 v[90:91], 0
	s_waitcnt lgkmcnt(0)
	s_cmp_lt_u32 s2, s9
	s_cselect_b32 s9, 12, 18
	s_add_u32 s14, s30, s9
	s_addc_u32 s15, s31, 0
	global_load_ushort v2, v5, s[14:15]
	s_waitcnt vmcnt(0)
	v_mad_u32_u24 v2, v92, v2, v1
	v_and_b32_e32 v4, 63, v2
	v_cmp_gt_u32_e32 vcc, 8, v4
	s_and_saveexec_b64 s[14:15], vcc
	s_cbranch_execz .LBB132_30
; %bb.27:                               ;   in Loop: Header=BB132_3 Depth=1
	v_lshl_add_u64 v[2:3], v[88:89], 0, v[4:5]
	v_cmp_gt_i64_e32 vcc, s[36:37], v[2:3]
	v_mov_b64_e32 v[90:91], 0
	s_and_saveexec_b64 s[16:17], vcc
	s_cbranch_execz .LBB132_29
; %bb.28:                               ;   in Loop: Header=BB132_3 Depth=1
	v_lshl_add_u64 v[2:3], v[2:3], 3, s[10:11]
	global_load_dwordx2 v[90:91], v[2:3], off
.LBB132_29:                             ;   in Loop: Header=BB132_3 Depth=1
	s_or_b64 exec, exec, s[16:17]
.LBB132_30:                             ;   in Loop: Header=BB132_3 Depth=1
	s_or_b64 exec, exec, s[14:15]
	s_mov_b32 s26, s12
	s_mov_b32 s27, s12
	;; [unrolled: 1-line block ×15, first 2 shown]
	v_mov_b64_e32 v[32:33], s[26:27]
	v_mov_b64_e32 v[30:31], s[24:25]
	;; [unrolled: 1-line block ×16, first 2 shown]
	s_and_saveexec_b64 s[14:15], s[6:7]
	s_cbranch_execnz .LBB132_42
; %bb.31:                               ;   in Loop: Header=BB132_3 Depth=1
	s_or_b64 exec, exec, s[14:15]
	s_and_saveexec_b64 s[14:15], s[6:7]
	s_cbranch_execnz .LBB132_43
.LBB132_32:                             ;   in Loop: Header=BB132_3 Depth=1
	s_or_b64 exec, exec, s[14:15]
	s_and_saveexec_b64 s[14:15], s[6:7]
	s_cbranch_execnz .LBB132_44
.LBB132_33:                             ;   in Loop: Header=BB132_3 Depth=1
	s_or_b64 exec, exec, s[14:15]
	s_and_saveexec_b64 s[14:15], s[6:7]
	s_cbranch_execnz .LBB132_45
.LBB132_34:                             ;   in Loop: Header=BB132_3 Depth=1
	s_or_b64 exec, exec, s[14:15]
	s_and_saveexec_b64 s[14:15], s[6:7]
	s_cbranch_execnz .LBB132_46
.LBB132_35:                             ;   in Loop: Header=BB132_3 Depth=1
	s_or_b64 exec, exec, s[14:15]
	s_and_saveexec_b64 s[14:15], s[6:7]
	s_cbranch_execnz .LBB132_47
.LBB132_36:                             ;   in Loop: Header=BB132_3 Depth=1
	s_or_b64 exec, exec, s[14:15]
	s_and_saveexec_b64 s[14:15], s[6:7]
	s_cbranch_execnz .LBB132_48
.LBB132_37:                             ;   in Loop: Header=BB132_3 Depth=1
	s_or_b64 exec, exec, s[14:15]
	s_and_saveexec_b64 s[14:15], s[6:7]
	s_cbranch_execz .LBB132_39
.LBB132_38:                             ;   in Loop: Header=BB132_3 Depth=1
	v_lshl_add_u64 v[2:3], v[54:55], 0, v[52:53]
	global_load_dwordx2 v[48:49], v[2:3], off
	v_lshl_add_u64 v[2:3], v[56:57], 0, v[52:53]
	global_load_dwordx2 v[32:33], v[2:3], off
.LBB132_39:                             ;   in Loop: Header=BB132_3 Depth=1
	s_or_b64 exec, exec, s[14:15]
	s_waitcnt vmcnt(0)
	ds_bpermute_b32 v2, v93, v90
	ds_bpermute_b32 v3, v93, v91
	ds_bpermute_b32 v6, v93, v90 offset:4
	ds_bpermute_b32 v7, v93, v91 offset:4
	v_mul_f64 v[8:9], v[18:19], v[34:35]
	ds_bpermute_b32 v10, v93, v90 offset:16
	s_waitcnt lgkmcnt(3)
	v_fmac_f64_e32 v[86:87], v[8:9], v[2:3]
	v_mul_f64 v[2:3], v[20:21], v[36:37]
	s_waitcnt lgkmcnt(1)
	v_fmac_f64_e32 v[86:87], v[2:3], v[6:7]
	ds_bpermute_b32 v2, v93, v90 offset:8
	ds_bpermute_b32 v3, v93, v91 offset:8
	ds_bpermute_b32 v8, v93, v90 offset:12
	ds_bpermute_b32 v9, v93, v91 offset:12
	ds_bpermute_b32 v11, v93, v91 offset:16
	v_mul_f64 v[6:7], v[22:23], v[38:39]
	s_waitcnt lgkmcnt(3)
	v_fmac_f64_e32 v[86:87], v[6:7], v[2:3]
	v_mul_f64 v[2:3], v[24:25], v[40:41]
	s_waitcnt lgkmcnt(1)
	v_fmac_f64_e32 v[86:87], v[2:3], v[8:9]
	;; [unrolled: 3-line block ×3, first 2 shown]
	ds_bpermute_b32 v2, v93, v90 offset:20
	ds_bpermute_b32 v3, v93, v91 offset:20
	;; [unrolled: 1-line block ×4, first 2 shown]
	v_mul_f64 v[8:9], v[28:29], v[44:45]
	ds_bpermute_b32 v6, v93, v90 offset:28
	s_waitcnt lgkmcnt(3)
	v_fmac_f64_e32 v[86:87], v[8:9], v[2:3]
	v_mul_f64 v[2:3], v[30:31], v[46:47]
	s_waitcnt lgkmcnt(1)
	v_fmac_f64_e32 v[86:87], v[2:3], v[10:11]
	ds_bpermute_b32 v7, v93, v91 offset:28
	v_mov_b64_e32 v[2:3], v[86:87]
.LBB132_40:                             ;   in Loop: Header=BB132_3 Depth=1
	v_mul_f64 v[8:9], v[48:49], v[32:33]
	s_add_u32 s48, s48, s34
	s_waitcnt lgkmcnt(0)
	v_fmac_f64_e32 v[2:3], v[8:9], v[6:7]
	s_addc_u32 s49, s49, 0
	v_mov_b64_e32 v[6:7], s[36:37]
	s_add_u32 s44, s44, s34
	v_cmp_lt_i64_e32 vcc, s[48:49], v[6:7]
	v_lshl_add_u64 v[54:55], v[54:55], 0, s[46:47]
	v_lshl_add_u64 v[56:57], v[56:57], 0, s[46:47]
	;; [unrolled: 1-line block ×17, first 2 shown]
	s_addc_u32 s45, s45, 0
	s_cbranch_vccz .LBB132_50
; %bb.41:                               ;   in Loop: Header=BB132_3 Depth=1
	v_mov_b64_e32 v[86:87], v[2:3]
	s_branch .LBB132_3
.LBB132_42:                             ;   in Loop: Header=BB132_3 Depth=1
	v_lshl_add_u64 v[2:3], v[82:83], 0, v[52:53]
	global_load_dwordx2 v[2:3], v[2:3], off
	v_lshl_add_u64 v[6:7], v[84:85], 0, v[52:53]
	global_load_dwordx2 v[18:19], v[6:7], off
	v_mov_b32_e32 v16, v5
	v_mov_b32_e32 v17, v5
	;; [unrolled: 1-line block ×13, first 2 shown]
	s_waitcnt vmcnt(1)
	v_mov_b64_e32 v[48:49], v[16:17]
	v_mov_b32_e32 v20, v5
	v_mov_b32_e32 v21, v5
	;; [unrolled: 1-line block ×14, first 2 shown]
	v_mov_b64_e32 v[46:47], v[14:15]
	v_mov_b64_e32 v[44:45], v[12:13]
	;; [unrolled: 1-line block ×7, first 2 shown]
	s_or_b64 exec, exec, s[14:15]
	s_and_saveexec_b64 s[14:15], s[6:7]
	s_cbranch_execz .LBB132_32
.LBB132_43:                             ;   in Loop: Header=BB132_3 Depth=1
	v_lshl_add_u64 v[2:3], v[78:79], 0, v[52:53]
	global_load_dwordx2 v[36:37], v[2:3], off
	v_lshl_add_u64 v[2:3], v[80:81], 0, v[52:53]
	global_load_dwordx2 v[20:21], v[2:3], off
	s_or_b64 exec, exec, s[14:15]
	s_and_saveexec_b64 s[14:15], s[6:7]
	s_cbranch_execz .LBB132_33
.LBB132_44:                             ;   in Loop: Header=BB132_3 Depth=1
	v_lshl_add_u64 v[2:3], v[74:75], 0, v[52:53]
	global_load_dwordx2 v[38:39], v[2:3], off
	v_lshl_add_u64 v[2:3], v[76:77], 0, v[52:53]
	global_load_dwordx2 v[22:23], v[2:3], off
	s_or_b64 exec, exec, s[14:15]
	s_and_saveexec_b64 s[14:15], s[6:7]
	s_cbranch_execz .LBB132_34
.LBB132_45:                             ;   in Loop: Header=BB132_3 Depth=1
	v_lshl_add_u64 v[2:3], v[70:71], 0, v[52:53]
	global_load_dwordx2 v[40:41], v[2:3], off
	v_lshl_add_u64 v[2:3], v[72:73], 0, v[52:53]
	global_load_dwordx2 v[24:25], v[2:3], off
	s_or_b64 exec, exec, s[14:15]
	s_and_saveexec_b64 s[14:15], s[6:7]
	s_cbranch_execz .LBB132_35
.LBB132_46:                             ;   in Loop: Header=BB132_3 Depth=1
	v_lshl_add_u64 v[2:3], v[66:67], 0, v[52:53]
	global_load_dwordx2 v[42:43], v[2:3], off
	v_lshl_add_u64 v[2:3], v[68:69], 0, v[52:53]
	global_load_dwordx2 v[26:27], v[2:3], off
	s_or_b64 exec, exec, s[14:15]
	s_and_saveexec_b64 s[14:15], s[6:7]
	s_cbranch_execz .LBB132_36
.LBB132_47:                             ;   in Loop: Header=BB132_3 Depth=1
	v_lshl_add_u64 v[2:3], v[62:63], 0, v[52:53]
	global_load_dwordx2 v[44:45], v[2:3], off
	v_lshl_add_u64 v[2:3], v[64:65], 0, v[52:53]
	global_load_dwordx2 v[28:29], v[2:3], off
	s_or_b64 exec, exec, s[14:15]
	s_and_saveexec_b64 s[14:15], s[6:7]
	s_cbranch_execz .LBB132_37
.LBB132_48:                             ;   in Loop: Header=BB132_3 Depth=1
	v_lshl_add_u64 v[2:3], v[58:59], 0, v[52:53]
	global_load_dwordx2 v[46:47], v[2:3], off
	v_lshl_add_u64 v[2:3], v[60:61], 0, v[52:53]
	global_load_dwordx2 v[30:31], v[2:3], off
	s_or_b64 exec, exec, s[14:15]
	s_and_saveexec_b64 s[14:15], s[6:7]
	s_cbranch_execnz .LBB132_38
	s_branch .LBB132_39
.LBB132_49:
                                        ; implicit-def: $vgpr2_vgpr3
	s_load_dwordx2 s[6:7], s[0:1], 0x30
	s_branch .LBB132_51
.LBB132_50:
	s_load_dwordx2 s[6:7], s[0:1], 0x30
	s_cbranch_execnz .LBB132_83
.LBB132_51:
	s_and_b64 vcc, exec, s[4:5]
	v_mov_b64_e32 v[2:3], 0
	s_cbranch_vccnz .LBB132_83
; %bb.52:
	v_and_b32_e32 v1, 0x3ff, v0
	v_add_u32_e32 v4, s3, v1
	v_mov_b32_e32 v5, 0
	v_bfe_u32 v120, v0, 10, 10
	v_lshlrev_b64 v[52:53], 3, v[4:5]
	v_lshlrev_b32_e32 v4, 6, v120
	v_lshl_add_u64 v[2:3], s[28:29], 3, v[4:5]
	v_lshl_add_u64 v[6:7], v[2:3], 0, 8
	v_mov_b64_e32 v[8:9], s[40:41]
	v_mov_b64_e32 v[18:19], s[42:43]
	v_mad_u64_u32 v[54:55], s[4:5], s38, v6, v[8:9]
	v_mul_lo_u32 v4, s38, v7
	v_mul_lo_u32 v7, s39, v6
	v_mad_u64_u32 v[64:65], s[4:5], s38, v6, v[18:19]
	v_lshlrev_b32_e32 v50, 3, v120
	v_mov_b32_e32 v51, v5
	v_add3_u32 v55, v7, v55, v4
	v_lshl_add_u64 v[10:11], v[2:3], 0, 16
	v_lshl_add_u64 v[12:13], v[2:3], 0, 24
	;; [unrolled: 1-line block ×4, first 2 shown]
	v_add3_u32 v65, v7, v65, v4
	v_lshl_add_u64 v[6:7], v[2:3], 0, 48
	v_lshl_add_u64 v[2:3], v[2:3], 0, 56
	v_mad_u64_u32 v[56:57], s[4:5], s38, v10, v[8:9]
	v_mul_lo_u32 v20, s39, v10
	v_mad_u64_u32 v[58:59], s[4:5], s38, v12, v[8:9]
	v_mad_u64_u32 v[60:61], s[4:5], s38, v14, v[8:9]
	v_mad_u64_u32 v[62:63], s[4:5], s38, v16, v[8:9]
	v_mad_u64_u32 v[66:67], s[4:5], s38, v10, v[18:19]
	v_mad_u64_u32 v[68:69], s[4:5], s38, v6, v[8:9]
	v_mad_u64_u32 v[72:73], s[4:5], s38, v2, v[8:9]
	v_mul_lo_u32 v3, s38, v3
	v_mul_lo_u32 v10, s39, v2
	v_lshl_add_u64 v[8:9], v[50:51], 0, s[28:29]
	v_mad_u64_u32 v[80:81], s[4:5], s38, v2, v[18:19]
	v_mul_lo_u32 v4, s38, v7
	v_mul_lo_u32 v7, s39, v6
	v_add3_u32 v73, v10, v73, v3
	v_mad_u64_u32 v[78:79], s[4:5], s38, v6, v[18:19]
	v_add3_u32 v81, v10, v81, v3
	v_lshl_add_u64 v[2:3], v[8:9], 0, 7
	v_add3_u32 v69, v7, v69, v4
	v_add3_u32 v79, v7, v79, v4
	v_mul_lo_u32 v4, s39, v2
	v_mul_lo_u32 v6, s38, v3
	v_mad_u64_u32 v[2:3], s[4:5], s38, v2, 0
	v_add3_u32 v3, v3, v6, v4
	v_lshl_add_u64 v[6:7], v[8:9], 0, 6
	v_mul_lo_u32 v11, s38, v11
	v_mul_lo_u32 v4, s39, v6
	;; [unrolled: 1-line block ×3, first 2 shown]
	v_mad_u64_u32 v[6:7], s[4:5], s38, v6, 0
	v_add3_u32 v57, v20, v57, v11
	v_add3_u32 v67, v20, v67, v11
	v_add3_u32 v7, v7, v10, v4
	v_lshl_add_u64 v[10:11], v[8:9], 0, 5
	v_mul_lo_u32 v13, s38, v13
	v_mul_lo_u32 v21, s39, v12
	v_mad_u64_u32 v[70:71], s[4:5], s38, v12, v[18:19]
	v_mul_lo_u32 v4, s39, v10
	v_mul_lo_u32 v12, s38, v11
	v_mad_u64_u32 v[10:11], s[4:5], s38, v10, 0
	v_add3_u32 v59, v21, v59, v13
	v_add3_u32 v71, v21, v71, v13
	v_add3_u32 v11, v11, v12, v4
	v_lshl_add_u64 v[12:13], v[8:9], 0, 4
	v_mul_lo_u32 v15, s38, v15
	v_mul_lo_u32 v22, s39, v14
	v_mad_u64_u32 v[74:75], s[4:5], s38, v14, v[18:19]
	v_mul_lo_u32 v4, s39, v12
	v_mul_lo_u32 v14, s38, v13
	;; [unrolled: 10-line block ×3, first 2 shown]
	v_mad_u64_u32 v[14:15], s[4:5], s38, v14, 0
	v_lshlrev_b64 v[2:3], 3, v[2:3]
	v_add3_u32 v63, v23, v63, v17
	v_add3_u32 v77, v23, v77, v17
	;; [unrolled: 1-line block ×3, first 2 shown]
	v_lshl_add_u64 v[16:17], v[8:9], 0, 2
	v_lshl_add_u64 v[86:87], s[40:41], 0, v[2:3]
	v_lshl_add_u64 v[88:89], s[42:43], 0, v[2:3]
	v_lshlrev_b64 v[2:3], 3, v[6:7]
	v_mul_lo_u32 v4, s39, v16
	v_mul_lo_u32 v18, s38, v17
	v_mad_u64_u32 v[16:17], s[4:5], s38, v16, 0
	s_load_dword s3, s[0:1], 0x44
	v_lshl_add_u64 v[90:91], s[40:41], 0, v[2:3]
	v_lshl_add_u64 v[92:93], s[42:43], 0, v[2:3]
	v_lshlrev_b64 v[2:3], 3, v[10:11]
	v_add3_u32 v17, v17, v18, v4
	v_mov_b64_e32 v[18:19], s[38:39]
	v_lshl_add_u64 v[94:95], s[40:41], 0, v[2:3]
	v_lshl_add_u64 v[96:97], s[42:43], 0, v[2:3]
	v_lshlrev_b64 v[2:3], 3, v[12:13]
	v_mad_u64_u32 v[18:19], s[4:5], s38, v8, v[18:19]
	v_mul_lo_u32 v4, s39, v8
	v_mul_lo_u32 v20, s38, v9
	v_lshl_add_u64 v[98:99], s[40:41], 0, v[2:3]
	v_lshl_add_u64 v[100:101], s[42:43], 0, v[2:3]
	v_lshlrev_b64 v[2:3], 3, v[14:15]
	v_mad_u64_u32 v[8:9], s[4:5], s38, v8, 0
	v_add3_u32 v19, v4, v19, v20
	v_lshl_add_u64 v[102:103], s[40:41], 0, v[2:3]
	v_lshl_add_u64 v[104:105], s[42:43], 0, v[2:3]
	v_lshlrev_b64 v[2:3], 3, v[16:17]
	s_add_u32 s4, s0, 64
	v_lshl_add_u64 v[106:107], s[40:41], 0, v[2:3]
	v_lshl_add_u64 v[108:109], s[42:43], 0, v[2:3]
	v_lshlrev_b64 v[2:3], 3, v[18:19]
	s_addc_u32 s5, s1, 0
	s_waitcnt lgkmcnt(0)
	s_lshl_b32 s30, s3, 3
	v_lshl_add_u64 v[110:111], s[40:41], 0, v[2:3]
	v_lshl_add_u64 v[112:113], s[42:43], 0, v[2:3]
	v_mbcnt_lo_u32_b32 v2, -1, 0
	v_add3_u32 v9, v9, v20, v4
	s_mul_i32 s3, s39, s30
	s_mul_hi_u32 s9, s38, s30
	v_mbcnt_hi_u32_b32 v2, -1, v2
	s_mov_b32 s12, 0
	s_add_i32 s15, s9, s3
	s_mul_i32 s14, s38, s30
	v_lshlrev_b64 v[8:9], 3, v[8:9]
	v_lshlrev_b32_e32 v2, 2, v2
	s_mov_b32 s31, s12
	s_lshl_b64 s[34:35], s[14:15], 3
	v_lshl_add_u64 v[82:83], s[40:41], 0, v[8:9]
	v_lshl_add_u64 v[84:85], s[42:43], 0, v[8:9]
	s_mov_b64 s[44:45], 7
	v_and_b32_e32 v121, 0x100, v2
	s_mov_b64 s[40:41], s[28:29]
	v_mov_b64_e32 v[114:115], 0
.LBB132_53:                             ; =>This Inner Loop Header: Depth=1
	s_add_u32 s14, s28, s44
	s_addc_u32 s15, 0, s45
	v_mov_b64_e32 v[2:3], s[36:37]
	v_cmp_ge_i64_e32 vcc, s[14:15], v[2:3]
	v_lshl_add_u64 v[116:117], s[28:29], 0, v[50:51]
	s_cbranch_vccz .LBB132_75
; %bb.54:                               ;   in Loop: Header=BB132_53 Depth=1
	s_load_dword s3, s[4:5], 0xc
	v_mov_b64_e32 v[118:119], 0
	s_waitcnt lgkmcnt(0)
	s_and_b32 s3, s3, 0xffff
	v_mad_u32_u24 v2, v120, s3, v1
	v_and_b32_e32 v4, 63, v2
	v_cmp_gt_u32_e32 vcc, 8, v4
	s_and_saveexec_b64 s[14:15], vcc
	s_cbranch_execz .LBB132_58
; %bb.55:                               ;   in Loop: Header=BB132_53 Depth=1
	v_lshl_add_u64 v[2:3], v[116:117], 0, v[4:5]
	v_cmp_gt_i64_e32 vcc, s[36:37], v[2:3]
	v_mov_b64_e32 v[118:119], 0
	s_and_saveexec_b64 s[16:17], vcc
	s_cbranch_execz .LBB132_57
; %bb.56:                               ;   in Loop: Header=BB132_53 Depth=1
	v_lshl_add_u64 v[2:3], v[2:3], 3, s[10:11]
	global_load_dwordx2 v[118:119], v[2:3], off
.LBB132_57:                             ;   in Loop: Header=BB132_53 Depth=1
	s_or_b64 exec, exec, s[16:17]
.LBB132_58:                             ;   in Loop: Header=BB132_53 Depth=1
	s_or_b64 exec, exec, s[14:15]
	s_mov_b32 s26, s12
	s_mov_b32 s27, s12
	s_mov_b32 s13, s12
	s_mov_b32 s14, s12
	s_mov_b32 s15, s12
	s_mov_b32 s16, s12
	s_mov_b32 s17, s12
	s_mov_b32 s18, s12
	s_mov_b32 s19, s12
	s_mov_b32 s20, s12
	s_mov_b32 s21, s12
	s_mov_b32 s22, s12
	s_mov_b32 s23, s12
	s_mov_b32 s24, s12
	s_mov_b32 s25, s12
	v_mov_b64_e32 v[32:33], s[26:27]
	v_mov_b64_e32 v[30:31], s[24:25]
	;; [unrolled: 1-line block ×9, first 2 shown]
	v_cmp_gt_i64_e32 vcc, s[36:37], v[116:117]
	v_mov_b64_e32 v[46:47], v[30:31]
	v_mov_b64_e32 v[44:45], v[28:29]
	;; [unrolled: 1-line block ×7, first 2 shown]
	s_and_saveexec_b64 s[14:15], vcc
	s_cbranch_execz .LBB132_60
; %bb.59:                               ;   in Loop: Header=BB132_53 Depth=1
	v_lshl_add_u64 v[2:3], v[82:83], 0, v[52:53]
	global_load_dwordx2 v[2:3], v[2:3], off
	v_lshl_add_u64 v[6:7], v[84:85], 0, v[52:53]
	global_load_dwordx2 v[18:19], v[6:7], off
	v_mov_b32_e32 v16, v5
	v_mov_b32_e32 v17, v5
	;; [unrolled: 1-line block ×13, first 2 shown]
	s_waitcnt vmcnt(1)
	v_mov_b64_e32 v[48:49], v[16:17]
	v_mov_b32_e32 v20, v5
	v_mov_b32_e32 v21, v5
	;; [unrolled: 1-line block ×14, first 2 shown]
	v_mov_b64_e32 v[46:47], v[14:15]
	v_mov_b64_e32 v[44:45], v[12:13]
	;; [unrolled: 1-line block ×7, first 2 shown]
.LBB132_60:                             ;   in Loop: Header=BB132_53 Depth=1
	s_or_b64 exec, exec, s[14:15]
	v_lshl_add_u64 v[2:3], v[116:117], 0, 1
	v_cmp_gt_i64_e32 vcc, s[36:37], v[2:3]
	s_and_saveexec_b64 s[14:15], vcc
	s_cbranch_execz .LBB132_62
; %bb.61:                               ;   in Loop: Header=BB132_53 Depth=1
	v_lshl_add_u64 v[2:3], v[110:111], 0, v[52:53]
	global_load_dwordx2 v[36:37], v[2:3], off
	v_lshl_add_u64 v[2:3], v[112:113], 0, v[52:53]
	global_load_dwordx2 v[20:21], v[2:3], off
.LBB132_62:                             ;   in Loop: Header=BB132_53 Depth=1
	s_or_b64 exec, exec, s[14:15]
	v_lshl_add_u64 v[2:3], v[116:117], 0, 2
	v_cmp_gt_i64_e32 vcc, s[36:37], v[2:3]
	s_and_saveexec_b64 s[14:15], vcc
	s_cbranch_execz .LBB132_64
; %bb.63:                               ;   in Loop: Header=BB132_53 Depth=1
	v_lshl_add_u64 v[2:3], v[106:107], 0, v[52:53]
	global_load_dwordx2 v[38:39], v[2:3], off
	v_lshl_add_u64 v[2:3], v[108:109], 0, v[52:53]
	global_load_dwordx2 v[22:23], v[2:3], off
.LBB132_64:                             ;   in Loop: Header=BB132_53 Depth=1
	s_or_b64 exec, exec, s[14:15]
	v_lshl_add_u64 v[2:3], v[116:117], 0, 3
	v_cmp_gt_i64_e32 vcc, s[36:37], v[2:3]
	s_and_saveexec_b64 s[14:15], vcc
	s_cbranch_execz .LBB132_66
; %bb.65:                               ;   in Loop: Header=BB132_53 Depth=1
	v_lshl_add_u64 v[2:3], v[102:103], 0, v[52:53]
	global_load_dwordx2 v[40:41], v[2:3], off
	v_lshl_add_u64 v[2:3], v[104:105], 0, v[52:53]
	global_load_dwordx2 v[24:25], v[2:3], off
.LBB132_66:                             ;   in Loop: Header=BB132_53 Depth=1
	s_or_b64 exec, exec, s[14:15]
	v_lshl_add_u64 v[2:3], v[116:117], 0, 4
	v_cmp_gt_i64_e32 vcc, s[36:37], v[2:3]
	s_and_saveexec_b64 s[14:15], vcc
	s_cbranch_execz .LBB132_68
; %bb.67:                               ;   in Loop: Header=BB132_53 Depth=1
	v_lshl_add_u64 v[2:3], v[98:99], 0, v[52:53]
	global_load_dwordx2 v[42:43], v[2:3], off
	v_lshl_add_u64 v[2:3], v[100:101], 0, v[52:53]
	global_load_dwordx2 v[26:27], v[2:3], off
.LBB132_68:                             ;   in Loop: Header=BB132_53 Depth=1
	s_or_b64 exec, exec, s[14:15]
	v_lshl_add_u64 v[2:3], v[116:117], 0, 5
	v_cmp_gt_i64_e32 vcc, s[36:37], v[2:3]
	s_and_saveexec_b64 s[14:15], vcc
	s_cbranch_execz .LBB132_70
; %bb.69:                               ;   in Loop: Header=BB132_53 Depth=1
	v_lshl_add_u64 v[2:3], v[94:95], 0, v[52:53]
	global_load_dwordx2 v[44:45], v[2:3], off
	v_lshl_add_u64 v[2:3], v[96:97], 0, v[52:53]
	global_load_dwordx2 v[28:29], v[2:3], off
.LBB132_70:                             ;   in Loop: Header=BB132_53 Depth=1
	s_or_b64 exec, exec, s[14:15]
	v_lshl_add_u64 v[2:3], v[116:117], 0, 6
	v_cmp_gt_i64_e32 vcc, s[36:37], v[2:3]
	s_and_saveexec_b64 s[14:15], vcc
	s_cbranch_execz .LBB132_72
; %bb.71:                               ;   in Loop: Header=BB132_53 Depth=1
	v_lshl_add_u64 v[2:3], v[90:91], 0, v[52:53]
	global_load_dwordx2 v[46:47], v[2:3], off
	v_lshl_add_u64 v[2:3], v[92:93], 0, v[52:53]
	global_load_dwordx2 v[30:31], v[2:3], off
.LBB132_72:                             ;   in Loop: Header=BB132_53 Depth=1
	s_or_b64 exec, exec, s[14:15]
	v_lshl_add_u64 v[2:3], v[116:117], 0, 7
	v_cmp_gt_i64_e32 vcc, s[36:37], v[2:3]
	s_and_saveexec_b64 s[14:15], vcc
	s_cbranch_execz .LBB132_74
; %bb.73:                               ;   in Loop: Header=BB132_53 Depth=1
	v_lshl_add_u64 v[2:3], v[86:87], 0, v[52:53]
	global_load_dwordx2 v[48:49], v[2:3], off
	v_lshl_add_u64 v[2:3], v[88:89], 0, v[52:53]
	global_load_dwordx2 v[32:33], v[2:3], off
.LBB132_74:                             ;   in Loop: Header=BB132_53 Depth=1
	s_or_b64 exec, exec, s[14:15]
	s_waitcnt vmcnt(0)
	ds_bpermute_b32 v2, v121, v118
	ds_bpermute_b32 v3, v121, v119
	ds_bpermute_b32 v6, v121, v118 offset:4
	ds_bpermute_b32 v7, v121, v119 offset:4
	v_mul_f64 v[8:9], v[18:19], v[34:35]
	ds_bpermute_b32 v10, v121, v118 offset:12
	s_waitcnt lgkmcnt(3)
	v_fma_f64 v[2:3], v[8:9], v[2:3], v[114:115]
	v_mul_f64 v[8:9], v[20:21], v[36:37]
	s_waitcnt lgkmcnt(1)
	v_fmac_f64_e32 v[2:3], v[8:9], v[6:7]
	ds_bpermute_b32 v6, v121, v118 offset:8
	ds_bpermute_b32 v7, v121, v119 offset:8
	;; [unrolled: 1-line block ×5, first 2 shown]
	v_mul_f64 v[8:9], v[22:23], v[38:39]
	s_waitcnt lgkmcnt(3)
	v_fmac_f64_e32 v[2:3], v[8:9], v[6:7]
	v_mul_f64 v[6:7], v[24:25], v[40:41]
	s_waitcnt lgkmcnt(2)
	v_fmac_f64_e32 v[2:3], v[6:7], v[10:11]
	;; [unrolled: 3-line block ×3, first 2 shown]
	ds_bpermute_b32 v6, v121, v118 offset:20
	ds_bpermute_b32 v7, v121, v119 offset:20
	;; [unrolled: 1-line block ×6, first 2 shown]
	v_mul_f64 v[8:9], v[28:29], v[44:45]
	s_waitcnt lgkmcnt(4)
	v_fmac_f64_e32 v[2:3], v[8:9], v[6:7]
	v_mul_f64 v[6:7], v[30:31], v[46:47]
	s_waitcnt lgkmcnt(2)
	v_fmac_f64_e32 v[2:3], v[6:7], v[10:11]
	;; [unrolled: 3-line block ×3, first 2 shown]
	s_branch .LBB132_81
.LBB132_75:                             ;   in Loop: Header=BB132_53 Depth=1
                                        ; implicit-def: $vgpr2_vgpr3
	s_cbranch_execz .LBB132_81
; %bb.76:                               ;   in Loop: Header=BB132_53 Depth=1
	s_load_dword s3, s[4:5], 0x0
	s_waitcnt lgkmcnt(0)
	s_cmp_lt_u32 s2, s3
	s_cselect_b32 s3, 12, 18
	s_add_u32 s14, s4, s3
	s_addc_u32 s15, s5, 0
	global_load_ushort v2, v5, s[14:15]
	s_waitcnt vmcnt(0)
	v_mad_u32_u24 v2, v120, v2, v1
	v_and_b32_e32 v4, 63, v2
	v_cmp_gt_u32_e32 vcc, 8, v4
	v_mov_b64_e32 v[2:3], 0
	s_and_saveexec_b64 s[14:15], vcc
	s_cbranch_execz .LBB132_80
; %bb.77:                               ;   in Loop: Header=BB132_53 Depth=1
	v_lshl_add_u64 v[6:7], v[116:117], 0, v[4:5]
	v_cmp_gt_i64_e32 vcc, s[36:37], v[6:7]
	v_mov_b64_e32 v[2:3], 0
	s_and_saveexec_b64 s[16:17], vcc
	s_cbranch_execz .LBB132_79
; %bb.78:                               ;   in Loop: Header=BB132_53 Depth=1
	v_lshl_add_u64 v[2:3], v[6:7], 3, s[10:11]
	global_load_dwordx2 v[2:3], v[2:3], off
.LBB132_79:                             ;   in Loop: Header=BB132_53 Depth=1
	s_or_b64 exec, exec, s[16:17]
.LBB132_80:                             ;   in Loop: Header=BB132_53 Depth=1
	s_or_b64 exec, exec, s[14:15]
	v_lshl_add_u64 v[6:7], v[82:83], 0, v[52:53]
	v_lshl_add_u64 v[8:9], v[84:85], 0, v[52:53]
	global_load_dwordx2 v[6:7], v[6:7], off
	v_lshl_add_u64 v[10:11], v[54:55], 0, v[52:53]
	global_load_dwordx2 v[8:9], v[8:9], off
	;; [unrolled: 2-line block ×10, first 2 shown]
	v_lshl_add_u64 v[28:29], v[76:77], 0, v[52:53]
	v_lshl_add_u64 v[30:31], v[68:69], 0, v[52:53]
	;; [unrolled: 1-line block ×3, first 2 shown]
	global_load_dwordx2 v[34:35], v[26:27], off
	global_load_dwordx2 v[36:37], v[28:29], off
	;; [unrolled: 1-line block ×4, first 2 shown]
	v_lshl_add_u64 v[26:27], v[72:73], 0, v[52:53]
	v_lshl_add_u64 v[28:29], v[80:81], 0, v[52:53]
	global_load_dwordx2 v[30:31], v[26:27], off
	global_load_dwordx2 v[32:33], v[28:29], off
	s_waitcnt vmcnt(16)
	ds_bpermute_b32 v26, v121, v2
	ds_bpermute_b32 v27, v121, v3
	ds_bpermute_b32 v28, v121, v2 offset:4
	ds_bpermute_b32 v29, v121, v3 offset:4
	;; [unrolled: 1-line block ×14, first 2 shown]
	s_waitcnt vmcnt(14)
	v_mul_f64 v[6:7], v[6:7], v[8:9]
	s_waitcnt lgkmcnt(14)
	v_fmac_f64_e32 v[114:115], v[6:7], v[26:27]
	s_waitcnt vmcnt(12)
	v_mul_f64 v[8:9], v[10:11], v[12:13]
	s_waitcnt lgkmcnt(12)
	v_fmac_f64_e32 v[114:115], v[8:9], v[28:29]
	;; [unrolled: 4-line block ×8, first 2 shown]
	v_mov_b64_e32 v[2:3], v[114:115]
.LBB132_81:                             ;   in Loop: Header=BB132_53 Depth=1
	s_add_u32 s40, s40, s30
	s_addc_u32 s41, s41, 0
	v_mov_b64_e32 v[6:7], s[36:37]
	s_add_u32 s44, s44, s30
	v_cmp_ge_i64_e32 vcc, s[40:41], v[6:7]
	v_lshl_add_u64 v[50:51], v[50:51], 0, s[30:31]
	v_lshl_add_u64 v[54:55], v[54:55], 0, s[34:35]
	;; [unrolled: 1-line block ×31, first 2 shown]
	s_addc_u32 s45, s45, 0
	s_cbranch_vccnz .LBB132_83
; %bb.82:                               ;   in Loop: Header=BB132_53 Depth=1
	v_mov_b64_e32 v[114:115], v[2:3]
	s_branch .LBB132_53
.LBB132_83:
	s_mov_b32 s3, 0
	s_lshl_b64 s[2:3], s[2:3], 5
	v_and_b32_e32 v1, 0x3ff, v0
	v_or_b32_e32 v4, s2, v1
	v_mov_b32_e32 v5, s3
	s_waitcnt lgkmcnt(0)
	s_cmp_lg_u64 s[6:7], 0
	v_cmp_gt_i64_e32 vcc, s[38:39], v[4:5]
	s_cselect_b64 s[2:3], -1, 0
	s_and_b64 s[2:3], vcc, s[2:3]
	s_and_saveexec_b64 s[4:5], s[2:3]
	s_cbranch_execz .LBB132_85
; %bb.84:
	s_load_dword s0, s[0:1], 0x4c
	v_bfe_u32 v0, v0, 10, 10
	v_mov_b32_e32 v1, 0
	v_mov_b32_e32 v6, s8
	s_waitcnt lgkmcnt(0)
	s_lshr_b32 s0, s0, 16
	v_mad_u64_u32 v[0:1], s[0:1], s0, v6, v[0:1]
	v_mul_lo_u32 v6, v1, s38
	v_mul_lo_u32 v7, v0, s39
	v_mad_u64_u32 v[0:1], s[0:1], v0, s38, 0
	v_add3_u32 v1, v1, v7, v6
	v_lshl_add_u64 v[0:1], v[0:1], 3, s[6:7]
	v_lshl_add_u64 v[0:1], v[4:5], 3, v[0:1]
	global_store_dwordx2 v[0:1], v[2:3], off
.LBB132_85:
	s_endpgm
	.section	.rodata,"a",@progbits
	.p2align	6, 0x0
	.amdhsa_kernel _ZN2at6native12_GLOBAL__N_135GammaBetaBackwardCUDAKernelTemplateIddLj32ELj1ELj8ELb1ELb0ELb1EEEvllPKT_S5_PKT0_S8_PS3_S9_
		.amdhsa_group_segment_fixed_size 0
		.amdhsa_private_segment_fixed_size 0
		.amdhsa_kernarg_size 320
		.amdhsa_user_sgpr_count 2
		.amdhsa_user_sgpr_dispatch_ptr 0
		.amdhsa_user_sgpr_queue_ptr 0
		.amdhsa_user_sgpr_kernarg_segment_ptr 1
		.amdhsa_user_sgpr_dispatch_id 0
		.amdhsa_user_sgpr_kernarg_preload_length 0
		.amdhsa_user_sgpr_kernarg_preload_offset 0
		.amdhsa_user_sgpr_private_segment_size 0
		.amdhsa_uses_dynamic_stack 0
		.amdhsa_enable_private_segment 0
		.amdhsa_system_sgpr_workgroup_id_x 1
		.amdhsa_system_sgpr_workgroup_id_y 1
		.amdhsa_system_sgpr_workgroup_id_z 0
		.amdhsa_system_sgpr_workgroup_info 0
		.amdhsa_system_vgpr_workitem_id 1
		.amdhsa_next_free_vgpr 122
		.amdhsa_next_free_sgpr 52
		.amdhsa_accum_offset 124
		.amdhsa_reserve_vcc 1
		.amdhsa_float_round_mode_32 0
		.amdhsa_float_round_mode_16_64 0
		.amdhsa_float_denorm_mode_32 3
		.amdhsa_float_denorm_mode_16_64 3
		.amdhsa_dx10_clamp 1
		.amdhsa_ieee_mode 1
		.amdhsa_fp16_overflow 0
		.amdhsa_tg_split 0
		.amdhsa_exception_fp_ieee_invalid_op 0
		.amdhsa_exception_fp_denorm_src 0
		.amdhsa_exception_fp_ieee_div_zero 0
		.amdhsa_exception_fp_ieee_overflow 0
		.amdhsa_exception_fp_ieee_underflow 0
		.amdhsa_exception_fp_ieee_inexact 0
		.amdhsa_exception_int_div_zero 0
	.end_amdhsa_kernel
	.section	.text._ZN2at6native12_GLOBAL__N_135GammaBetaBackwardCUDAKernelTemplateIddLj32ELj1ELj8ELb1ELb0ELb1EEEvllPKT_S5_PKT0_S8_PS3_S9_,"axG",@progbits,_ZN2at6native12_GLOBAL__N_135GammaBetaBackwardCUDAKernelTemplateIddLj32ELj1ELj8ELb1ELb0ELb1EEEvllPKT_S5_PKT0_S8_PS3_S9_,comdat
.Lfunc_end132:
	.size	_ZN2at6native12_GLOBAL__N_135GammaBetaBackwardCUDAKernelTemplateIddLj32ELj1ELj8ELb1ELb0ELb1EEEvllPKT_S5_PKT0_S8_PS3_S9_, .Lfunc_end132-_ZN2at6native12_GLOBAL__N_135GammaBetaBackwardCUDAKernelTemplateIddLj32ELj1ELj8ELb1ELb0ELb1EEEvllPKT_S5_PKT0_S8_PS3_S9_
                                        ; -- End function
	.section	.AMDGPU.csdata,"",@progbits
; Kernel info:
; codeLenInByte = 6388
; NumSgprs: 58
; NumVgprs: 122
; NumAgprs: 0
; TotalNumVgprs: 122
; ScratchSize: 0
; MemoryBound: 1
; FloatMode: 240
; IeeeMode: 1
; LDSByteSize: 0 bytes/workgroup (compile time only)
; SGPRBlocks: 7
; VGPRBlocks: 15
; NumSGPRsForWavesPerEU: 58
; NumVGPRsForWavesPerEU: 122
; AccumOffset: 124
; Occupancy: 4
; WaveLimiterHint : 0
; COMPUTE_PGM_RSRC2:SCRATCH_EN: 0
; COMPUTE_PGM_RSRC2:USER_SGPR: 2
; COMPUTE_PGM_RSRC2:TRAP_HANDLER: 0
; COMPUTE_PGM_RSRC2:TGID_X_EN: 1
; COMPUTE_PGM_RSRC2:TGID_Y_EN: 1
; COMPUTE_PGM_RSRC2:TGID_Z_EN: 0
; COMPUTE_PGM_RSRC2:TIDIG_COMP_CNT: 1
; COMPUTE_PGM_RSRC3_GFX90A:ACCUM_OFFSET: 30
; COMPUTE_PGM_RSRC3_GFX90A:TG_SPLIT: 0
	.section	.text._ZN2at6native12_GLOBAL__N_135GammaBetaBackwardCUDAKernelTemplateIddLj32ELj8ELj64ELb0ELb1ELb1EEEvllPKT_S5_PKT0_S8_PS3_S9_,"axG",@progbits,_ZN2at6native12_GLOBAL__N_135GammaBetaBackwardCUDAKernelTemplateIddLj32ELj8ELj64ELb0ELb1ELb1EEEvllPKT_S5_PKT0_S8_PS3_S9_,comdat
	.globl	_ZN2at6native12_GLOBAL__N_135GammaBetaBackwardCUDAKernelTemplateIddLj32ELj8ELj64ELb0ELb1ELb1EEEvllPKT_S5_PKT0_S8_PS3_S9_ ; -- Begin function _ZN2at6native12_GLOBAL__N_135GammaBetaBackwardCUDAKernelTemplateIddLj32ELj8ELj64ELb0ELb1ELb1EEEvllPKT_S5_PKT0_S8_PS3_S9_
	.p2align	8
	.type	_ZN2at6native12_GLOBAL__N_135GammaBetaBackwardCUDAKernelTemplateIddLj32ELj8ELj64ELb0ELb1ELb1EEEvllPKT_S5_PKT0_S8_PS3_S9_,@function
_ZN2at6native12_GLOBAL__N_135GammaBetaBackwardCUDAKernelTemplateIddLj32ELj8ELj64ELb0ELb1ELb1EEEvllPKT_S5_PKT0_S8_PS3_S9_: ; @_ZN2at6native12_GLOBAL__N_135GammaBetaBackwardCUDAKernelTemplateIddLj32ELj8ELj64ELb0ELb1ELb1EEEvllPKT_S5_PKT0_S8_PS3_S9_
; %bb.0:
	s_load_dwordx4 s[4:7], s[0:1], 0x0
	s_lshl_b32 s14, s3, 6
	s_mov_b32 s15, 0
	v_bfe_u32 v16, v0, 10, 10
	s_waitcnt lgkmcnt(0)
	v_mov_b64_e32 v[2:3], s[4:5]
	v_cmp_lt_i64_e32 vcc, s[14:15], v[2:3]
	s_cbranch_vccnz .LBB133_2
; %bb.1:
	s_mov_b64 s[8:9], 0
	s_mov_b64 s[10:11], 0
	v_bfe_u32 v2, v0, 10, 10
	s_branch .LBB133_3
.LBB133_2:
	s_mov_b64 s[8:9], -1
                                        ; implicit-def: $sgpr10_sgpr11
                                        ; implicit-def: $vgpr2
.LBB133_3:
	s_load_dwordx2 s[12:13], s[0:1], 0x30
	v_and_b32_e32 v14, 0x3ff, v0
	s_andn2_b64 vcc, exec, s[8:9]
	v_mov_b64_e32 v[4:5], s[10:11]
	v_mbcnt_lo_u32_b32 v15, -1, 0
	s_cbranch_vccnz .LBB133_11
; %bb.4:
	s_load_dword s3, s[0:1], 0x4c
	s_load_dword s16, s[0:1], 0x44
	s_load_dwordx2 s[18:19], s[0:1], 0x28
	s_load_dwordx4 s[8:11], s[0:1], 0x10
	v_mbcnt_hi_u32_b32 v6, -1, v15
	s_waitcnt lgkmcnt(0)
	s_and_b32 s0, s3, 0xffff
	v_mad_u32_u24 v1, v16, s0, v14
	v_lshlrev_b32_e32 v0, 3, v16
	v_and_b32_e32 v2, 63, v1
	v_mov_b32_e32 v1, 0
	v_lshlrev_b32_e32 v6, 2, v6
	v_mov_b32_e32 v3, v1
	v_and_b32_e32 v17, 0x100, v6
	v_lshl_add_u64 v[6:7], v[0:1], 0, s[14:15]
	v_mov_b32_e32 v5, v1
	s_lshl_b32 s16, s16, 6
	v_lshl_add_u64 v[0:1], v[6:7], 0, v[2:3]
	v_mul_lo_u32 v8, s7, v6
	v_mul_lo_u32 v9, s6, v7
	v_mad_u64_u32 v[6:7], s[20:21], s6, v6, 0
	v_lshl_add_u32 v4, s2, 5, v14
	s_mul_i32 s3, s7, s16
	s_mul_hi_u32 s20, s6, s16
	s_mov_b32 s17, 0
	v_add3_u32 v7, v7, v9, v8
	v_lshlrev_b64 v[4:5], 3, v[4:5]
	s_add_i32 s21, s20, s3
	s_mul_i32 s20, s6, s16
	v_mov_b64_e32 v[8:9], 0
	v_cmp_gt_u32_e64 s[0:1], 8, v2
	v_or_b32_e32 v18, 4, v17
	v_or_b32_e32 v19, 8, v17
	;; [unrolled: 1-line block ×7, first 2 shown]
	v_lshl_add_u64 v[2:3], v[0:1], 3, s[18:19]
	s_lshl_b64 s[18:19], s[16:17], 3
	v_lshl_add_u64 v[6:7], v[6:7], 3, v[4:5]
	s_lshl_b64 s[20:21], s[20:21], 3
	s_lshl_b64 s[6:7], s[6:7], 3
	v_mov_b64_e32 v[10:11], s[4:5]
	v_mov_b64_e32 v[4:5], v[8:9]
	s_branch .LBB133_7
.LBB133_5:                              ;   in Loop: Header=BB133_7 Depth=1
	s_or_b64 exec, exec, s[24:25]
.LBB133_6:                              ;   in Loop: Header=BB133_7 Depth=1
	s_or_b64 exec, exec, s[22:23]
	v_lshl_add_u64 v[26:27], s[8:9], 0, v[6:7]
	v_lshl_add_u64 v[30:31], s[10:11], 0, v[6:7]
	global_load_dwordx2 v[28:29], v[26:27], off
	global_load_dwordx2 v[32:33], v[30:31], off
	v_lshl_add_u64 v[26:27], v[26:27], 0, s[6:7]
	v_lshl_add_u64 v[30:31], v[30:31], 0, s[6:7]
	global_load_dwordx2 v[34:35], v[26:27], off
	global_load_dwordx2 v[36:37], v[30:31], off
	;; [unrolled: 4-line block ×7, first 2 shown]
	v_lshl_add_u64 v[26:27], v[26:27], 0, s[6:7]
	v_lshl_add_u64 v[30:31], v[30:31], 0, s[6:7]
	global_load_dwordx2 v[26:27], v[26:27], off
	s_waitcnt vmcnt(15)
	ds_bpermute_b32 v58, v17, v12
	global_load_dwordx2 v[30:31], v[30:31], off
	ds_bpermute_b32 v59, v17, v13
	s_add_u32 s14, s14, s16
	s_addc_u32 s15, s15, 0
	v_cmp_lt_i64_e32 vcc, s[14:15], v[10:11]
	v_lshl_add_u64 v[2:3], v[2:3], 0, s[18:19]
	v_lshl_add_u64 v[0:1], v[0:1], 0, s[16:17]
	;; [unrolled: 1-line block ×3, first 2 shown]
	s_and_b64 vcc, exec, vcc
	s_waitcnt vmcnt(14)
	v_mul_f64 v[28:29], v[28:29], v[32:33]
	s_waitcnt lgkmcnt(0)
	v_fmac_f64_e32 v[4:5], v[28:29], v[58:59]
	ds_bpermute_b32 v28, v18, v12
	ds_bpermute_b32 v29, v18, v13
	s_waitcnt vmcnt(12)
	v_mul_f64 v[32:33], v[34:35], v[36:37]
	s_waitcnt lgkmcnt(0)
	v_fmac_f64_e32 v[4:5], v[32:33], v[28:29]
	ds_bpermute_b32 v28, v19, v12
	ds_bpermute_b32 v29, v19, v13
	;; [unrolled: 6-line block ×5, first 2 shown]
	s_waitcnt vmcnt(4)
	v_mul_f64 v[32:33], v[50:51], v[52:53]
	s_waitcnt vmcnt(0)
	v_mul_f64 v[26:27], v[26:27], v[30:31]
	s_waitcnt lgkmcnt(0)
	v_fmac_f64_e32 v[4:5], v[32:33], v[28:29]
	ds_bpermute_b32 v28, v23, v12
	ds_bpermute_b32 v29, v23, v13
	ds_bpermute_b32 v12, v24, v12
	ds_bpermute_b32 v13, v24, v13
	v_mul_f64 v[32:33], v[54:55], v[56:57]
	s_waitcnt lgkmcnt(2)
	v_fmac_f64_e32 v[4:5], v[32:33], v[28:29]
	s_waitcnt lgkmcnt(0)
	v_fmac_f64_e32 v[4:5], v[26:27], v[12:13]
	s_cbranch_vccz .LBB133_10
.LBB133_7:                              ; =>This Inner Loop Header: Depth=1
	v_mov_b64_e32 v[12:13], v[8:9]
	s_and_saveexec_b64 s[22:23], s[0:1]
	s_cbranch_execz .LBB133_6
; %bb.8:                                ;   in Loop: Header=BB133_7 Depth=1
	v_cmp_gt_i64_e32 vcc, s[4:5], v[0:1]
	v_mov_b64_e32 v[12:13], 0
	s_and_saveexec_b64 s[24:25], vcc
	s_cbranch_execz .LBB133_5
; %bb.9:                                ;   in Loop: Header=BB133_7 Depth=1
	global_load_dwordx2 v[12:13], v[2:3], off
	s_branch .LBB133_5
.LBB133_10:
	v_mov_b32_e32 v2, v16
.LBB133_11:
	v_mad_u32_u24 v3, v2, 33, v14
	v_mov_b32_e32 v0, 0
	v_lshl_add_u32 v6, v3, 3, 0
	v_mov_b32_e32 v1, v0
	ds_write_b64 v6, v[0:1] offset:2112
	v_sub_u32_e32 v1, v3, v2
	s_movk_i32 s0, 0x800
	s_mov_b32 s3, 0
	v_cmp_gt_u32_e32 vcc, s0, v1
	ds_write_b64 v6, v[4:5]
	s_waitcnt lgkmcnt(0)
	s_barrier
	s_and_saveexec_b64 s[0:1], vcc
	s_cbranch_execz .LBB133_18
; %bb.12:
	v_mbcnt_hi_u32_b32 v2, -1, v15
	v_and_b32_e32 v4, 64, v2
	s_cmp_lg_u64 s[12:13], 0
	v_add_u32_e32 v6, 64, v4
	v_cmp_eq_u32_e64 s[0:1], 0, v14
	s_cselect_b64 s[6:7], -1, 0
	v_xor_b32_e32 v4, 4, v2
	s_and_b64 s[6:7], s[0:1], s[6:7]
	v_cmp_lt_i32_e64 s[0:1], v4, v6
	v_xor_b32_e32 v5, 2, v2
	v_xor_b32_e32 v7, 1, v2
	v_cndmask_b32_e64 v4, v2, v4, s[0:1]
	v_cmp_lt_i32_e64 s[0:1], v5, v6
	v_lshrrev_b32_e32 v3, 6, v1
	v_and_b32_e32 v1, 63, v1
	v_cndmask_b32_e64 v5, v2, v5, s[0:1]
	v_cmp_lt_i32_e64 s[0:1], v7, v6
	v_cmp_gt_u32_e32 vcc, 8, v1
	v_mul_u32_u24_e32 v1, 0x108, v1
	v_cndmask_b32_e64 v2, v2, v7, s[0:1]
	s_lshl_b64 s[0:1], s[2:3], 8
	s_add_u32 s0, s12, s0
	v_lshlrev_b32_e32 v6, 2, v2
	v_lshlrev_b32_e32 v2, 3, v3
	v_add_u32_e32 v8, -4, v3
	v_mov_b32_e32 v3, v0
	s_addc_u32 s1, s13, s1
	s_mov_b64 s[4:5], 0
	v_lshlrev_b32_e32 v4, 2, v4
	v_lshlrev_b32_e32 v5, 2, v5
	v_add3_u32 v7, v1, v2, 0
	v_lshl_add_u64 v[0:1], s[0:1], 0, v[2:3]
                                        ; implicit-def: $vgpr2_vgpr3
	s_branch .LBB133_14
.LBB133_13:                             ;   in Loop: Header=BB133_14 Depth=1
	s_or_b64 exec, exec, s[0:1]
	v_add_u32_e32 v8, 4, v8
	v_cmp_lt_u32_e64 s[0:1], 27, v8
	v_add_u32_e32 v7, 32, v7
	s_or_b64 s[4:5], s[0:1], s[4:5]
	v_lshl_add_u64 v[0:1], v[0:1], 0, 32
	s_andn2_b64 exec, exec, s[4:5]
	s_cbranch_execz .LBB133_18
.LBB133_14:                             ; =>This Inner Loop Header: Depth=1
	s_and_saveexec_b64 s[0:1], vcc
	s_cbranch_execz .LBB133_16
; %bb.15:                               ;   in Loop: Header=BB133_14 Depth=1
	ds_read_b64 v[2:3], v7
.LBB133_16:                             ;   in Loop: Header=BB133_14 Depth=1
	s_or_b64 exec, exec, s[0:1]
	s_waitcnt lgkmcnt(0)
	ds_bpermute_b32 v10, v4, v2
	ds_bpermute_b32 v11, v4, v3
	s_waitcnt lgkmcnt(0)
	v_add_f64 v[2:3], v[2:3], v[10:11]
	ds_bpermute_b32 v10, v5, v2
	ds_bpermute_b32 v11, v5, v3
	s_waitcnt lgkmcnt(0)
	v_add_f64 v[2:3], v[2:3], v[10:11]
	;; [unrolled: 4-line block ×3, first 2 shown]
	s_and_saveexec_b64 s[0:1], s[6:7]
	s_cbranch_execz .LBB133_13
; %bb.17:                               ;   in Loop: Header=BB133_14 Depth=1
	global_store_dwordx2 v[0:1], v[2:3], off
	s_branch .LBB133_13
.LBB133_18:
	s_endpgm
	.section	.rodata,"a",@progbits
	.p2align	6, 0x0
	.amdhsa_kernel _ZN2at6native12_GLOBAL__N_135GammaBetaBackwardCUDAKernelTemplateIddLj32ELj8ELj64ELb0ELb1ELb1EEEvllPKT_S5_PKT0_S8_PS3_S9_
		.amdhsa_group_segment_fixed_size 0
		.amdhsa_private_segment_fixed_size 0
		.amdhsa_kernarg_size 320
		.amdhsa_user_sgpr_count 2
		.amdhsa_user_sgpr_dispatch_ptr 0
		.amdhsa_user_sgpr_queue_ptr 0
		.amdhsa_user_sgpr_kernarg_segment_ptr 1
		.amdhsa_user_sgpr_dispatch_id 0
		.amdhsa_user_sgpr_kernarg_preload_length 0
		.amdhsa_user_sgpr_kernarg_preload_offset 0
		.amdhsa_user_sgpr_private_segment_size 0
		.amdhsa_uses_dynamic_stack 0
		.amdhsa_enable_private_segment 0
		.amdhsa_system_sgpr_workgroup_id_x 1
		.amdhsa_system_sgpr_workgroup_id_y 1
		.amdhsa_system_sgpr_workgroup_id_z 0
		.amdhsa_system_sgpr_workgroup_info 0
		.amdhsa_system_vgpr_workitem_id 1
		.amdhsa_next_free_vgpr 60
		.amdhsa_next_free_sgpr 26
		.amdhsa_accum_offset 60
		.amdhsa_reserve_vcc 1
		.amdhsa_float_round_mode_32 0
		.amdhsa_float_round_mode_16_64 0
		.amdhsa_float_denorm_mode_32 3
		.amdhsa_float_denorm_mode_16_64 3
		.amdhsa_dx10_clamp 1
		.amdhsa_ieee_mode 1
		.amdhsa_fp16_overflow 0
		.amdhsa_tg_split 0
		.amdhsa_exception_fp_ieee_invalid_op 0
		.amdhsa_exception_fp_denorm_src 0
		.amdhsa_exception_fp_ieee_div_zero 0
		.amdhsa_exception_fp_ieee_overflow 0
		.amdhsa_exception_fp_ieee_underflow 0
		.amdhsa_exception_fp_ieee_inexact 0
		.amdhsa_exception_int_div_zero 0
	.end_amdhsa_kernel
	.section	.text._ZN2at6native12_GLOBAL__N_135GammaBetaBackwardCUDAKernelTemplateIddLj32ELj8ELj64ELb0ELb1ELb1EEEvllPKT_S5_PKT0_S8_PS3_S9_,"axG",@progbits,_ZN2at6native12_GLOBAL__N_135GammaBetaBackwardCUDAKernelTemplateIddLj32ELj8ELj64ELb0ELb1ELb1EEEvllPKT_S5_PKT0_S8_PS3_S9_,comdat
.Lfunc_end133:
	.size	_ZN2at6native12_GLOBAL__N_135GammaBetaBackwardCUDAKernelTemplateIddLj32ELj8ELj64ELb0ELb1ELb1EEEvllPKT_S5_PKT0_S8_PS3_S9_, .Lfunc_end133-_ZN2at6native12_GLOBAL__N_135GammaBetaBackwardCUDAKernelTemplateIddLj32ELj8ELj64ELb0ELb1ELb1EEEvllPKT_S5_PKT0_S8_PS3_S9_
                                        ; -- End function
	.section	.AMDGPU.csdata,"",@progbits
; Kernel info:
; codeLenInByte = 1420
; NumSgprs: 32
; NumVgprs: 60
; NumAgprs: 0
; TotalNumVgprs: 60
; ScratchSize: 0
; MemoryBound: 0
; FloatMode: 240
; IeeeMode: 1
; LDSByteSize: 0 bytes/workgroup (compile time only)
; SGPRBlocks: 3
; VGPRBlocks: 7
; NumSGPRsForWavesPerEU: 32
; NumVGPRsForWavesPerEU: 60
; AccumOffset: 60
; Occupancy: 8
; WaveLimiterHint : 0
; COMPUTE_PGM_RSRC2:SCRATCH_EN: 0
; COMPUTE_PGM_RSRC2:USER_SGPR: 2
; COMPUTE_PGM_RSRC2:TRAP_HANDLER: 0
; COMPUTE_PGM_RSRC2:TGID_X_EN: 1
; COMPUTE_PGM_RSRC2:TGID_Y_EN: 1
; COMPUTE_PGM_RSRC2:TGID_Z_EN: 0
; COMPUTE_PGM_RSRC2:TIDIG_COMP_CNT: 1
; COMPUTE_PGM_RSRC3_GFX90A:ACCUM_OFFSET: 14
; COMPUTE_PGM_RSRC3_GFX90A:TG_SPLIT: 0
	.section	.text._ZN2at6native12_GLOBAL__N_135GammaBetaBackwardCUDAKernelTemplateIddLj32ELj8ELj64ELb0ELb0ELb1EEEvllPKT_S5_PKT0_S8_PS3_S9_,"axG",@progbits,_ZN2at6native12_GLOBAL__N_135GammaBetaBackwardCUDAKernelTemplateIddLj32ELj8ELj64ELb0ELb0ELb1EEEvllPKT_S5_PKT0_S8_PS3_S9_,comdat
	.globl	_ZN2at6native12_GLOBAL__N_135GammaBetaBackwardCUDAKernelTemplateIddLj32ELj8ELj64ELb0ELb0ELb1EEEvllPKT_S5_PKT0_S8_PS3_S9_ ; -- Begin function _ZN2at6native12_GLOBAL__N_135GammaBetaBackwardCUDAKernelTemplateIddLj32ELj8ELj64ELb0ELb0ELb1EEEvllPKT_S5_PKT0_S8_PS3_S9_
	.p2align	8
	.type	_ZN2at6native12_GLOBAL__N_135GammaBetaBackwardCUDAKernelTemplateIddLj32ELj8ELj64ELb0ELb0ELb1EEEvllPKT_S5_PKT0_S8_PS3_S9_,@function
_ZN2at6native12_GLOBAL__N_135GammaBetaBackwardCUDAKernelTemplateIddLj32ELj8ELj64ELb0ELb0ELb1EEEvllPKT_S5_PKT0_S8_PS3_S9_: ; @_ZN2at6native12_GLOBAL__N_135GammaBetaBackwardCUDAKernelTemplateIddLj32ELj8ELj64ELb0ELb0ELb1EEEvllPKT_S5_PKT0_S8_PS3_S9_
; %bb.0:
	s_load_dwordx8 s[24:31], s[0:1], 0x0
	s_load_dwordx2 s[34:35], s[0:1], 0x28
	s_lshl_b32 s33, s2, 5
	s_or_b32 s36, s33, 31
	s_mov_b32 s37, 0
	s_waitcnt lgkmcnt(0)
	v_mov_b64_e32 v[2:3], s[26:27]
	v_cmp_ge_i64_e32 vcc, s[36:37], v[2:3]
	s_lshl_b32 s36, s3, 6
	v_mov_b64_e32 v[2:3], s[24:25]
	v_cmp_lt_i64_e64 s[4:5], s[36:37], v[2:3]
	s_nop 1
	v_cndmask_b32_e64 v1, 0, 1, s[4:5]
	v_cmp_ne_u32_e64 s[4:5], 1, v1
	s_cbranch_vccz .LBB134_49
; %bb.1:
	s_and_b64 vcc, exec, s[4:5]
	v_mov_b64_e32 v[2:3], 0
	s_cbranch_vccnz .LBB134_50
; %bb.2:
	v_mov_b32_e32 v5, 0
	v_bfe_u32 v92, v0, 10, 10
	s_load_dword s3, s[0:1], 0x44
	v_lshlrev_b32_e32 v50, 3, v92
	v_mov_b32_e32 v51, v5
	v_and_b32_e32 v1, 0x3ff, v0
	v_lshl_add_u64 v[2:3], v[50:51], 0, s[36:37]
	v_add_u32_e32 v4, s33, v1
	v_lshl_add_u64 v[6:7], v[2:3], 0, 7
	s_add_u32 s38, s0, 64
	v_cmp_gt_i64_e64 s[6:7], s[26:27], v[4:5]
	v_lshlrev_b64 v[52:53], 3, v[4:5]
	v_mul_lo_u32 v4, s27, v6
	v_mul_lo_u32 v8, s26, v7
	v_mad_u64_u32 v[6:7], s[10:11], s26, v6, 0
	s_addc_u32 s39, s1, 0
	s_waitcnt lgkmcnt(0)
	s_lshl_b32 s3, s3, 6
	v_add3_u32 v7, v7, v8, v4
	v_lshlrev_b64 v[6:7], 3, v[6:7]
	s_mul_i32 s9, s27, s3
	s_mul_hi_u32 s10, s26, s3
	v_lshl_add_u64 v[54:55], s[28:29], 0, v[6:7]
	s_add_i32 s11, s10, s9
	s_mul_i32 s10, s26, s3
	v_lshl_add_u64 v[56:57], s[30:31], 0, v[6:7]
	v_lshl_add_u64 v[6:7], v[2:3], 0, 6
	s_lshl_b64 s[40:41], s[10:11], 3
	v_mul_lo_u32 v4, s27, v6
	v_mul_lo_u32 v8, s26, v7
	v_mad_u64_u32 v[6:7], s[10:11], s26, v6, 0
	v_add3_u32 v7, v7, v8, v4
	v_lshlrev_b64 v[6:7], 3, v[6:7]
	v_lshl_add_u64 v[58:59], s[28:29], 0, v[6:7]
	v_lshl_add_u64 v[60:61], s[30:31], 0, v[6:7]
	v_lshl_add_u64 v[6:7], v[2:3], 0, 5
	v_mul_lo_u32 v4, s27, v6
	v_mul_lo_u32 v8, s26, v7
	v_mad_u64_u32 v[6:7], s[10:11], s26, v6, 0
	v_add3_u32 v7, v7, v8, v4
	v_lshlrev_b64 v[6:7], 3, v[6:7]
	v_lshl_add_u64 v[62:63], s[28:29], 0, v[6:7]
	v_lshl_add_u64 v[64:65], s[30:31], 0, v[6:7]
	v_lshl_add_u64 v[6:7], v[2:3], 0, 4
	;; [unrolled: 8-line block ×4, first 2 shown]
	v_mul_lo_u32 v4, s27, v6
	v_mul_lo_u32 v8, s26, v7
	v_mad_u64_u32 v[6:7], s[10:11], s26, v6, 0
	v_add3_u32 v7, v7, v8, v4
	v_lshlrev_b64 v[6:7], 3, v[6:7]
	v_lshl_add_u64 v[74:75], s[28:29], 0, v[6:7]
	v_lshl_add_u64 v[76:77], s[30:31], 0, v[6:7]
	v_mov_b64_e32 v[6:7], s[26:27]
	v_mad_u64_u32 v[6:7], s[10:11], s26, v2, v[6:7]
	v_mul_lo_u32 v4, s26, v3
	v_mul_lo_u32 v8, s27, v2
	v_mad_u64_u32 v[2:3], s[10:11], s26, v2, 0
	v_add3_u32 v3, v3, v4, v8
	v_lshlrev_b64 v[2:3], 3, v[2:3]
	v_lshl_add_u64 v[82:83], s[28:29], 0, v[2:3]
	v_lshl_add_u64 v[84:85], s[30:31], 0, v[2:3]
	v_mbcnt_lo_u32_b32 v2, -1, 0
	v_add3_u32 v7, v8, v7, v4
	v_mbcnt_hi_u32_b32 v2, -1, v2
	v_lshlrev_b64 v[6:7], 3, v[6:7]
	s_add_u32 s42, s36, 63
	s_movk_i32 s44, 0xffc1
	s_movk_i32 s46, 0xffc2
	;; [unrolled: 1-line block ×8, first 2 shown]
	v_lshlrev_b32_e32 v2, 2, v2
	s_mov_b32 s8, 0
	v_lshl_add_u64 v[78:79], s[28:29], 0, v[6:7]
	v_lshl_add_u64 v[80:81], s[30:31], 0, v[6:7]
	s_addc_u32 s43, 0, 0
	v_mov_b64_e32 v[86:87], 0
	s_mov_b32 s45, -1
	s_mov_b32 s47, -1
	;; [unrolled: 1-line block ×8, first 2 shown]
	v_and_b32_e32 v93, 0x100, v2
	s_mov_b64 s[60:61], s[36:37]
.LBB134_3:                              ; =>This Inner Loop Header: Depth=1
	v_mov_b64_e32 v[2:3], s[24:25]
	v_cmp_ge_i64_e32 vcc, s[42:43], v[2:3]
	v_lshl_add_u64 v[88:89], v[50:51], 0, s[42:43]
	s_cbranch_vccz .LBB134_25
; %bb.4:                                ;   in Loop: Header=BB134_3 Depth=1
	s_load_dword s9, s[38:39], 0xc
	v_mov_b64_e32 v[90:91], 0
	s_waitcnt lgkmcnt(0)
	s_and_b32 s9, s9, 0xffff
	v_mad_u32_u24 v2, v92, s9, v1
	v_and_b32_e32 v4, 63, v2
	v_cmp_gt_u32_e32 vcc, 8, v4
	s_and_saveexec_b64 s[10:11], vcc
	s_cbranch_execz .LBB134_8
; %bb.5:                                ;   in Loop: Header=BB134_3 Depth=1
	v_lshl_add_u64 v[2:3], v[88:89], 0, v[4:5]
	v_lshl_add_u64 v[2:3], v[2:3], 0, s[44:45]
	v_cmp_gt_i64_e32 vcc, s[24:25], v[2:3]
	v_mov_b64_e32 v[90:91], 0
	s_and_saveexec_b64 s[12:13], vcc
	s_cbranch_execz .LBB134_7
; %bb.6:                                ;   in Loop: Header=BB134_3 Depth=1
	v_lshl_add_u64 v[2:3], v[2:3], 3, s[34:35]
	global_load_dwordx2 v[90:91], v[2:3], off
.LBB134_7:                              ;   in Loop: Header=BB134_3 Depth=1
	s_or_b64 exec, exec, s[12:13]
.LBB134_8:                              ;   in Loop: Header=BB134_3 Depth=1
	s_or_b64 exec, exec, s[10:11]
	s_mov_b32 s22, s8
	s_mov_b32 s23, s8
	v_lshl_add_u64 v[2:3], v[88:89], 0, s[44:45]
	s_mov_b32 s9, s8
	s_mov_b32 s10, s8
	;; [unrolled: 1-line block ×13, first 2 shown]
	v_mov_b64_e32 v[32:33], s[22:23]
	v_cmp_gt_i64_e32 vcc, s[24:25], v[2:3]
	v_mov_b64_e32 v[30:31], s[20:21]
	v_mov_b64_e32 v[28:29], s[18:19]
	;; [unrolled: 1-line block ×8, first 2 shown]
	s_and_b64 s[62:63], s[6:7], vcc
	v_mov_b64_e32 v[46:47], v[30:31]
	v_mov_b64_e32 v[44:45], v[28:29]
	v_mov_b64_e32 v[42:43], v[26:27]
	v_mov_b64_e32 v[40:41], v[24:25]
	v_mov_b64_e32 v[38:39], v[22:23]
	v_mov_b64_e32 v[36:37], v[20:21]
	v_mov_b64_e32 v[34:35], v[18:19]
	s_and_saveexec_b64 s[10:11], s[62:63]
	s_cbranch_execz .LBB134_10
; %bb.9:                                ;   in Loop: Header=BB134_3 Depth=1
	v_lshl_add_u64 v[2:3], v[82:83], 0, v[52:53]
	global_load_dwordx2 v[2:3], v[2:3], off
	v_lshl_add_u64 v[6:7], v[84:85], 0, v[52:53]
	global_load_dwordx2 v[18:19], v[6:7], off
	v_mov_b32_e32 v16, v5
	v_mov_b32_e32 v17, v5
	;; [unrolled: 1-line block ×13, first 2 shown]
	s_waitcnt vmcnt(1)
	v_mov_b64_e32 v[48:49], v[16:17]
	v_mov_b32_e32 v20, v5
	v_mov_b32_e32 v21, v5
	;; [unrolled: 1-line block ×14, first 2 shown]
	v_mov_b64_e32 v[46:47], v[14:15]
	v_mov_b64_e32 v[44:45], v[12:13]
	;; [unrolled: 1-line block ×7, first 2 shown]
.LBB134_10:                             ;   in Loop: Header=BB134_3 Depth=1
	s_or_b64 exec, exec, s[10:11]
	v_lshl_add_u64 v[2:3], v[88:89], 0, s[46:47]
	v_cmp_gt_i64_e32 vcc, s[24:25], v[2:3]
	s_and_b64 s[12:13], s[6:7], vcc
	s_and_saveexec_b64 s[10:11], s[12:13]
	s_cbranch_execz .LBB134_12
; %bb.11:                               ;   in Loop: Header=BB134_3 Depth=1
	v_lshl_add_u64 v[2:3], v[78:79], 0, v[52:53]
	global_load_dwordx2 v[36:37], v[2:3], off
	v_lshl_add_u64 v[2:3], v[80:81], 0, v[52:53]
	global_load_dwordx2 v[20:21], v[2:3], off
.LBB134_12:                             ;   in Loop: Header=BB134_3 Depth=1
	s_or_b64 exec, exec, s[10:11]
	v_lshl_add_u64 v[2:3], v[88:89], 0, s[48:49]
	v_cmp_gt_i64_e32 vcc, s[24:25], v[2:3]
	s_and_b64 s[12:13], s[6:7], vcc
	s_and_saveexec_b64 s[10:11], s[12:13]
	s_cbranch_execz .LBB134_14
; %bb.13:                               ;   in Loop: Header=BB134_3 Depth=1
	v_lshl_add_u64 v[2:3], v[74:75], 0, v[52:53]
	global_load_dwordx2 v[38:39], v[2:3], off
	v_lshl_add_u64 v[2:3], v[76:77], 0, v[52:53]
	global_load_dwordx2 v[22:23], v[2:3], off
.LBB134_14:                             ;   in Loop: Header=BB134_3 Depth=1
	;; [unrolled: 12-line block ×7, first 2 shown]
	s_or_b64 exec, exec, s[10:11]
	s_waitcnt vmcnt(0)
	ds_bpermute_b32 v2, v93, v90
	ds_bpermute_b32 v3, v93, v91
	ds_bpermute_b32 v6, v93, v90 offset:4
	ds_bpermute_b32 v7, v93, v91 offset:4
	v_mul_f64 v[8:9], v[18:19], v[34:35]
	ds_bpermute_b32 v10, v93, v90 offset:12
	s_waitcnt lgkmcnt(3)
	v_fma_f64 v[2:3], v[8:9], v[2:3], v[86:87]
	v_mul_f64 v[8:9], v[20:21], v[36:37]
	s_waitcnt lgkmcnt(1)
	v_fmac_f64_e32 v[2:3], v[8:9], v[6:7]
	ds_bpermute_b32 v6, v93, v90 offset:8
	ds_bpermute_b32 v7, v93, v91 offset:8
	;; [unrolled: 1-line block ×5, first 2 shown]
	v_mul_f64 v[8:9], v[22:23], v[38:39]
	s_waitcnt lgkmcnt(3)
	v_fmac_f64_e32 v[2:3], v[8:9], v[6:7]
	v_mul_f64 v[6:7], v[24:25], v[40:41]
	s_waitcnt lgkmcnt(2)
	v_fmac_f64_e32 v[2:3], v[6:7], v[10:11]
	v_mul_f64 v[6:7], v[26:27], v[42:43]
	ds_bpermute_b32 v8, v93, v90 offset:20
	ds_bpermute_b32 v9, v93, v91 offset:20
	s_waitcnt lgkmcnt(2)
	v_fmac_f64_e32 v[2:3], v[6:7], v[12:13]
	ds_bpermute_b32 v12, v93, v90 offset:24
	ds_bpermute_b32 v13, v93, v91 offset:24
	;; [unrolled: 1-line block ×4, first 2 shown]
	v_mul_f64 v[10:11], v[28:29], v[44:45]
	s_waitcnt lgkmcnt(4)
	v_fmac_f64_e32 v[2:3], v[10:11], v[8:9]
	v_mul_f64 v[8:9], v[30:31], v[46:47]
	s_waitcnt lgkmcnt(2)
	v_fmac_f64_e32 v[2:3], v[8:9], v[12:13]
	s_branch .LBB134_40
.LBB134_25:                             ;   in Loop: Header=BB134_3 Depth=1
                                        ; implicit-def: $vgpr2_vgpr3
                                        ; implicit-def: $vgpr18_vgpr19_vgpr20_vgpr21_vgpr22_vgpr23_vgpr24_vgpr25_vgpr26_vgpr27_vgpr28_vgpr29_vgpr30_vgpr31_vgpr32_vgpr33
                                        ; implicit-def: $vgpr34_vgpr35_vgpr36_vgpr37_vgpr38_vgpr39_vgpr40_vgpr41_vgpr42_vgpr43_vgpr44_vgpr45_vgpr46_vgpr47_vgpr48_vgpr49
                                        ; implicit-def: $vgpr6
	s_cbranch_execz .LBB134_40
; %bb.26:                               ;   in Loop: Header=BB134_3 Depth=1
	s_load_dword s9, s[38:39], 0x0
	v_mov_b64_e32 v[90:91], 0
	s_waitcnt lgkmcnt(0)
	s_cmp_lt_u32 s2, s9
	s_cselect_b32 s9, 12, 18
	s_add_u32 s10, s38, s9
	s_addc_u32 s11, s39, 0
	global_load_ushort v2, v5, s[10:11]
	s_waitcnt vmcnt(0)
	v_mad_u32_u24 v2, v92, v2, v1
	v_and_b32_e32 v4, 63, v2
	v_cmp_gt_u32_e32 vcc, 8, v4
	s_and_saveexec_b64 s[10:11], vcc
	s_cbranch_execz .LBB134_30
; %bb.27:                               ;   in Loop: Header=BB134_3 Depth=1
	v_lshl_add_u64 v[2:3], v[88:89], 0, v[4:5]
	v_lshl_add_u64 v[2:3], v[2:3], 0, s[44:45]
	v_cmp_gt_i64_e32 vcc, s[24:25], v[2:3]
	v_mov_b64_e32 v[90:91], 0
	s_and_saveexec_b64 s[12:13], vcc
	s_cbranch_execz .LBB134_29
; %bb.28:                               ;   in Loop: Header=BB134_3 Depth=1
	v_lshl_add_u64 v[2:3], v[2:3], 3, s[34:35]
	global_load_dwordx2 v[90:91], v[2:3], off
.LBB134_29:                             ;   in Loop: Header=BB134_3 Depth=1
	s_or_b64 exec, exec, s[12:13]
.LBB134_30:                             ;   in Loop: Header=BB134_3 Depth=1
	s_or_b64 exec, exec, s[10:11]
	s_mov_b32 s22, s8
	s_mov_b32 s23, s8
	;; [unrolled: 1-line block ×15, first 2 shown]
	v_mov_b64_e32 v[32:33], s[22:23]
	v_mov_b64_e32 v[30:31], s[20:21]
	v_mov_b64_e32 v[28:29], s[18:19]
	v_mov_b64_e32 v[26:27], s[16:17]
	v_mov_b64_e32 v[24:25], s[14:15]
	v_mov_b64_e32 v[22:23], s[12:13]
	v_mov_b64_e32 v[20:21], s[10:11]
	v_mov_b64_e32 v[18:19], s[8:9]
	v_mov_b64_e32 v[48:49], v[32:33]
	v_mov_b64_e32 v[46:47], v[30:31]
	v_mov_b64_e32 v[44:45], v[28:29]
	v_mov_b64_e32 v[42:43], v[26:27]
	v_mov_b64_e32 v[40:41], v[24:25]
	v_mov_b64_e32 v[38:39], v[22:23]
	v_mov_b64_e32 v[36:37], v[20:21]
	v_mov_b64_e32 v[34:35], v[18:19]
	s_and_saveexec_b64 s[10:11], s[6:7]
	s_cbranch_execnz .LBB134_42
; %bb.31:                               ;   in Loop: Header=BB134_3 Depth=1
	s_or_b64 exec, exec, s[10:11]
	s_and_saveexec_b64 s[10:11], s[6:7]
	s_cbranch_execnz .LBB134_43
.LBB134_32:                             ;   in Loop: Header=BB134_3 Depth=1
	s_or_b64 exec, exec, s[10:11]
	s_and_saveexec_b64 s[10:11], s[6:7]
	s_cbranch_execnz .LBB134_44
.LBB134_33:                             ;   in Loop: Header=BB134_3 Depth=1
	s_or_b64 exec, exec, s[10:11]
	s_and_saveexec_b64 s[10:11], s[6:7]
	s_cbranch_execnz .LBB134_45
.LBB134_34:                             ;   in Loop: Header=BB134_3 Depth=1
	s_or_b64 exec, exec, s[10:11]
	s_and_saveexec_b64 s[10:11], s[6:7]
	s_cbranch_execnz .LBB134_46
.LBB134_35:                             ;   in Loop: Header=BB134_3 Depth=1
	s_or_b64 exec, exec, s[10:11]
	s_and_saveexec_b64 s[10:11], s[6:7]
	s_cbranch_execnz .LBB134_47
.LBB134_36:                             ;   in Loop: Header=BB134_3 Depth=1
	s_or_b64 exec, exec, s[10:11]
	s_and_saveexec_b64 s[10:11], s[6:7]
	s_cbranch_execnz .LBB134_48
.LBB134_37:                             ;   in Loop: Header=BB134_3 Depth=1
	s_or_b64 exec, exec, s[10:11]
	s_and_saveexec_b64 s[10:11], s[6:7]
	s_cbranch_execz .LBB134_39
.LBB134_38:                             ;   in Loop: Header=BB134_3 Depth=1
	v_lshl_add_u64 v[2:3], v[54:55], 0, v[52:53]
	global_load_dwordx2 v[48:49], v[2:3], off
	v_lshl_add_u64 v[2:3], v[56:57], 0, v[52:53]
	global_load_dwordx2 v[32:33], v[2:3], off
.LBB134_39:                             ;   in Loop: Header=BB134_3 Depth=1
	s_or_b64 exec, exec, s[10:11]
	s_waitcnt vmcnt(0)
	ds_bpermute_b32 v2, v93, v90
	ds_bpermute_b32 v3, v93, v91
	ds_bpermute_b32 v6, v93, v90 offset:4
	ds_bpermute_b32 v7, v93, v91 offset:4
	v_mul_f64 v[8:9], v[18:19], v[34:35]
	ds_bpermute_b32 v10, v93, v90 offset:16
	s_waitcnt lgkmcnt(3)
	v_fmac_f64_e32 v[86:87], v[8:9], v[2:3]
	v_mul_f64 v[2:3], v[20:21], v[36:37]
	s_waitcnt lgkmcnt(1)
	v_fmac_f64_e32 v[86:87], v[2:3], v[6:7]
	ds_bpermute_b32 v2, v93, v90 offset:8
	ds_bpermute_b32 v3, v93, v91 offset:8
	;; [unrolled: 1-line block ×5, first 2 shown]
	v_mul_f64 v[6:7], v[22:23], v[38:39]
	s_waitcnt lgkmcnt(3)
	v_fmac_f64_e32 v[86:87], v[6:7], v[2:3]
	v_mul_f64 v[2:3], v[24:25], v[40:41]
	s_waitcnt lgkmcnt(1)
	v_fmac_f64_e32 v[86:87], v[2:3], v[8:9]
	;; [unrolled: 3-line block ×3, first 2 shown]
	ds_bpermute_b32 v2, v93, v90 offset:20
	ds_bpermute_b32 v3, v93, v91 offset:20
	;; [unrolled: 1-line block ×4, first 2 shown]
	v_mul_f64 v[8:9], v[28:29], v[44:45]
	ds_bpermute_b32 v6, v93, v90 offset:28
	s_waitcnt lgkmcnt(3)
	v_fmac_f64_e32 v[86:87], v[8:9], v[2:3]
	v_mul_f64 v[2:3], v[30:31], v[46:47]
	s_waitcnt lgkmcnt(1)
	v_fmac_f64_e32 v[86:87], v[2:3], v[10:11]
	ds_bpermute_b32 v7, v93, v91 offset:28
	v_mov_b64_e32 v[2:3], v[86:87]
.LBB134_40:                             ;   in Loop: Header=BB134_3 Depth=1
	v_mul_f64 v[8:9], v[48:49], v[32:33]
	s_add_u32 s60, s60, s3
	s_waitcnt lgkmcnt(0)
	v_fmac_f64_e32 v[2:3], v[8:9], v[6:7]
	s_addc_u32 s61, s61, 0
	v_mov_b64_e32 v[6:7], s[24:25]
	s_add_u32 s42, s42, s3
	v_cmp_lt_i64_e32 vcc, s[60:61], v[6:7]
	v_lshl_add_u64 v[54:55], v[54:55], 0, s[40:41]
	v_lshl_add_u64 v[56:57], v[56:57], 0, s[40:41]
	;; [unrolled: 1-line block ×14, first 2 shown]
	s_addc_u32 s43, s43, 0
	v_lshl_add_u64 v[82:83], v[82:83], 0, s[40:41]
	v_lshl_add_u64 v[84:85], v[84:85], 0, s[40:41]
	s_cbranch_vccz .LBB134_50
; %bb.41:                               ;   in Loop: Header=BB134_3 Depth=1
	v_mov_b64_e32 v[86:87], v[2:3]
	s_branch .LBB134_3
.LBB134_42:                             ;   in Loop: Header=BB134_3 Depth=1
	v_lshl_add_u64 v[2:3], v[82:83], 0, v[52:53]
	global_load_dwordx2 v[2:3], v[2:3], off
	v_lshl_add_u64 v[6:7], v[84:85], 0, v[52:53]
	global_load_dwordx2 v[18:19], v[6:7], off
	v_mov_b32_e32 v16, v5
	v_mov_b32_e32 v17, v5
	;; [unrolled: 1-line block ×13, first 2 shown]
	s_waitcnt vmcnt(1)
	v_mov_b64_e32 v[48:49], v[16:17]
	v_mov_b32_e32 v20, v5
	v_mov_b32_e32 v21, v5
	v_mov_b32_e32 v22, v5
	v_mov_b32_e32 v23, v5
	v_mov_b32_e32 v24, v5
	v_mov_b32_e32 v25, v5
	v_mov_b32_e32 v26, v5
	v_mov_b32_e32 v27, v5
	v_mov_b32_e32 v28, v5
	v_mov_b32_e32 v29, v5
	v_mov_b32_e32 v30, v5
	v_mov_b32_e32 v31, v5
	v_mov_b32_e32 v32, v5
	v_mov_b32_e32 v33, v5
	v_mov_b64_e32 v[46:47], v[14:15]
	v_mov_b64_e32 v[44:45], v[12:13]
	;; [unrolled: 1-line block ×7, first 2 shown]
	s_or_b64 exec, exec, s[10:11]
	s_and_saveexec_b64 s[10:11], s[6:7]
	s_cbranch_execz .LBB134_32
.LBB134_43:                             ;   in Loop: Header=BB134_3 Depth=1
	v_lshl_add_u64 v[2:3], v[78:79], 0, v[52:53]
	global_load_dwordx2 v[36:37], v[2:3], off
	v_lshl_add_u64 v[2:3], v[80:81], 0, v[52:53]
	global_load_dwordx2 v[20:21], v[2:3], off
	s_or_b64 exec, exec, s[10:11]
	s_and_saveexec_b64 s[10:11], s[6:7]
	s_cbranch_execz .LBB134_33
.LBB134_44:                             ;   in Loop: Header=BB134_3 Depth=1
	v_lshl_add_u64 v[2:3], v[74:75], 0, v[52:53]
	global_load_dwordx2 v[38:39], v[2:3], off
	v_lshl_add_u64 v[2:3], v[76:77], 0, v[52:53]
	global_load_dwordx2 v[22:23], v[2:3], off
	s_or_b64 exec, exec, s[10:11]
	s_and_saveexec_b64 s[10:11], s[6:7]
	s_cbranch_execz .LBB134_34
.LBB134_45:                             ;   in Loop: Header=BB134_3 Depth=1
	v_lshl_add_u64 v[2:3], v[70:71], 0, v[52:53]
	global_load_dwordx2 v[40:41], v[2:3], off
	v_lshl_add_u64 v[2:3], v[72:73], 0, v[52:53]
	global_load_dwordx2 v[24:25], v[2:3], off
	s_or_b64 exec, exec, s[10:11]
	s_and_saveexec_b64 s[10:11], s[6:7]
	s_cbranch_execz .LBB134_35
.LBB134_46:                             ;   in Loop: Header=BB134_3 Depth=1
	v_lshl_add_u64 v[2:3], v[66:67], 0, v[52:53]
	global_load_dwordx2 v[42:43], v[2:3], off
	v_lshl_add_u64 v[2:3], v[68:69], 0, v[52:53]
	global_load_dwordx2 v[26:27], v[2:3], off
	s_or_b64 exec, exec, s[10:11]
	s_and_saveexec_b64 s[10:11], s[6:7]
	s_cbranch_execz .LBB134_36
.LBB134_47:                             ;   in Loop: Header=BB134_3 Depth=1
	v_lshl_add_u64 v[2:3], v[62:63], 0, v[52:53]
	global_load_dwordx2 v[44:45], v[2:3], off
	v_lshl_add_u64 v[2:3], v[64:65], 0, v[52:53]
	global_load_dwordx2 v[28:29], v[2:3], off
	s_or_b64 exec, exec, s[10:11]
	s_and_saveexec_b64 s[10:11], s[6:7]
	s_cbranch_execz .LBB134_37
.LBB134_48:                             ;   in Loop: Header=BB134_3 Depth=1
	v_lshl_add_u64 v[2:3], v[58:59], 0, v[52:53]
	global_load_dwordx2 v[46:47], v[2:3], off
	v_lshl_add_u64 v[2:3], v[60:61], 0, v[52:53]
	global_load_dwordx2 v[30:31], v[2:3], off
	s_or_b64 exec, exec, s[10:11]
	s_and_saveexec_b64 s[10:11], s[6:7]
	s_cbranch_execnz .LBB134_38
	s_branch .LBB134_39
.LBB134_49:
                                        ; implicit-def: $vgpr2_vgpr3
	s_branch .LBB134_51
.LBB134_50:
	s_cbranch_execnz .LBB134_83
.LBB134_51:
	s_and_b64 vcc, exec, s[4:5]
	v_mov_b64_e32 v[2:3], 0
	s_cbranch_vccnz .LBB134_83
; %bb.52:
	v_and_b32_e32 v1, 0x3ff, v0
	v_add_u32_e32 v4, s33, v1
	v_mov_b32_e32 v5, 0
	v_bfe_u32 v120, v0, 10, 10
	v_lshlrev_b64 v[52:53], 3, v[4:5]
	v_lshlrev_b32_e32 v4, 6, v120
	v_lshl_add_u64 v[2:3], s[36:37], 3, v[4:5]
	v_lshl_add_u64 v[6:7], v[2:3], 0, 8
	v_mov_b64_e32 v[8:9], s[28:29]
	v_mov_b64_e32 v[18:19], s[30:31]
	v_mad_u64_u32 v[54:55], s[4:5], s26, v6, v[8:9]
	v_mul_lo_u32 v4, s26, v7
	v_mul_lo_u32 v7, s27, v6
	v_mad_u64_u32 v[64:65], s[4:5], s26, v6, v[18:19]
	v_lshlrev_b32_e32 v50, 3, v120
	v_mov_b32_e32 v51, v5
	v_add3_u32 v55, v7, v55, v4
	v_lshl_add_u64 v[10:11], v[2:3], 0, 16
	v_lshl_add_u64 v[12:13], v[2:3], 0, 24
	;; [unrolled: 1-line block ×4, first 2 shown]
	v_add3_u32 v65, v7, v65, v4
	v_lshl_add_u64 v[6:7], v[2:3], 0, 48
	v_lshl_add_u64 v[2:3], v[2:3], 0, 56
	v_mad_u64_u32 v[56:57], s[4:5], s26, v10, v[8:9]
	v_mul_lo_u32 v20, s27, v10
	v_mad_u64_u32 v[58:59], s[4:5], s26, v12, v[8:9]
	v_mad_u64_u32 v[60:61], s[4:5], s26, v14, v[8:9]
	;; [unrolled: 1-line block ×6, first 2 shown]
	v_mul_lo_u32 v3, s26, v3
	v_mul_lo_u32 v10, s27, v2
	v_lshl_add_u64 v[8:9], v[50:51], 0, s[36:37]
	v_mad_u64_u32 v[80:81], s[4:5], s26, v2, v[18:19]
	v_mul_lo_u32 v4, s26, v7
	v_mul_lo_u32 v7, s27, v6
	v_add3_u32 v73, v10, v73, v3
	v_mad_u64_u32 v[78:79], s[4:5], s26, v6, v[18:19]
	v_add3_u32 v81, v10, v81, v3
	v_lshl_add_u64 v[2:3], v[8:9], 0, 7
	v_add3_u32 v69, v7, v69, v4
	v_add3_u32 v79, v7, v79, v4
	v_mul_lo_u32 v4, s27, v2
	v_mul_lo_u32 v6, s26, v3
	v_mad_u64_u32 v[2:3], s[4:5], s26, v2, 0
	v_add3_u32 v3, v3, v6, v4
	v_lshl_add_u64 v[6:7], v[8:9], 0, 6
	v_mul_lo_u32 v11, s26, v11
	v_mul_lo_u32 v4, s27, v6
	;; [unrolled: 1-line block ×3, first 2 shown]
	v_mad_u64_u32 v[6:7], s[4:5], s26, v6, 0
	v_add3_u32 v57, v20, v57, v11
	v_add3_u32 v67, v20, v67, v11
	v_add3_u32 v7, v7, v10, v4
	v_lshl_add_u64 v[10:11], v[8:9], 0, 5
	v_mul_lo_u32 v13, s26, v13
	v_mul_lo_u32 v21, s27, v12
	v_mad_u64_u32 v[70:71], s[4:5], s26, v12, v[18:19]
	v_mul_lo_u32 v4, s27, v10
	v_mul_lo_u32 v12, s26, v11
	v_mad_u64_u32 v[10:11], s[4:5], s26, v10, 0
	v_add3_u32 v59, v21, v59, v13
	v_add3_u32 v71, v21, v71, v13
	v_add3_u32 v11, v11, v12, v4
	v_lshl_add_u64 v[12:13], v[8:9], 0, 4
	v_mul_lo_u32 v15, s26, v15
	v_mul_lo_u32 v22, s27, v14
	v_mad_u64_u32 v[74:75], s[4:5], s26, v14, v[18:19]
	v_mul_lo_u32 v4, s27, v12
	v_mul_lo_u32 v14, s26, v13
	;; [unrolled: 10-line block ×3, first 2 shown]
	v_mad_u64_u32 v[14:15], s[4:5], s26, v14, 0
	v_lshlrev_b64 v[2:3], 3, v[2:3]
	v_add3_u32 v63, v23, v63, v17
	v_add3_u32 v77, v23, v77, v17
	;; [unrolled: 1-line block ×3, first 2 shown]
	v_lshl_add_u64 v[16:17], v[8:9], 0, 2
	v_lshl_add_u64 v[86:87], s[28:29], 0, v[2:3]
	;; [unrolled: 1-line block ×3, first 2 shown]
	v_lshlrev_b64 v[2:3], 3, v[6:7]
	v_mul_lo_u32 v4, s27, v16
	v_mul_lo_u32 v18, s26, v17
	v_mad_u64_u32 v[16:17], s[4:5], s26, v16, 0
	s_load_dword s3, s[0:1], 0x44
	v_lshl_add_u64 v[90:91], s[28:29], 0, v[2:3]
	v_lshl_add_u64 v[92:93], s[30:31], 0, v[2:3]
	v_lshlrev_b64 v[2:3], 3, v[10:11]
	v_add3_u32 v17, v17, v18, v4
	v_mov_b64_e32 v[18:19], s[26:27]
	v_lshl_add_u64 v[94:95], s[28:29], 0, v[2:3]
	v_lshl_add_u64 v[96:97], s[30:31], 0, v[2:3]
	v_lshlrev_b64 v[2:3], 3, v[12:13]
	v_mad_u64_u32 v[18:19], s[4:5], s26, v8, v[18:19]
	v_mul_lo_u32 v4, s27, v8
	v_mul_lo_u32 v20, s26, v9
	v_lshl_add_u64 v[98:99], s[28:29], 0, v[2:3]
	v_lshl_add_u64 v[100:101], s[30:31], 0, v[2:3]
	v_lshlrev_b64 v[2:3], 3, v[14:15]
	v_add3_u32 v19, v4, v19, v20
	v_lshl_add_u64 v[102:103], s[28:29], 0, v[2:3]
	v_lshl_add_u64 v[104:105], s[30:31], 0, v[2:3]
	v_lshlrev_b64 v[2:3], 3, v[16:17]
	v_mad_u64_u32 v[8:9], s[4:5], s26, v8, 0
	s_add_u32 s20, s0, 64
	v_lshl_add_u64 v[106:107], s[28:29], 0, v[2:3]
	v_lshl_add_u64 v[108:109], s[30:31], 0, v[2:3]
	v_lshlrev_b64 v[2:3], 3, v[18:19]
	v_add3_u32 v9, v9, v20, v4
	s_addc_u32 s21, s1, 0
	s_waitcnt lgkmcnt(0)
	s_lshl_b32 s3, s3, 6
	v_lshl_add_u64 v[110:111], s[28:29], 0, v[2:3]
	v_lshl_add_u64 v[112:113], s[30:31], 0, v[2:3]
	v_mbcnt_lo_u32_b32 v2, -1, 0
	s_add_u32 s22, s36, 63
	s_mul_i32 s5, s27, s3
	s_mul_hi_u32 s6, s26, s3
	v_lshlrev_b64 v[8:9], 3, v[8:9]
	v_mbcnt_hi_u32_b32 v2, -1, v2
	s_addc_u32 s23, 0, 0
	s_add_i32 s7, s6, s5
	s_mul_i32 s6, s26, s3
	v_lshl_add_u64 v[82:83], s[28:29], 0, v[8:9]
	v_lshl_add_u64 v[84:85], s[30:31], 0, v[8:9]
	s_movk_i32 s28, 0xffc1
	s_movk_i32 s30, 0xffc2
	;; [unrolled: 1-line block ×8, first 2 shown]
	v_lshlrev_b32_e32 v2, 2, v2
	s_mov_b32 s4, 0
	s_lshl_b64 s[38:39], s[6:7], 3
	s_mov_b32 s29, -1
	s_mov_b32 s31, -1
	;; [unrolled: 1-line block ×8, first 2 shown]
	v_and_b32_e32 v121, 0x100, v2
	v_mov_b64_e32 v[114:115], 0
.LBB134_53:                             ; =>This Inner Loop Header: Depth=1
	v_mov_b64_e32 v[2:3], s[24:25]
	v_cmp_ge_i64_e32 vcc, s[22:23], v[2:3]
	v_lshl_add_u64 v[116:117], v[50:51], 0, s[22:23]
	s_cbranch_vccz .LBB134_75
; %bb.54:                               ;   in Loop: Header=BB134_53 Depth=1
	s_load_dword s5, s[20:21], 0xc
	v_mov_b64_e32 v[118:119], 0
	s_waitcnt lgkmcnt(0)
	s_and_b32 s5, s5, 0xffff
	v_mad_u32_u24 v2, v120, s5, v1
	v_and_b32_e32 v4, 63, v2
	v_cmp_gt_u32_e32 vcc, 8, v4
	s_and_saveexec_b64 s[6:7], vcc
	s_cbranch_execz .LBB134_58
; %bb.55:                               ;   in Loop: Header=BB134_53 Depth=1
	v_lshl_add_u64 v[2:3], v[116:117], 0, v[4:5]
	v_lshl_add_u64 v[2:3], v[2:3], 0, s[28:29]
	v_cmp_gt_i64_e32 vcc, s[24:25], v[2:3]
	v_mov_b64_e32 v[118:119], 0
	s_and_saveexec_b64 s[8:9], vcc
	s_cbranch_execz .LBB134_57
; %bb.56:                               ;   in Loop: Header=BB134_53 Depth=1
	v_lshl_add_u64 v[2:3], v[2:3], 3, s[34:35]
	global_load_dwordx2 v[118:119], v[2:3], off
.LBB134_57:                             ;   in Loop: Header=BB134_53 Depth=1
	s_or_b64 exec, exec, s[8:9]
.LBB134_58:                             ;   in Loop: Header=BB134_53 Depth=1
	s_or_b64 exec, exec, s[6:7]
	s_mov_b32 s18, s4
	s_mov_b32 s19, s4
	;; [unrolled: 1-line block ×15, first 2 shown]
	v_mov_b64_e32 v[32:33], s[18:19]
	v_lshl_add_u64 v[2:3], v[116:117], 0, s[28:29]
	v_mov_b64_e32 v[30:31], s[16:17]
	v_mov_b64_e32 v[28:29], s[14:15]
	;; [unrolled: 1-line block ×8, first 2 shown]
	v_cmp_gt_i64_e32 vcc, s[24:25], v[2:3]
	v_mov_b64_e32 v[46:47], v[30:31]
	v_mov_b64_e32 v[44:45], v[28:29]
	;; [unrolled: 1-line block ×7, first 2 shown]
	s_and_saveexec_b64 s[6:7], vcc
	s_cbranch_execz .LBB134_60
; %bb.59:                               ;   in Loop: Header=BB134_53 Depth=1
	v_lshl_add_u64 v[2:3], v[82:83], 0, v[52:53]
	global_load_dwordx2 v[2:3], v[2:3], off
	v_lshl_add_u64 v[6:7], v[84:85], 0, v[52:53]
	global_load_dwordx2 v[18:19], v[6:7], off
	v_mov_b32_e32 v16, v5
	v_mov_b32_e32 v17, v5
	;; [unrolled: 1-line block ×13, first 2 shown]
	s_waitcnt vmcnt(1)
	v_mov_b64_e32 v[48:49], v[16:17]
	v_mov_b32_e32 v20, v5
	v_mov_b32_e32 v21, v5
	;; [unrolled: 1-line block ×14, first 2 shown]
	v_mov_b64_e32 v[46:47], v[14:15]
	v_mov_b64_e32 v[44:45], v[12:13]
	;; [unrolled: 1-line block ×7, first 2 shown]
.LBB134_60:                             ;   in Loop: Header=BB134_53 Depth=1
	s_or_b64 exec, exec, s[6:7]
	v_lshl_add_u64 v[2:3], v[116:117], 0, s[30:31]
	v_cmp_gt_i64_e32 vcc, s[24:25], v[2:3]
	s_and_saveexec_b64 s[6:7], vcc
	s_cbranch_execz .LBB134_62
; %bb.61:                               ;   in Loop: Header=BB134_53 Depth=1
	v_lshl_add_u64 v[2:3], v[110:111], 0, v[52:53]
	global_load_dwordx2 v[36:37], v[2:3], off
	v_lshl_add_u64 v[2:3], v[112:113], 0, v[52:53]
	global_load_dwordx2 v[20:21], v[2:3], off
.LBB134_62:                             ;   in Loop: Header=BB134_53 Depth=1
	s_or_b64 exec, exec, s[6:7]
	v_lshl_add_u64 v[2:3], v[116:117], 0, s[40:41]
	v_cmp_gt_i64_e32 vcc, s[24:25], v[2:3]
	s_and_saveexec_b64 s[6:7], vcc
	s_cbranch_execz .LBB134_64
; %bb.63:                               ;   in Loop: Header=BB134_53 Depth=1
	v_lshl_add_u64 v[2:3], v[106:107], 0, v[52:53]
	global_load_dwordx2 v[38:39], v[2:3], off
	v_lshl_add_u64 v[2:3], v[108:109], 0, v[52:53]
	global_load_dwordx2 v[22:23], v[2:3], off
.LBB134_64:                             ;   in Loop: Header=BB134_53 Depth=1
	;; [unrolled: 11-line block ×7, first 2 shown]
	s_or_b64 exec, exec, s[6:7]
	s_waitcnt vmcnt(0)
	ds_bpermute_b32 v2, v121, v118
	ds_bpermute_b32 v3, v121, v119
	ds_bpermute_b32 v6, v121, v118 offset:4
	ds_bpermute_b32 v7, v121, v119 offset:4
	v_mul_f64 v[8:9], v[18:19], v[34:35]
	ds_bpermute_b32 v10, v121, v118 offset:12
	s_waitcnt lgkmcnt(3)
	v_fma_f64 v[2:3], v[8:9], v[2:3], v[114:115]
	v_mul_f64 v[8:9], v[20:21], v[36:37]
	s_waitcnt lgkmcnt(1)
	v_fmac_f64_e32 v[2:3], v[8:9], v[6:7]
	ds_bpermute_b32 v6, v121, v118 offset:8
	ds_bpermute_b32 v7, v121, v119 offset:8
	;; [unrolled: 1-line block ×5, first 2 shown]
	v_mul_f64 v[8:9], v[22:23], v[38:39]
	s_waitcnt lgkmcnt(3)
	v_fmac_f64_e32 v[2:3], v[8:9], v[6:7]
	v_mul_f64 v[6:7], v[24:25], v[40:41]
	s_waitcnt lgkmcnt(2)
	v_fmac_f64_e32 v[2:3], v[6:7], v[10:11]
	;; [unrolled: 3-line block ×3, first 2 shown]
	ds_bpermute_b32 v6, v121, v118 offset:20
	ds_bpermute_b32 v7, v121, v119 offset:20
	;; [unrolled: 1-line block ×6, first 2 shown]
	v_mul_f64 v[8:9], v[28:29], v[44:45]
	s_waitcnt lgkmcnt(4)
	v_fmac_f64_e32 v[2:3], v[8:9], v[6:7]
	v_mul_f64 v[6:7], v[30:31], v[46:47]
	s_waitcnt lgkmcnt(2)
	v_fmac_f64_e32 v[2:3], v[6:7], v[10:11]
	;; [unrolled: 3-line block ×3, first 2 shown]
	s_branch .LBB134_81
.LBB134_75:                             ;   in Loop: Header=BB134_53 Depth=1
                                        ; implicit-def: $vgpr2_vgpr3
	s_cbranch_execz .LBB134_81
; %bb.76:                               ;   in Loop: Header=BB134_53 Depth=1
	s_load_dword s5, s[20:21], 0x0
	s_waitcnt lgkmcnt(0)
	s_cmp_lt_u32 s2, s5
	s_cselect_b32 s5, 12, 18
	s_add_u32 s6, s20, s5
	s_addc_u32 s7, s21, 0
	global_load_ushort v2, v5, s[6:7]
	s_waitcnt vmcnt(0)
	v_mad_u32_u24 v2, v120, v2, v1
	v_and_b32_e32 v4, 63, v2
	v_cmp_gt_u32_e32 vcc, 8, v4
	v_mov_b64_e32 v[2:3], 0
	s_and_saveexec_b64 s[6:7], vcc
	s_cbranch_execz .LBB134_80
; %bb.77:                               ;   in Loop: Header=BB134_53 Depth=1
	v_lshl_add_u64 v[2:3], v[116:117], 0, v[4:5]
	v_lshl_add_u64 v[6:7], v[2:3], 0, s[28:29]
	v_cmp_gt_i64_e32 vcc, s[24:25], v[6:7]
	v_mov_b64_e32 v[2:3], 0
	s_and_saveexec_b64 s[8:9], vcc
	s_cbranch_execz .LBB134_79
; %bb.78:                               ;   in Loop: Header=BB134_53 Depth=1
	v_lshl_add_u64 v[2:3], v[6:7], 3, s[34:35]
	global_load_dwordx2 v[2:3], v[2:3], off
.LBB134_79:                             ;   in Loop: Header=BB134_53 Depth=1
	s_or_b64 exec, exec, s[8:9]
.LBB134_80:                             ;   in Loop: Header=BB134_53 Depth=1
	s_or_b64 exec, exec, s[6:7]
	v_lshl_add_u64 v[6:7], v[82:83], 0, v[52:53]
	v_lshl_add_u64 v[8:9], v[84:85], 0, v[52:53]
	global_load_dwordx2 v[6:7], v[6:7], off
	v_lshl_add_u64 v[10:11], v[54:55], 0, v[52:53]
	global_load_dwordx2 v[8:9], v[8:9], off
	;; [unrolled: 2-line block ×10, first 2 shown]
	v_lshl_add_u64 v[28:29], v[76:77], 0, v[52:53]
	v_lshl_add_u64 v[30:31], v[68:69], 0, v[52:53]
	v_lshl_add_u64 v[32:33], v[78:79], 0, v[52:53]
	global_load_dwordx2 v[34:35], v[26:27], off
	global_load_dwordx2 v[36:37], v[28:29], off
	;; [unrolled: 1-line block ×4, first 2 shown]
	v_lshl_add_u64 v[26:27], v[72:73], 0, v[52:53]
	v_lshl_add_u64 v[28:29], v[80:81], 0, v[52:53]
	global_load_dwordx2 v[30:31], v[26:27], off
	global_load_dwordx2 v[32:33], v[28:29], off
	s_waitcnt vmcnt(16)
	ds_bpermute_b32 v26, v121, v2
	ds_bpermute_b32 v27, v121, v3
	ds_bpermute_b32 v28, v121, v2 offset:4
	ds_bpermute_b32 v29, v121, v3 offset:4
	;; [unrolled: 1-line block ×14, first 2 shown]
	s_waitcnt vmcnt(14)
	v_mul_f64 v[6:7], v[6:7], v[8:9]
	s_waitcnt lgkmcnt(14)
	v_fmac_f64_e32 v[114:115], v[6:7], v[26:27]
	s_waitcnt vmcnt(12)
	v_mul_f64 v[8:9], v[10:11], v[12:13]
	s_waitcnt lgkmcnt(12)
	v_fmac_f64_e32 v[114:115], v[8:9], v[28:29]
	s_waitcnt vmcnt(10)
	v_mul_f64 v[10:11], v[14:15], v[16:17]
	s_waitcnt lgkmcnt(10)
	v_fmac_f64_e32 v[114:115], v[10:11], v[42:43]
	s_waitcnt vmcnt(8)
	v_mul_f64 v[12:13], v[18:19], v[20:21]
	s_waitcnt lgkmcnt(8)
	v_fmac_f64_e32 v[114:115], v[12:13], v[44:45]
	s_waitcnt vmcnt(6)
	v_mul_f64 v[14:15], v[22:23], v[24:25]
	s_waitcnt lgkmcnt(6)
	v_fmac_f64_e32 v[114:115], v[14:15], v[46:47]
	s_waitcnt vmcnt(4)
	v_mul_f64 v[16:17], v[34:35], v[36:37]
	s_waitcnt lgkmcnt(4)
	v_fmac_f64_e32 v[114:115], v[16:17], v[48:49]
	s_waitcnt vmcnt(2)
	v_mul_f64 v[18:19], v[38:39], v[40:41]
	s_waitcnt lgkmcnt(2)
	v_fmac_f64_e32 v[114:115], v[18:19], v[116:117]
	s_waitcnt vmcnt(0)
	v_mul_f64 v[6:7], v[30:31], v[32:33]
	s_waitcnt lgkmcnt(0)
	v_fmac_f64_e32 v[114:115], v[6:7], v[2:3]
	v_mov_b64_e32 v[2:3], v[114:115]
.LBB134_81:                             ;   in Loop: Header=BB134_53 Depth=1
	s_add_u32 s36, s36, s3
	s_addc_u32 s37, s37, 0
	v_mov_b64_e32 v[6:7], s[24:25]
	s_add_u32 s22, s22, s3
	v_cmp_ge_i64_e32 vcc, s[36:37], v[6:7]
	s_addc_u32 s23, s23, 0
	v_lshl_add_u64 v[54:55], v[54:55], 0, s[38:39]
	v_lshl_add_u64 v[56:57], v[56:57], 0, s[38:39]
	;; [unrolled: 1-line block ×30, first 2 shown]
	s_cbranch_vccnz .LBB134_83
; %bb.82:                               ;   in Loop: Header=BB134_53 Depth=1
	v_mov_b64_e32 v[114:115], v[2:3]
	s_branch .LBB134_53
.LBB134_83:
	v_and_b32_e32 v1, 0x3ff, v0
	v_bfe_u32 v0, v0, 10, 10
	v_mad_u32_u24 v4, v0, 33, v1
	v_lshl_add_u32 v5, v4, 3, 0
	ds_write_b64 v5, v[2:3]
	v_mov_b32_e32 v2, 0
	v_mov_b32_e32 v3, v2
	ds_write_b64 v5, v[2:3] offset:2112
	v_sub_u32_e32 v3, v4, v0
	s_movk_i32 s4, 0x800
	s_mov_b32 s3, 0
	v_cmp_gt_u32_e32 vcc, s4, v3
	s_waitcnt lgkmcnt(0)
	s_barrier
	s_and_saveexec_b64 s[4:5], vcc
	s_cbranch_execz .LBB134_90
; %bb.84:
	v_mbcnt_lo_u32_b32 v4, -1, 0
	v_mbcnt_hi_u32_b32 v4, -1, v4
	v_lshrrev_b32_e32 v0, 6, v3
	v_and_b32_e32 v3, 63, v3
	v_and_b32_e32 v5, 64, v4
	s_load_dwordx2 s[12:13], s[0:1], 0x30
	v_cmp_gt_u32_e32 vcc, 8, v3
	v_add_u32_e32 v5, 64, v5
	v_cmp_ne_u32_e64 s[0:1], 0, v1
	v_mul_u32_u24_e32 v1, 0x108, v3
	v_xor_b32_e32 v3, 4, v4
	v_cmp_lt_i32_e64 s[4:5], v3, v5
	s_lshl_b64 s[6:7], s[2:3], 5
	s_waitcnt lgkmcnt(0)
	s_cmp_eq_u64 s[12:13], 0
	v_cndmask_b32_e64 v3, v4, v3, s[4:5]
	v_lshlrev_b32_e32 v6, 2, v3
	v_xor_b32_e32 v3, 2, v4
	v_cmp_lt_i32_e64 s[4:5], v3, v5
	s_cselect_b64 s[10:11], -1, 0
	s_lshl_b64 s[2:3], s[2:3], 8
	v_cndmask_b32_e64 v3, v4, v3, s[4:5]
	v_lshlrev_b32_e32 v7, 2, v3
	v_xor_b32_e32 v3, 1, v4
	v_cmp_lt_i32_e64 s[4:5], v3, v5
	s_add_u32 s2, s12, s2
	v_mov_b32_e32 v5, v2
	v_cndmask_b32_e64 v3, v4, v3, s[4:5]
	v_lshlrev_b32_e32 v4, 3, v0
	s_addc_u32 s3, s13, s3
	s_mov_b64 s[8:9], 0
	v_lshlrev_b32_e32 v8, 2, v3
	v_add3_u32 v9, v1, v4, 0
	v_mov_b32_e32 v1, v2
	v_lshl_add_u64 v[2:3], s[2:3], 0, v[4:5]
                                        ; implicit-def: $vgpr4_vgpr5
	s_branch .LBB134_86
.LBB134_85:                             ;   in Loop: Header=BB134_86 Depth=1
	s_or_b64 exec, exec, s[2:3]
	v_lshl_add_u64 v[0:1], v[0:1], 0, 4
	v_add_u32_e32 v10, -4, v0
	v_cmp_lt_u32_e64 s[2:3], 27, v10
	v_add_u32_e32 v9, 32, v9
	s_or_b64 s[8:9], s[2:3], s[8:9]
	v_lshl_add_u64 v[2:3], v[2:3], 0, 32
	s_andn2_b64 exec, exec, s[8:9]
	s_cbranch_execz .LBB134_90
.LBB134_86:                             ; =>This Inner Loop Header: Depth=1
	s_and_saveexec_b64 s[2:3], vcc
	s_cbranch_execz .LBB134_88
; %bb.87:                               ;   in Loop: Header=BB134_86 Depth=1
	ds_read_b64 v[4:5], v9
.LBB134_88:                             ;   in Loop: Header=BB134_86 Depth=1
	s_or_b64 exec, exec, s[2:3]
	s_waitcnt lgkmcnt(0)
	ds_bpermute_b32 v10, v6, v4
	ds_bpermute_b32 v11, v6, v5
	v_lshl_add_u64 v[12:13], s[6:7], 0, v[0:1]
	v_cmp_le_i64_e64 s[2:3], s[26:27], v[12:13]
	s_or_b64 s[2:3], s[0:1], s[2:3]
	s_or_b64 s[2:3], s[10:11], s[2:3]
	s_waitcnt lgkmcnt(0)
	v_add_f64 v[4:5], v[4:5], v[10:11]
	ds_bpermute_b32 v10, v7, v4
	ds_bpermute_b32 v11, v7, v5
	s_xor_b64 s[4:5], s[2:3], -1
	s_waitcnt lgkmcnt(0)
	v_add_f64 v[4:5], v[4:5], v[10:11]
	ds_bpermute_b32 v10, v8, v4
	ds_bpermute_b32 v11, v8, v5
	s_waitcnt lgkmcnt(0)
	v_add_f64 v[4:5], v[4:5], v[10:11]
	s_and_saveexec_b64 s[2:3], s[4:5]
	s_cbranch_execz .LBB134_85
; %bb.89:                               ;   in Loop: Header=BB134_86 Depth=1
	global_store_dwordx2 v[2:3], v[4:5], off
	s_branch .LBB134_85
.LBB134_90:
	s_endpgm
	.section	.rodata,"a",@progbits
	.p2align	6, 0x0
	.amdhsa_kernel _ZN2at6native12_GLOBAL__N_135GammaBetaBackwardCUDAKernelTemplateIddLj32ELj8ELj64ELb0ELb0ELb1EEEvllPKT_S5_PKT0_S8_PS3_S9_
		.amdhsa_group_segment_fixed_size 0
		.amdhsa_private_segment_fixed_size 0
		.amdhsa_kernarg_size 320
		.amdhsa_user_sgpr_count 2
		.amdhsa_user_sgpr_dispatch_ptr 0
		.amdhsa_user_sgpr_queue_ptr 0
		.amdhsa_user_sgpr_kernarg_segment_ptr 1
		.amdhsa_user_sgpr_dispatch_id 0
		.amdhsa_user_sgpr_kernarg_preload_length 0
		.amdhsa_user_sgpr_kernarg_preload_offset 0
		.amdhsa_user_sgpr_private_segment_size 0
		.amdhsa_uses_dynamic_stack 0
		.amdhsa_enable_private_segment 0
		.amdhsa_system_sgpr_workgroup_id_x 1
		.amdhsa_system_sgpr_workgroup_id_y 1
		.amdhsa_system_sgpr_workgroup_id_z 0
		.amdhsa_system_sgpr_workgroup_info 0
		.amdhsa_system_vgpr_workitem_id 1
		.amdhsa_next_free_vgpr 122
		.amdhsa_next_free_sgpr 64
		.amdhsa_accum_offset 124
		.amdhsa_reserve_vcc 1
		.amdhsa_float_round_mode_32 0
		.amdhsa_float_round_mode_16_64 0
		.amdhsa_float_denorm_mode_32 3
		.amdhsa_float_denorm_mode_16_64 3
		.amdhsa_dx10_clamp 1
		.amdhsa_ieee_mode 1
		.amdhsa_fp16_overflow 0
		.amdhsa_tg_split 0
		.amdhsa_exception_fp_ieee_invalid_op 0
		.amdhsa_exception_fp_denorm_src 0
		.amdhsa_exception_fp_ieee_div_zero 0
		.amdhsa_exception_fp_ieee_overflow 0
		.amdhsa_exception_fp_ieee_underflow 0
		.amdhsa_exception_fp_ieee_inexact 0
		.amdhsa_exception_int_div_zero 0
	.end_amdhsa_kernel
	.section	.text._ZN2at6native12_GLOBAL__N_135GammaBetaBackwardCUDAKernelTemplateIddLj32ELj8ELj64ELb0ELb0ELb1EEEvllPKT_S5_PKT0_S8_PS3_S9_,"axG",@progbits,_ZN2at6native12_GLOBAL__N_135GammaBetaBackwardCUDAKernelTemplateIddLj32ELj8ELj64ELb0ELb0ELb1EEEvllPKT_S5_PKT0_S8_PS3_S9_,comdat
.Lfunc_end134:
	.size	_ZN2at6native12_GLOBAL__N_135GammaBetaBackwardCUDAKernelTemplateIddLj32ELj8ELj64ELb0ELb0ELb1EEEvllPKT_S5_PKT0_S8_PS3_S9_, .Lfunc_end134-_ZN2at6native12_GLOBAL__N_135GammaBetaBackwardCUDAKernelTemplateIddLj32ELj8ELj64ELb0ELb0ELb1EEEvllPKT_S5_PKT0_S8_PS3_S9_
                                        ; -- End function
	.section	.AMDGPU.csdata,"",@progbits
; Kernel info:
; codeLenInByte = 6848
; NumSgprs: 70
; NumVgprs: 122
; NumAgprs: 0
; TotalNumVgprs: 122
; ScratchSize: 0
; MemoryBound: 1
; FloatMode: 240
; IeeeMode: 1
; LDSByteSize: 0 bytes/workgroup (compile time only)
; SGPRBlocks: 8
; VGPRBlocks: 15
; NumSGPRsForWavesPerEU: 70
; NumVGPRsForWavesPerEU: 122
; AccumOffset: 124
; Occupancy: 4
; WaveLimiterHint : 0
; COMPUTE_PGM_RSRC2:SCRATCH_EN: 0
; COMPUTE_PGM_RSRC2:USER_SGPR: 2
; COMPUTE_PGM_RSRC2:TRAP_HANDLER: 0
; COMPUTE_PGM_RSRC2:TGID_X_EN: 1
; COMPUTE_PGM_RSRC2:TGID_Y_EN: 1
; COMPUTE_PGM_RSRC2:TGID_Z_EN: 0
; COMPUTE_PGM_RSRC2:TIDIG_COMP_CNT: 1
; COMPUTE_PGM_RSRC3_GFX90A:ACCUM_OFFSET: 30
; COMPUTE_PGM_RSRC3_GFX90A:TG_SPLIT: 0
	.section	.text._ZN2at6native12_GLOBAL__N_135GammaBetaBackwardCUDAKernelTemplateIddLj32ELj16ELj128ELb0ELb1ELb1EEEvllPKT_S5_PKT0_S8_PS3_S9_,"axG",@progbits,_ZN2at6native12_GLOBAL__N_135GammaBetaBackwardCUDAKernelTemplateIddLj32ELj16ELj128ELb0ELb1ELb1EEEvllPKT_S5_PKT0_S8_PS3_S9_,comdat
	.globl	_ZN2at6native12_GLOBAL__N_135GammaBetaBackwardCUDAKernelTemplateIddLj32ELj16ELj128ELb0ELb1ELb1EEEvllPKT_S5_PKT0_S8_PS3_S9_ ; -- Begin function _ZN2at6native12_GLOBAL__N_135GammaBetaBackwardCUDAKernelTemplateIddLj32ELj16ELj128ELb0ELb1ELb1EEEvllPKT_S5_PKT0_S8_PS3_S9_
	.p2align	8
	.type	_ZN2at6native12_GLOBAL__N_135GammaBetaBackwardCUDAKernelTemplateIddLj32ELj16ELj128ELb0ELb1ELb1EEEvllPKT_S5_PKT0_S8_PS3_S9_,@function
_ZN2at6native12_GLOBAL__N_135GammaBetaBackwardCUDAKernelTemplateIddLj32ELj16ELj128ELb0ELb1ELb1EEEvllPKT_S5_PKT0_S8_PS3_S9_: ; @_ZN2at6native12_GLOBAL__N_135GammaBetaBackwardCUDAKernelTemplateIddLj32ELj16ELj128ELb0ELb1ELb1EEEvllPKT_S5_PKT0_S8_PS3_S9_
; %bb.0:
	s_load_dwordx4 s[4:7], s[0:1], 0x0
	s_lshl_b32 s14, s3, 7
	s_mov_b32 s15, 0
	v_bfe_u32 v16, v0, 10, 10
	s_waitcnt lgkmcnt(0)
	v_mov_b64_e32 v[2:3], s[4:5]
	v_cmp_lt_i64_e32 vcc, s[14:15], v[2:3]
	s_cbranch_vccnz .LBB135_2
; %bb.1:
	s_mov_b64 s[8:9], 0
	s_mov_b64 s[10:11], 0
	v_bfe_u32 v2, v0, 10, 10
	s_branch .LBB135_3
.LBB135_2:
	s_mov_b64 s[8:9], -1
                                        ; implicit-def: $sgpr10_sgpr11
                                        ; implicit-def: $vgpr2
.LBB135_3:
	s_load_dwordx2 s[12:13], s[0:1], 0x30
	v_and_b32_e32 v14, 0x3ff, v0
	s_andn2_b64 vcc, exec, s[8:9]
	v_mov_b64_e32 v[4:5], s[10:11]
	v_mbcnt_lo_u32_b32 v15, -1, 0
	s_cbranch_vccnz .LBB135_11
; %bb.4:
	s_load_dword s3, s[0:1], 0x4c
	s_load_dword s16, s[0:1], 0x44
	s_load_dwordx2 s[18:19], s[0:1], 0x28
	s_load_dwordx4 s[8:11], s[0:1], 0x10
	v_mbcnt_hi_u32_b32 v6, -1, v15
	s_waitcnt lgkmcnt(0)
	s_and_b32 s0, s3, 0xffff
	v_mad_u32_u24 v1, v16, s0, v14
	v_lshlrev_b32_e32 v0, 3, v16
	v_and_b32_e32 v2, 63, v1
	v_mov_b32_e32 v1, 0
	v_lshlrev_b32_e32 v6, 2, v6
	v_mov_b32_e32 v3, v1
	v_and_b32_e32 v17, 0x100, v6
	v_lshl_add_u64 v[6:7], v[0:1], 0, s[14:15]
	v_mov_b32_e32 v5, v1
	s_lshl_b32 s16, s16, 7
	v_lshl_add_u64 v[0:1], v[6:7], 0, v[2:3]
	v_mul_lo_u32 v8, s7, v6
	v_mul_lo_u32 v9, s6, v7
	v_mad_u64_u32 v[6:7], s[20:21], s6, v6, 0
	v_lshl_add_u32 v4, s2, 5, v14
	s_mul_i32 s3, s7, s16
	s_mul_hi_u32 s20, s6, s16
	s_mov_b32 s17, 0
	v_add3_u32 v7, v7, v9, v8
	v_lshlrev_b64 v[4:5], 3, v[4:5]
	s_add_i32 s21, s20, s3
	s_mul_i32 s20, s6, s16
	v_mov_b64_e32 v[8:9], 0
	v_cmp_gt_u32_e64 s[0:1], 8, v2
	v_or_b32_e32 v18, 4, v17
	v_or_b32_e32 v19, 8, v17
	;; [unrolled: 1-line block ×7, first 2 shown]
	v_lshl_add_u64 v[2:3], v[0:1], 3, s[18:19]
	s_lshl_b64 s[18:19], s[16:17], 3
	v_lshl_add_u64 v[6:7], v[6:7], 3, v[4:5]
	s_lshl_b64 s[20:21], s[20:21], 3
	s_lshl_b64 s[6:7], s[6:7], 3
	v_mov_b64_e32 v[10:11], s[4:5]
	v_mov_b64_e32 v[4:5], v[8:9]
	s_branch .LBB135_7
.LBB135_5:                              ;   in Loop: Header=BB135_7 Depth=1
	s_or_b64 exec, exec, s[24:25]
.LBB135_6:                              ;   in Loop: Header=BB135_7 Depth=1
	s_or_b64 exec, exec, s[22:23]
	v_lshl_add_u64 v[26:27], s[8:9], 0, v[6:7]
	v_lshl_add_u64 v[30:31], s[10:11], 0, v[6:7]
	global_load_dwordx2 v[28:29], v[26:27], off
	global_load_dwordx2 v[32:33], v[30:31], off
	v_lshl_add_u64 v[26:27], v[26:27], 0, s[6:7]
	v_lshl_add_u64 v[30:31], v[30:31], 0, s[6:7]
	global_load_dwordx2 v[34:35], v[26:27], off
	global_load_dwordx2 v[36:37], v[30:31], off
	;; [unrolled: 4-line block ×7, first 2 shown]
	v_lshl_add_u64 v[26:27], v[26:27], 0, s[6:7]
	v_lshl_add_u64 v[30:31], v[30:31], 0, s[6:7]
	global_load_dwordx2 v[26:27], v[26:27], off
	s_waitcnt vmcnt(15)
	ds_bpermute_b32 v58, v17, v12
	global_load_dwordx2 v[30:31], v[30:31], off
	ds_bpermute_b32 v59, v17, v13
	s_add_u32 s14, s14, s16
	s_addc_u32 s15, s15, 0
	v_cmp_lt_i64_e32 vcc, s[14:15], v[10:11]
	v_lshl_add_u64 v[2:3], v[2:3], 0, s[18:19]
	v_lshl_add_u64 v[0:1], v[0:1], 0, s[16:17]
	v_lshl_add_u64 v[6:7], v[6:7], 0, s[20:21]
	s_and_b64 vcc, exec, vcc
	s_waitcnt vmcnt(14)
	v_mul_f64 v[28:29], v[28:29], v[32:33]
	s_waitcnt lgkmcnt(0)
	v_fmac_f64_e32 v[4:5], v[28:29], v[58:59]
	ds_bpermute_b32 v28, v18, v12
	ds_bpermute_b32 v29, v18, v13
	s_waitcnt vmcnt(12)
	v_mul_f64 v[32:33], v[34:35], v[36:37]
	s_waitcnt lgkmcnt(0)
	v_fmac_f64_e32 v[4:5], v[32:33], v[28:29]
	ds_bpermute_b32 v28, v19, v12
	ds_bpermute_b32 v29, v19, v13
	;; [unrolled: 6-line block ×5, first 2 shown]
	s_waitcnt vmcnt(4)
	v_mul_f64 v[32:33], v[50:51], v[52:53]
	s_waitcnt vmcnt(0)
	v_mul_f64 v[26:27], v[26:27], v[30:31]
	s_waitcnt lgkmcnt(0)
	v_fmac_f64_e32 v[4:5], v[32:33], v[28:29]
	ds_bpermute_b32 v28, v23, v12
	ds_bpermute_b32 v29, v23, v13
	;; [unrolled: 1-line block ×4, first 2 shown]
	v_mul_f64 v[32:33], v[54:55], v[56:57]
	s_waitcnt lgkmcnt(2)
	v_fmac_f64_e32 v[4:5], v[32:33], v[28:29]
	s_waitcnt lgkmcnt(0)
	v_fmac_f64_e32 v[4:5], v[26:27], v[12:13]
	s_cbranch_vccz .LBB135_10
.LBB135_7:                              ; =>This Inner Loop Header: Depth=1
	v_mov_b64_e32 v[12:13], v[8:9]
	s_and_saveexec_b64 s[22:23], s[0:1]
	s_cbranch_execz .LBB135_6
; %bb.8:                                ;   in Loop: Header=BB135_7 Depth=1
	v_cmp_gt_i64_e32 vcc, s[4:5], v[0:1]
	v_mov_b64_e32 v[12:13], 0
	s_and_saveexec_b64 s[24:25], vcc
	s_cbranch_execz .LBB135_5
; %bb.9:                                ;   in Loop: Header=BB135_7 Depth=1
	global_load_dwordx2 v[12:13], v[2:3], off
	s_branch .LBB135_5
.LBB135_10:
	v_mov_b32_e32 v2, v16
.LBB135_11:
	v_mad_u32_u24 v3, v2, 33, v14
	v_mov_b32_e32 v0, 0
	v_lshl_add_u32 v6, v3, 3, 0
	v_mov_b32_e32 v1, v0
	ds_write_b64 v6, v[0:1] offset:4224
	v_sub_u32_e32 v1, v3, v2
	s_movk_i32 s0, 0x800
	s_mov_b32 s3, 0
	v_cmp_gt_u32_e32 vcc, s0, v1
	ds_write_b64 v6, v[4:5]
	s_waitcnt lgkmcnt(0)
	s_barrier
	s_and_saveexec_b64 s[0:1], vcc
	s_cbranch_execz .LBB135_18
; %bb.12:
	v_mbcnt_hi_u32_b32 v2, -1, v15
	v_and_b32_e32 v4, 64, v2
	s_cmp_lg_u64 s[12:13], 0
	v_add_u32_e32 v7, 64, v4
	v_cmp_eq_u32_e64 s[0:1], 0, v14
	s_cselect_b64 s[6:7], -1, 0
	v_xor_b32_e32 v4, 8, v2
	s_and_b64 s[6:7], s[0:1], s[6:7]
	v_cmp_lt_i32_e64 s[0:1], v4, v7
	v_xor_b32_e32 v5, 4, v2
	v_xor_b32_e32 v6, 2, v2
	v_cndmask_b32_e64 v4, v2, v4, s[0:1]
	v_cmp_lt_i32_e64 s[0:1], v5, v7
	v_xor_b32_e32 v8, 1, v2
	v_lshrrev_b32_e32 v3, 6, v1
	v_cndmask_b32_e64 v5, v2, v5, s[0:1]
	v_cmp_lt_i32_e64 s[0:1], v6, v7
	v_and_b32_e32 v1, 63, v1
	v_cmp_gt_u32_e32 vcc, 16, v1
	v_cndmask_b32_e64 v6, v2, v6, s[0:1]
	v_cmp_lt_i32_e64 s[0:1], v8, v7
	v_mul_u32_u24_e32 v1, 0x108, v1
	v_add_u32_e32 v9, -8, v3
	v_cndmask_b32_e64 v2, v2, v8, s[0:1]
	s_lshl_b64 s[0:1], s[2:3], 8
	s_add_u32 s0, s12, s0
	v_lshlrev_b32_e32 v7, 2, v2
	v_lshlrev_b32_e32 v2, 3, v3
	v_mov_b32_e32 v3, v0
	s_addc_u32 s1, s13, s1
	s_mov_b64 s[4:5], 0
	v_lshlrev_b32_e32 v4, 2, v4
	v_lshlrev_b32_e32 v5, 2, v5
	;; [unrolled: 1-line block ×3, first 2 shown]
	v_add3_u32 v8, v1, v2, 0
	v_lshl_add_u64 v[0:1], s[0:1], 0, v[2:3]
                                        ; implicit-def: $vgpr2_vgpr3
	s_branch .LBB135_14
.LBB135_13:                             ;   in Loop: Header=BB135_14 Depth=1
	s_or_b64 exec, exec, s[0:1]
	v_add_u32_e32 v9, 8, v9
	v_cmp_lt_u32_e64 s[0:1], 23, v9
	v_add_u32_e32 v8, 64, v8
	s_or_b64 s[4:5], s[0:1], s[4:5]
	v_lshl_add_u64 v[0:1], v[0:1], 0, 64
	s_andn2_b64 exec, exec, s[4:5]
	s_cbranch_execz .LBB135_18
.LBB135_14:                             ; =>This Inner Loop Header: Depth=1
	s_and_saveexec_b64 s[0:1], vcc
	s_cbranch_execz .LBB135_16
; %bb.15:                               ;   in Loop: Header=BB135_14 Depth=1
	ds_read_b64 v[2:3], v8
.LBB135_16:                             ;   in Loop: Header=BB135_14 Depth=1
	s_or_b64 exec, exec, s[0:1]
	s_waitcnt lgkmcnt(0)
	ds_bpermute_b32 v10, v4, v2
	ds_bpermute_b32 v11, v4, v3
	s_waitcnt lgkmcnt(0)
	v_add_f64 v[2:3], v[2:3], v[10:11]
	ds_bpermute_b32 v10, v5, v2
	ds_bpermute_b32 v11, v5, v3
	s_waitcnt lgkmcnt(0)
	v_add_f64 v[2:3], v[2:3], v[10:11]
	ds_bpermute_b32 v10, v6, v2
	ds_bpermute_b32 v11, v6, v3
	s_waitcnt lgkmcnt(0)
	v_add_f64 v[2:3], v[2:3], v[10:11]
	ds_bpermute_b32 v10, v7, v2
	ds_bpermute_b32 v11, v7, v3
	s_waitcnt lgkmcnt(0)
	v_add_f64 v[2:3], v[2:3], v[10:11]
	s_and_saveexec_b64 s[0:1], s[6:7]
	s_cbranch_execz .LBB135_13
; %bb.17:                               ;   in Loop: Header=BB135_14 Depth=1
	global_store_dwordx2 v[0:1], v[2:3], off
	s_branch .LBB135_13
.LBB135_18:
	s_endpgm
	.section	.rodata,"a",@progbits
	.p2align	6, 0x0
	.amdhsa_kernel _ZN2at6native12_GLOBAL__N_135GammaBetaBackwardCUDAKernelTemplateIddLj32ELj16ELj128ELb0ELb1ELb1EEEvllPKT_S5_PKT0_S8_PS3_S9_
		.amdhsa_group_segment_fixed_size 0
		.amdhsa_private_segment_fixed_size 0
		.amdhsa_kernarg_size 320
		.amdhsa_user_sgpr_count 2
		.amdhsa_user_sgpr_dispatch_ptr 0
		.amdhsa_user_sgpr_queue_ptr 0
		.amdhsa_user_sgpr_kernarg_segment_ptr 1
		.amdhsa_user_sgpr_dispatch_id 0
		.amdhsa_user_sgpr_kernarg_preload_length 0
		.amdhsa_user_sgpr_kernarg_preload_offset 0
		.amdhsa_user_sgpr_private_segment_size 0
		.amdhsa_uses_dynamic_stack 0
		.amdhsa_enable_private_segment 0
		.amdhsa_system_sgpr_workgroup_id_x 1
		.amdhsa_system_sgpr_workgroup_id_y 1
		.amdhsa_system_sgpr_workgroup_id_z 0
		.amdhsa_system_sgpr_workgroup_info 0
		.amdhsa_system_vgpr_workitem_id 1
		.amdhsa_next_free_vgpr 60
		.amdhsa_next_free_sgpr 26
		.amdhsa_accum_offset 60
		.amdhsa_reserve_vcc 1
		.amdhsa_float_round_mode_32 0
		.amdhsa_float_round_mode_16_64 0
		.amdhsa_float_denorm_mode_32 3
		.amdhsa_float_denorm_mode_16_64 3
		.amdhsa_dx10_clamp 1
		.amdhsa_ieee_mode 1
		.amdhsa_fp16_overflow 0
		.amdhsa_tg_split 0
		.amdhsa_exception_fp_ieee_invalid_op 0
		.amdhsa_exception_fp_denorm_src 0
		.amdhsa_exception_fp_ieee_div_zero 0
		.amdhsa_exception_fp_ieee_overflow 0
		.amdhsa_exception_fp_ieee_underflow 0
		.amdhsa_exception_fp_ieee_inexact 0
		.amdhsa_exception_int_div_zero 0
	.end_amdhsa_kernel
	.section	.text._ZN2at6native12_GLOBAL__N_135GammaBetaBackwardCUDAKernelTemplateIddLj32ELj16ELj128ELb0ELb1ELb1EEEvllPKT_S5_PKT0_S8_PS3_S9_,"axG",@progbits,_ZN2at6native12_GLOBAL__N_135GammaBetaBackwardCUDAKernelTemplateIddLj32ELj16ELj128ELb0ELb1ELb1EEEvllPKT_S5_PKT0_S8_PS3_S9_,comdat
.Lfunc_end135:
	.size	_ZN2at6native12_GLOBAL__N_135GammaBetaBackwardCUDAKernelTemplateIddLj32ELj16ELj128ELb0ELb1ELb1EEEvllPKT_S5_PKT0_S8_PS3_S9_, .Lfunc_end135-_ZN2at6native12_GLOBAL__N_135GammaBetaBackwardCUDAKernelTemplateIddLj32ELj16ELj128ELb0ELb1ELb1EEEvllPKT_S5_PKT0_S8_PS3_S9_
                                        ; -- End function
	.section	.AMDGPU.csdata,"",@progbits
; Kernel info:
; codeLenInByte = 1472
; NumSgprs: 32
; NumVgprs: 60
; NumAgprs: 0
; TotalNumVgprs: 60
; ScratchSize: 0
; MemoryBound: 0
; FloatMode: 240
; IeeeMode: 1
; LDSByteSize: 0 bytes/workgroup (compile time only)
; SGPRBlocks: 3
; VGPRBlocks: 7
; NumSGPRsForWavesPerEU: 32
; NumVGPRsForWavesPerEU: 60
; AccumOffset: 60
; Occupancy: 8
; WaveLimiterHint : 0
; COMPUTE_PGM_RSRC2:SCRATCH_EN: 0
; COMPUTE_PGM_RSRC2:USER_SGPR: 2
; COMPUTE_PGM_RSRC2:TRAP_HANDLER: 0
; COMPUTE_PGM_RSRC2:TGID_X_EN: 1
; COMPUTE_PGM_RSRC2:TGID_Y_EN: 1
; COMPUTE_PGM_RSRC2:TGID_Z_EN: 0
; COMPUTE_PGM_RSRC2:TIDIG_COMP_CNT: 1
; COMPUTE_PGM_RSRC3_GFX90A:ACCUM_OFFSET: 14
; COMPUTE_PGM_RSRC3_GFX90A:TG_SPLIT: 0
	.section	.text._ZN2at6native12_GLOBAL__N_135GammaBetaBackwardCUDAKernelTemplateIddLj32ELj16ELj128ELb0ELb0ELb1EEEvllPKT_S5_PKT0_S8_PS3_S9_,"axG",@progbits,_ZN2at6native12_GLOBAL__N_135GammaBetaBackwardCUDAKernelTemplateIddLj32ELj16ELj128ELb0ELb0ELb1EEEvllPKT_S5_PKT0_S8_PS3_S9_,comdat
	.globl	_ZN2at6native12_GLOBAL__N_135GammaBetaBackwardCUDAKernelTemplateIddLj32ELj16ELj128ELb0ELb0ELb1EEEvllPKT_S5_PKT0_S8_PS3_S9_ ; -- Begin function _ZN2at6native12_GLOBAL__N_135GammaBetaBackwardCUDAKernelTemplateIddLj32ELj16ELj128ELb0ELb0ELb1EEEvllPKT_S5_PKT0_S8_PS3_S9_
	.p2align	8
	.type	_ZN2at6native12_GLOBAL__N_135GammaBetaBackwardCUDAKernelTemplateIddLj32ELj16ELj128ELb0ELb0ELb1EEEvllPKT_S5_PKT0_S8_PS3_S9_,@function
_ZN2at6native12_GLOBAL__N_135GammaBetaBackwardCUDAKernelTemplateIddLj32ELj16ELj128ELb0ELb0ELb1EEEvllPKT_S5_PKT0_S8_PS3_S9_: ; @_ZN2at6native12_GLOBAL__N_135GammaBetaBackwardCUDAKernelTemplateIddLj32ELj16ELj128ELb0ELb0ELb1EEEvllPKT_S5_PKT0_S8_PS3_S9_
; %bb.0:
	s_load_dwordx8 s[24:31], s[0:1], 0x0
	s_load_dwordx2 s[34:35], s[0:1], 0x28
	s_lshl_b32 s33, s2, 5
	s_or_b32 s36, s33, 31
	s_mov_b32 s37, 0
	s_waitcnt lgkmcnt(0)
	v_mov_b64_e32 v[2:3], s[26:27]
	v_cmp_ge_i64_e32 vcc, s[36:37], v[2:3]
	s_lshl_b32 s36, s3, 7
	v_mov_b64_e32 v[2:3], s[24:25]
	v_cmp_lt_i64_e64 s[4:5], s[36:37], v[2:3]
	s_nop 1
	v_cndmask_b32_e64 v1, 0, 1, s[4:5]
	v_cmp_ne_u32_e64 s[4:5], 1, v1
	s_cbranch_vccz .LBB136_49
; %bb.1:
	s_and_b64 vcc, exec, s[4:5]
	v_mov_b64_e32 v[2:3], 0
	s_cbranch_vccnz .LBB136_50
; %bb.2:
	v_mov_b32_e32 v5, 0
	v_bfe_u32 v92, v0, 10, 10
	s_load_dword s3, s[0:1], 0x44
	v_lshlrev_b32_e32 v50, 3, v92
	v_mov_b32_e32 v51, v5
	v_and_b32_e32 v1, 0x3ff, v0
	v_lshl_add_u64 v[2:3], v[50:51], 0, s[36:37]
	v_add_u32_e32 v4, s33, v1
	v_lshl_add_u64 v[6:7], v[2:3], 0, 7
	s_add_u32 s38, s0, 64
	v_cmp_gt_i64_e64 s[6:7], s[26:27], v[4:5]
	v_lshlrev_b64 v[52:53], 3, v[4:5]
	v_mul_lo_u32 v4, s27, v6
	v_mul_lo_u32 v8, s26, v7
	v_mad_u64_u32 v[6:7], s[10:11], s26, v6, 0
	s_addc_u32 s39, s1, 0
	s_waitcnt lgkmcnt(0)
	s_lshl_b32 s3, s3, 7
	v_add3_u32 v7, v7, v8, v4
	v_lshlrev_b64 v[6:7], 3, v[6:7]
	s_mul_i32 s9, s27, s3
	s_mul_hi_u32 s10, s26, s3
	v_lshl_add_u64 v[54:55], s[28:29], 0, v[6:7]
	s_add_i32 s11, s10, s9
	s_mul_i32 s10, s26, s3
	v_lshl_add_u64 v[56:57], s[30:31], 0, v[6:7]
	v_lshl_add_u64 v[6:7], v[2:3], 0, 6
	s_lshl_b64 s[40:41], s[10:11], 3
	v_mul_lo_u32 v4, s27, v6
	v_mul_lo_u32 v8, s26, v7
	v_mad_u64_u32 v[6:7], s[10:11], s26, v6, 0
	v_add3_u32 v7, v7, v8, v4
	v_lshlrev_b64 v[6:7], 3, v[6:7]
	v_lshl_add_u64 v[58:59], s[28:29], 0, v[6:7]
	v_lshl_add_u64 v[60:61], s[30:31], 0, v[6:7]
	v_lshl_add_u64 v[6:7], v[2:3], 0, 5
	v_mul_lo_u32 v4, s27, v6
	v_mul_lo_u32 v8, s26, v7
	v_mad_u64_u32 v[6:7], s[10:11], s26, v6, 0
	v_add3_u32 v7, v7, v8, v4
	v_lshlrev_b64 v[6:7], 3, v[6:7]
	v_lshl_add_u64 v[62:63], s[28:29], 0, v[6:7]
	v_lshl_add_u64 v[64:65], s[30:31], 0, v[6:7]
	v_lshl_add_u64 v[6:7], v[2:3], 0, 4
	v_mul_lo_u32 v4, s27, v6
	v_mul_lo_u32 v8, s26, v7
	v_mad_u64_u32 v[6:7], s[10:11], s26, v6, 0
	v_add3_u32 v7, v7, v8, v4
	v_lshlrev_b64 v[6:7], 3, v[6:7]
	v_lshl_add_u64 v[66:67], s[28:29], 0, v[6:7]
	v_lshl_add_u64 v[68:69], s[30:31], 0, v[6:7]
	v_lshl_add_u64 v[6:7], v[2:3], 0, 3
	v_mul_lo_u32 v4, s27, v6
	v_mul_lo_u32 v8, s26, v7
	v_mad_u64_u32 v[6:7], s[10:11], s26, v6, 0
	v_add3_u32 v7, v7, v8, v4
	v_lshlrev_b64 v[6:7], 3, v[6:7]
	v_lshl_add_u64 v[70:71], s[28:29], 0, v[6:7]
	v_lshl_add_u64 v[72:73], s[30:31], 0, v[6:7]
	v_lshl_add_u64 v[6:7], v[2:3], 0, 2
	v_mul_lo_u32 v4, s27, v6
	v_mul_lo_u32 v8, s26, v7
	v_mad_u64_u32 v[6:7], s[10:11], s26, v6, 0
	v_add3_u32 v7, v7, v8, v4
	v_lshlrev_b64 v[6:7], 3, v[6:7]
	v_lshl_add_u64 v[74:75], s[28:29], 0, v[6:7]
	v_lshl_add_u64 v[76:77], s[30:31], 0, v[6:7]
	v_mov_b64_e32 v[6:7], s[26:27]
	v_mad_u64_u32 v[6:7], s[10:11], s26, v2, v[6:7]
	v_mul_lo_u32 v4, s26, v3
	v_mul_lo_u32 v8, s27, v2
	v_mad_u64_u32 v[2:3], s[10:11], s26, v2, 0
	v_add3_u32 v3, v3, v4, v8
	v_lshlrev_b64 v[2:3], 3, v[2:3]
	v_lshl_add_u64 v[82:83], s[28:29], 0, v[2:3]
	v_lshl_add_u64 v[84:85], s[30:31], 0, v[2:3]
	v_mbcnt_lo_u32_b32 v2, -1, 0
	v_add3_u32 v7, v8, v7, v4
	v_mbcnt_hi_u32_b32 v2, -1, v2
	v_lshlrev_b64 v[6:7], 3, v[6:7]
	s_add_u32 s42, s36, 0x7f
	s_movk_i32 s44, 0xff81
	s_movk_i32 s46, 0xff82
	s_movk_i32 s48, 0xff83
	s_movk_i32 s50, 0xff84
	s_movk_i32 s52, 0xff85
	s_movk_i32 s54, 0xff86
	s_movk_i32 s56, 0xff87
	s_movk_i32 s58, 0xff88
	v_lshlrev_b32_e32 v2, 2, v2
	s_mov_b32 s8, 0
	v_lshl_add_u64 v[78:79], s[28:29], 0, v[6:7]
	v_lshl_add_u64 v[80:81], s[30:31], 0, v[6:7]
	s_addc_u32 s43, 0, 0
	v_mov_b64_e32 v[86:87], 0
	s_mov_b32 s45, -1
	s_mov_b32 s47, -1
	;; [unrolled: 1-line block ×8, first 2 shown]
	v_and_b32_e32 v93, 0x100, v2
	s_mov_b64 s[60:61], s[36:37]
.LBB136_3:                              ; =>This Inner Loop Header: Depth=1
	v_mov_b64_e32 v[2:3], s[24:25]
	v_cmp_ge_i64_e32 vcc, s[42:43], v[2:3]
	v_lshl_add_u64 v[88:89], v[50:51], 0, s[42:43]
	s_cbranch_vccz .LBB136_25
; %bb.4:                                ;   in Loop: Header=BB136_3 Depth=1
	s_load_dword s9, s[38:39], 0xc
	v_mov_b64_e32 v[90:91], 0
	s_waitcnt lgkmcnt(0)
	s_and_b32 s9, s9, 0xffff
	v_mad_u32_u24 v2, v92, s9, v1
	v_and_b32_e32 v4, 63, v2
	v_cmp_gt_u32_e32 vcc, 8, v4
	s_and_saveexec_b64 s[10:11], vcc
	s_cbranch_execz .LBB136_8
; %bb.5:                                ;   in Loop: Header=BB136_3 Depth=1
	v_lshl_add_u64 v[2:3], v[88:89], 0, v[4:5]
	v_lshl_add_u64 v[2:3], v[2:3], 0, s[44:45]
	v_cmp_gt_i64_e32 vcc, s[24:25], v[2:3]
	v_mov_b64_e32 v[90:91], 0
	s_and_saveexec_b64 s[12:13], vcc
	s_cbranch_execz .LBB136_7
; %bb.6:                                ;   in Loop: Header=BB136_3 Depth=1
	v_lshl_add_u64 v[2:3], v[2:3], 3, s[34:35]
	global_load_dwordx2 v[90:91], v[2:3], off
.LBB136_7:                              ;   in Loop: Header=BB136_3 Depth=1
	s_or_b64 exec, exec, s[12:13]
.LBB136_8:                              ;   in Loop: Header=BB136_3 Depth=1
	s_or_b64 exec, exec, s[10:11]
	s_mov_b32 s22, s8
	s_mov_b32 s23, s8
	v_lshl_add_u64 v[2:3], v[88:89], 0, s[44:45]
	s_mov_b32 s9, s8
	s_mov_b32 s10, s8
	;; [unrolled: 1-line block ×13, first 2 shown]
	v_mov_b64_e32 v[32:33], s[22:23]
	v_cmp_gt_i64_e32 vcc, s[24:25], v[2:3]
	v_mov_b64_e32 v[30:31], s[20:21]
	v_mov_b64_e32 v[28:29], s[18:19]
	;; [unrolled: 1-line block ×8, first 2 shown]
	s_and_b64 s[62:63], s[6:7], vcc
	v_mov_b64_e32 v[46:47], v[30:31]
	v_mov_b64_e32 v[44:45], v[28:29]
	;; [unrolled: 1-line block ×7, first 2 shown]
	s_and_saveexec_b64 s[10:11], s[62:63]
	s_cbranch_execz .LBB136_10
; %bb.9:                                ;   in Loop: Header=BB136_3 Depth=1
	v_lshl_add_u64 v[2:3], v[82:83], 0, v[52:53]
	global_load_dwordx2 v[2:3], v[2:3], off
	v_lshl_add_u64 v[6:7], v[84:85], 0, v[52:53]
	global_load_dwordx2 v[18:19], v[6:7], off
	v_mov_b32_e32 v16, v5
	v_mov_b32_e32 v17, v5
	;; [unrolled: 1-line block ×13, first 2 shown]
	s_waitcnt vmcnt(1)
	v_mov_b64_e32 v[48:49], v[16:17]
	v_mov_b32_e32 v20, v5
	v_mov_b32_e32 v21, v5
	;; [unrolled: 1-line block ×14, first 2 shown]
	v_mov_b64_e32 v[46:47], v[14:15]
	v_mov_b64_e32 v[44:45], v[12:13]
	v_mov_b64_e32 v[42:43], v[10:11]
	v_mov_b64_e32 v[40:41], v[8:9]
	v_mov_b64_e32 v[38:39], v[6:7]
	v_mov_b64_e32 v[36:37], v[4:5]
	v_mov_b64_e32 v[34:35], v[2:3]
.LBB136_10:                             ;   in Loop: Header=BB136_3 Depth=1
	s_or_b64 exec, exec, s[10:11]
	v_lshl_add_u64 v[2:3], v[88:89], 0, s[46:47]
	v_cmp_gt_i64_e32 vcc, s[24:25], v[2:3]
	s_and_b64 s[12:13], s[6:7], vcc
	s_and_saveexec_b64 s[10:11], s[12:13]
	s_cbranch_execz .LBB136_12
; %bb.11:                               ;   in Loop: Header=BB136_3 Depth=1
	v_lshl_add_u64 v[2:3], v[78:79], 0, v[52:53]
	global_load_dwordx2 v[36:37], v[2:3], off
	v_lshl_add_u64 v[2:3], v[80:81], 0, v[52:53]
	global_load_dwordx2 v[20:21], v[2:3], off
.LBB136_12:                             ;   in Loop: Header=BB136_3 Depth=1
	s_or_b64 exec, exec, s[10:11]
	v_lshl_add_u64 v[2:3], v[88:89], 0, s[48:49]
	v_cmp_gt_i64_e32 vcc, s[24:25], v[2:3]
	s_and_b64 s[12:13], s[6:7], vcc
	s_and_saveexec_b64 s[10:11], s[12:13]
	s_cbranch_execz .LBB136_14
; %bb.13:                               ;   in Loop: Header=BB136_3 Depth=1
	v_lshl_add_u64 v[2:3], v[74:75], 0, v[52:53]
	global_load_dwordx2 v[38:39], v[2:3], off
	v_lshl_add_u64 v[2:3], v[76:77], 0, v[52:53]
	global_load_dwordx2 v[22:23], v[2:3], off
.LBB136_14:                             ;   in Loop: Header=BB136_3 Depth=1
	;; [unrolled: 12-line block ×7, first 2 shown]
	s_or_b64 exec, exec, s[10:11]
	s_waitcnt vmcnt(0)
	ds_bpermute_b32 v2, v93, v90
	ds_bpermute_b32 v3, v93, v91
	ds_bpermute_b32 v6, v93, v90 offset:4
	ds_bpermute_b32 v7, v93, v91 offset:4
	v_mul_f64 v[8:9], v[18:19], v[34:35]
	ds_bpermute_b32 v10, v93, v90 offset:12
	s_waitcnt lgkmcnt(3)
	v_fma_f64 v[2:3], v[8:9], v[2:3], v[86:87]
	v_mul_f64 v[8:9], v[20:21], v[36:37]
	s_waitcnt lgkmcnt(1)
	v_fmac_f64_e32 v[2:3], v[8:9], v[6:7]
	ds_bpermute_b32 v6, v93, v90 offset:8
	ds_bpermute_b32 v7, v93, v91 offset:8
	;; [unrolled: 1-line block ×5, first 2 shown]
	v_mul_f64 v[8:9], v[22:23], v[38:39]
	s_waitcnt lgkmcnt(3)
	v_fmac_f64_e32 v[2:3], v[8:9], v[6:7]
	v_mul_f64 v[6:7], v[24:25], v[40:41]
	s_waitcnt lgkmcnt(2)
	v_fmac_f64_e32 v[2:3], v[6:7], v[10:11]
	v_mul_f64 v[6:7], v[26:27], v[42:43]
	ds_bpermute_b32 v8, v93, v90 offset:20
	ds_bpermute_b32 v9, v93, v91 offset:20
	s_waitcnt lgkmcnt(2)
	v_fmac_f64_e32 v[2:3], v[6:7], v[12:13]
	ds_bpermute_b32 v12, v93, v90 offset:24
	ds_bpermute_b32 v13, v93, v91 offset:24
	;; [unrolled: 1-line block ×4, first 2 shown]
	v_mul_f64 v[10:11], v[28:29], v[44:45]
	s_waitcnt lgkmcnt(4)
	v_fmac_f64_e32 v[2:3], v[10:11], v[8:9]
	v_mul_f64 v[8:9], v[30:31], v[46:47]
	s_waitcnt lgkmcnt(2)
	v_fmac_f64_e32 v[2:3], v[8:9], v[12:13]
	s_branch .LBB136_40
.LBB136_25:                             ;   in Loop: Header=BB136_3 Depth=1
                                        ; implicit-def: $vgpr2_vgpr3
                                        ; implicit-def: $vgpr18_vgpr19_vgpr20_vgpr21_vgpr22_vgpr23_vgpr24_vgpr25_vgpr26_vgpr27_vgpr28_vgpr29_vgpr30_vgpr31_vgpr32_vgpr33
                                        ; implicit-def: $vgpr34_vgpr35_vgpr36_vgpr37_vgpr38_vgpr39_vgpr40_vgpr41_vgpr42_vgpr43_vgpr44_vgpr45_vgpr46_vgpr47_vgpr48_vgpr49
                                        ; implicit-def: $vgpr6
	s_cbranch_execz .LBB136_40
; %bb.26:                               ;   in Loop: Header=BB136_3 Depth=1
	s_load_dword s9, s[38:39], 0x0
	v_mov_b64_e32 v[90:91], 0
	s_waitcnt lgkmcnt(0)
	s_cmp_lt_u32 s2, s9
	s_cselect_b32 s9, 12, 18
	s_add_u32 s10, s38, s9
	s_addc_u32 s11, s39, 0
	global_load_ushort v2, v5, s[10:11]
	s_waitcnt vmcnt(0)
	v_mad_u32_u24 v2, v92, v2, v1
	v_and_b32_e32 v4, 63, v2
	v_cmp_gt_u32_e32 vcc, 8, v4
	s_and_saveexec_b64 s[10:11], vcc
	s_cbranch_execz .LBB136_30
; %bb.27:                               ;   in Loop: Header=BB136_3 Depth=1
	v_lshl_add_u64 v[2:3], v[88:89], 0, v[4:5]
	v_lshl_add_u64 v[2:3], v[2:3], 0, s[44:45]
	v_cmp_gt_i64_e32 vcc, s[24:25], v[2:3]
	v_mov_b64_e32 v[90:91], 0
	s_and_saveexec_b64 s[12:13], vcc
	s_cbranch_execz .LBB136_29
; %bb.28:                               ;   in Loop: Header=BB136_3 Depth=1
	v_lshl_add_u64 v[2:3], v[2:3], 3, s[34:35]
	global_load_dwordx2 v[90:91], v[2:3], off
.LBB136_29:                             ;   in Loop: Header=BB136_3 Depth=1
	s_or_b64 exec, exec, s[12:13]
.LBB136_30:                             ;   in Loop: Header=BB136_3 Depth=1
	s_or_b64 exec, exec, s[10:11]
	s_mov_b32 s22, s8
	s_mov_b32 s23, s8
	;; [unrolled: 1-line block ×15, first 2 shown]
	v_mov_b64_e32 v[32:33], s[22:23]
	v_mov_b64_e32 v[30:31], s[20:21]
	;; [unrolled: 1-line block ×16, first 2 shown]
	s_and_saveexec_b64 s[10:11], s[6:7]
	s_cbranch_execnz .LBB136_42
; %bb.31:                               ;   in Loop: Header=BB136_3 Depth=1
	s_or_b64 exec, exec, s[10:11]
	s_and_saveexec_b64 s[10:11], s[6:7]
	s_cbranch_execnz .LBB136_43
.LBB136_32:                             ;   in Loop: Header=BB136_3 Depth=1
	s_or_b64 exec, exec, s[10:11]
	s_and_saveexec_b64 s[10:11], s[6:7]
	s_cbranch_execnz .LBB136_44
.LBB136_33:                             ;   in Loop: Header=BB136_3 Depth=1
	s_or_b64 exec, exec, s[10:11]
	s_and_saveexec_b64 s[10:11], s[6:7]
	s_cbranch_execnz .LBB136_45
.LBB136_34:                             ;   in Loop: Header=BB136_3 Depth=1
	s_or_b64 exec, exec, s[10:11]
	s_and_saveexec_b64 s[10:11], s[6:7]
	s_cbranch_execnz .LBB136_46
.LBB136_35:                             ;   in Loop: Header=BB136_3 Depth=1
	s_or_b64 exec, exec, s[10:11]
	s_and_saveexec_b64 s[10:11], s[6:7]
	s_cbranch_execnz .LBB136_47
.LBB136_36:                             ;   in Loop: Header=BB136_3 Depth=1
	s_or_b64 exec, exec, s[10:11]
	s_and_saveexec_b64 s[10:11], s[6:7]
	s_cbranch_execnz .LBB136_48
.LBB136_37:                             ;   in Loop: Header=BB136_3 Depth=1
	s_or_b64 exec, exec, s[10:11]
	s_and_saveexec_b64 s[10:11], s[6:7]
	s_cbranch_execz .LBB136_39
.LBB136_38:                             ;   in Loop: Header=BB136_3 Depth=1
	v_lshl_add_u64 v[2:3], v[54:55], 0, v[52:53]
	global_load_dwordx2 v[48:49], v[2:3], off
	v_lshl_add_u64 v[2:3], v[56:57], 0, v[52:53]
	global_load_dwordx2 v[32:33], v[2:3], off
.LBB136_39:                             ;   in Loop: Header=BB136_3 Depth=1
	s_or_b64 exec, exec, s[10:11]
	s_waitcnt vmcnt(0)
	ds_bpermute_b32 v2, v93, v90
	ds_bpermute_b32 v3, v93, v91
	ds_bpermute_b32 v6, v93, v90 offset:4
	ds_bpermute_b32 v7, v93, v91 offset:4
	v_mul_f64 v[8:9], v[18:19], v[34:35]
	ds_bpermute_b32 v10, v93, v90 offset:16
	s_waitcnt lgkmcnt(3)
	v_fmac_f64_e32 v[86:87], v[8:9], v[2:3]
	v_mul_f64 v[2:3], v[20:21], v[36:37]
	s_waitcnt lgkmcnt(1)
	v_fmac_f64_e32 v[86:87], v[2:3], v[6:7]
	ds_bpermute_b32 v2, v93, v90 offset:8
	ds_bpermute_b32 v3, v93, v91 offset:8
	;; [unrolled: 1-line block ×5, first 2 shown]
	v_mul_f64 v[6:7], v[22:23], v[38:39]
	s_waitcnt lgkmcnt(3)
	v_fmac_f64_e32 v[86:87], v[6:7], v[2:3]
	v_mul_f64 v[2:3], v[24:25], v[40:41]
	s_waitcnt lgkmcnt(1)
	v_fmac_f64_e32 v[86:87], v[2:3], v[8:9]
	;; [unrolled: 3-line block ×3, first 2 shown]
	ds_bpermute_b32 v2, v93, v90 offset:20
	ds_bpermute_b32 v3, v93, v91 offset:20
	;; [unrolled: 1-line block ×4, first 2 shown]
	v_mul_f64 v[8:9], v[28:29], v[44:45]
	ds_bpermute_b32 v6, v93, v90 offset:28
	s_waitcnt lgkmcnt(3)
	v_fmac_f64_e32 v[86:87], v[8:9], v[2:3]
	v_mul_f64 v[2:3], v[30:31], v[46:47]
	s_waitcnt lgkmcnt(1)
	v_fmac_f64_e32 v[86:87], v[2:3], v[10:11]
	ds_bpermute_b32 v7, v93, v91 offset:28
	v_mov_b64_e32 v[2:3], v[86:87]
.LBB136_40:                             ;   in Loop: Header=BB136_3 Depth=1
	v_mul_f64 v[8:9], v[48:49], v[32:33]
	s_add_u32 s60, s60, s3
	s_waitcnt lgkmcnt(0)
	v_fmac_f64_e32 v[2:3], v[8:9], v[6:7]
	s_addc_u32 s61, s61, 0
	v_mov_b64_e32 v[6:7], s[24:25]
	s_add_u32 s42, s42, s3
	v_cmp_lt_i64_e32 vcc, s[60:61], v[6:7]
	v_lshl_add_u64 v[54:55], v[54:55], 0, s[40:41]
	v_lshl_add_u64 v[56:57], v[56:57], 0, s[40:41]
	;; [unrolled: 1-line block ×14, first 2 shown]
	s_addc_u32 s43, s43, 0
	v_lshl_add_u64 v[82:83], v[82:83], 0, s[40:41]
	v_lshl_add_u64 v[84:85], v[84:85], 0, s[40:41]
	s_cbranch_vccz .LBB136_50
; %bb.41:                               ;   in Loop: Header=BB136_3 Depth=1
	v_mov_b64_e32 v[86:87], v[2:3]
	s_branch .LBB136_3
.LBB136_42:                             ;   in Loop: Header=BB136_3 Depth=1
	v_lshl_add_u64 v[2:3], v[82:83], 0, v[52:53]
	global_load_dwordx2 v[2:3], v[2:3], off
	v_lshl_add_u64 v[6:7], v[84:85], 0, v[52:53]
	global_load_dwordx2 v[18:19], v[6:7], off
	v_mov_b32_e32 v16, v5
	v_mov_b32_e32 v17, v5
	;; [unrolled: 1-line block ×13, first 2 shown]
	s_waitcnt vmcnt(1)
	v_mov_b64_e32 v[48:49], v[16:17]
	v_mov_b32_e32 v20, v5
	v_mov_b32_e32 v21, v5
	v_mov_b32_e32 v22, v5
	v_mov_b32_e32 v23, v5
	v_mov_b32_e32 v24, v5
	v_mov_b32_e32 v25, v5
	v_mov_b32_e32 v26, v5
	v_mov_b32_e32 v27, v5
	v_mov_b32_e32 v28, v5
	v_mov_b32_e32 v29, v5
	v_mov_b32_e32 v30, v5
	v_mov_b32_e32 v31, v5
	v_mov_b32_e32 v32, v5
	v_mov_b32_e32 v33, v5
	v_mov_b64_e32 v[46:47], v[14:15]
	v_mov_b64_e32 v[44:45], v[12:13]
	;; [unrolled: 1-line block ×7, first 2 shown]
	s_or_b64 exec, exec, s[10:11]
	s_and_saveexec_b64 s[10:11], s[6:7]
	s_cbranch_execz .LBB136_32
.LBB136_43:                             ;   in Loop: Header=BB136_3 Depth=1
	v_lshl_add_u64 v[2:3], v[78:79], 0, v[52:53]
	global_load_dwordx2 v[36:37], v[2:3], off
	v_lshl_add_u64 v[2:3], v[80:81], 0, v[52:53]
	global_load_dwordx2 v[20:21], v[2:3], off
	s_or_b64 exec, exec, s[10:11]
	s_and_saveexec_b64 s[10:11], s[6:7]
	s_cbranch_execz .LBB136_33
.LBB136_44:                             ;   in Loop: Header=BB136_3 Depth=1
	v_lshl_add_u64 v[2:3], v[74:75], 0, v[52:53]
	global_load_dwordx2 v[38:39], v[2:3], off
	v_lshl_add_u64 v[2:3], v[76:77], 0, v[52:53]
	global_load_dwordx2 v[22:23], v[2:3], off
	s_or_b64 exec, exec, s[10:11]
	s_and_saveexec_b64 s[10:11], s[6:7]
	s_cbranch_execz .LBB136_34
.LBB136_45:                             ;   in Loop: Header=BB136_3 Depth=1
	v_lshl_add_u64 v[2:3], v[70:71], 0, v[52:53]
	global_load_dwordx2 v[40:41], v[2:3], off
	v_lshl_add_u64 v[2:3], v[72:73], 0, v[52:53]
	global_load_dwordx2 v[24:25], v[2:3], off
	s_or_b64 exec, exec, s[10:11]
	s_and_saveexec_b64 s[10:11], s[6:7]
	s_cbranch_execz .LBB136_35
.LBB136_46:                             ;   in Loop: Header=BB136_3 Depth=1
	v_lshl_add_u64 v[2:3], v[66:67], 0, v[52:53]
	global_load_dwordx2 v[42:43], v[2:3], off
	v_lshl_add_u64 v[2:3], v[68:69], 0, v[52:53]
	global_load_dwordx2 v[26:27], v[2:3], off
	s_or_b64 exec, exec, s[10:11]
	s_and_saveexec_b64 s[10:11], s[6:7]
	s_cbranch_execz .LBB136_36
.LBB136_47:                             ;   in Loop: Header=BB136_3 Depth=1
	v_lshl_add_u64 v[2:3], v[62:63], 0, v[52:53]
	global_load_dwordx2 v[44:45], v[2:3], off
	v_lshl_add_u64 v[2:3], v[64:65], 0, v[52:53]
	global_load_dwordx2 v[28:29], v[2:3], off
	s_or_b64 exec, exec, s[10:11]
	s_and_saveexec_b64 s[10:11], s[6:7]
	s_cbranch_execz .LBB136_37
.LBB136_48:                             ;   in Loop: Header=BB136_3 Depth=1
	v_lshl_add_u64 v[2:3], v[58:59], 0, v[52:53]
	global_load_dwordx2 v[46:47], v[2:3], off
	v_lshl_add_u64 v[2:3], v[60:61], 0, v[52:53]
	global_load_dwordx2 v[30:31], v[2:3], off
	s_or_b64 exec, exec, s[10:11]
	s_and_saveexec_b64 s[10:11], s[6:7]
	s_cbranch_execnz .LBB136_38
	s_branch .LBB136_39
.LBB136_49:
                                        ; implicit-def: $vgpr2_vgpr3
	s_branch .LBB136_51
.LBB136_50:
	s_cbranch_execnz .LBB136_83
.LBB136_51:
	s_and_b64 vcc, exec, s[4:5]
	v_mov_b64_e32 v[2:3], 0
	s_cbranch_vccnz .LBB136_83
; %bb.52:
	v_and_b32_e32 v1, 0x3ff, v0
	v_add_u32_e32 v4, s33, v1
	v_mov_b32_e32 v5, 0
	v_bfe_u32 v120, v0, 10, 10
	v_lshlrev_b64 v[52:53], 3, v[4:5]
	v_lshlrev_b32_e32 v4, 6, v120
	v_lshl_add_u64 v[2:3], s[36:37], 3, v[4:5]
	v_lshl_add_u64 v[6:7], v[2:3], 0, 8
	v_mov_b64_e32 v[8:9], s[28:29]
	v_mov_b64_e32 v[18:19], s[30:31]
	v_mad_u64_u32 v[54:55], s[4:5], s26, v6, v[8:9]
	v_mul_lo_u32 v4, s26, v7
	v_mul_lo_u32 v7, s27, v6
	v_mad_u64_u32 v[64:65], s[4:5], s26, v6, v[18:19]
	v_lshlrev_b32_e32 v50, 3, v120
	v_mov_b32_e32 v51, v5
	v_add3_u32 v55, v7, v55, v4
	v_lshl_add_u64 v[10:11], v[2:3], 0, 16
	v_lshl_add_u64 v[12:13], v[2:3], 0, 24
	;; [unrolled: 1-line block ×4, first 2 shown]
	v_add3_u32 v65, v7, v65, v4
	v_lshl_add_u64 v[6:7], v[2:3], 0, 48
	v_lshl_add_u64 v[2:3], v[2:3], 0, 56
	v_mad_u64_u32 v[56:57], s[4:5], s26, v10, v[8:9]
	v_mul_lo_u32 v20, s27, v10
	v_mad_u64_u32 v[58:59], s[4:5], s26, v12, v[8:9]
	v_mad_u64_u32 v[60:61], s[4:5], s26, v14, v[8:9]
	;; [unrolled: 1-line block ×6, first 2 shown]
	v_mul_lo_u32 v3, s26, v3
	v_mul_lo_u32 v10, s27, v2
	v_lshl_add_u64 v[8:9], v[50:51], 0, s[36:37]
	v_mad_u64_u32 v[80:81], s[4:5], s26, v2, v[18:19]
	v_mul_lo_u32 v4, s26, v7
	v_mul_lo_u32 v7, s27, v6
	v_add3_u32 v73, v10, v73, v3
	v_mad_u64_u32 v[78:79], s[4:5], s26, v6, v[18:19]
	v_add3_u32 v81, v10, v81, v3
	v_lshl_add_u64 v[2:3], v[8:9], 0, 7
	v_add3_u32 v69, v7, v69, v4
	v_add3_u32 v79, v7, v79, v4
	v_mul_lo_u32 v4, s27, v2
	v_mul_lo_u32 v6, s26, v3
	v_mad_u64_u32 v[2:3], s[4:5], s26, v2, 0
	v_add3_u32 v3, v3, v6, v4
	v_lshl_add_u64 v[6:7], v[8:9], 0, 6
	v_mul_lo_u32 v11, s26, v11
	v_mul_lo_u32 v4, s27, v6
	;; [unrolled: 1-line block ×3, first 2 shown]
	v_mad_u64_u32 v[6:7], s[4:5], s26, v6, 0
	v_add3_u32 v57, v20, v57, v11
	v_add3_u32 v67, v20, v67, v11
	v_add3_u32 v7, v7, v10, v4
	v_lshl_add_u64 v[10:11], v[8:9], 0, 5
	v_mul_lo_u32 v13, s26, v13
	v_mul_lo_u32 v21, s27, v12
	v_mad_u64_u32 v[70:71], s[4:5], s26, v12, v[18:19]
	v_mul_lo_u32 v4, s27, v10
	v_mul_lo_u32 v12, s26, v11
	v_mad_u64_u32 v[10:11], s[4:5], s26, v10, 0
	v_add3_u32 v59, v21, v59, v13
	v_add3_u32 v71, v21, v71, v13
	v_add3_u32 v11, v11, v12, v4
	v_lshl_add_u64 v[12:13], v[8:9], 0, 4
	v_mul_lo_u32 v15, s26, v15
	v_mul_lo_u32 v22, s27, v14
	v_mad_u64_u32 v[74:75], s[4:5], s26, v14, v[18:19]
	v_mul_lo_u32 v4, s27, v12
	v_mul_lo_u32 v14, s26, v13
	;; [unrolled: 10-line block ×3, first 2 shown]
	v_mad_u64_u32 v[14:15], s[4:5], s26, v14, 0
	v_lshlrev_b64 v[2:3], 3, v[2:3]
	v_add3_u32 v63, v23, v63, v17
	v_add3_u32 v77, v23, v77, v17
	;; [unrolled: 1-line block ×3, first 2 shown]
	v_lshl_add_u64 v[16:17], v[8:9], 0, 2
	v_lshl_add_u64 v[86:87], s[28:29], 0, v[2:3]
	;; [unrolled: 1-line block ×3, first 2 shown]
	v_lshlrev_b64 v[2:3], 3, v[6:7]
	v_mul_lo_u32 v4, s27, v16
	v_mul_lo_u32 v18, s26, v17
	v_mad_u64_u32 v[16:17], s[4:5], s26, v16, 0
	s_load_dword s3, s[0:1], 0x44
	v_lshl_add_u64 v[90:91], s[28:29], 0, v[2:3]
	v_lshl_add_u64 v[92:93], s[30:31], 0, v[2:3]
	v_lshlrev_b64 v[2:3], 3, v[10:11]
	v_add3_u32 v17, v17, v18, v4
	v_mov_b64_e32 v[18:19], s[26:27]
	v_lshl_add_u64 v[94:95], s[28:29], 0, v[2:3]
	v_lshl_add_u64 v[96:97], s[30:31], 0, v[2:3]
	v_lshlrev_b64 v[2:3], 3, v[12:13]
	v_mad_u64_u32 v[18:19], s[4:5], s26, v8, v[18:19]
	v_mul_lo_u32 v4, s27, v8
	v_mul_lo_u32 v20, s26, v9
	v_lshl_add_u64 v[98:99], s[28:29], 0, v[2:3]
	v_lshl_add_u64 v[100:101], s[30:31], 0, v[2:3]
	v_lshlrev_b64 v[2:3], 3, v[14:15]
	v_add3_u32 v19, v4, v19, v20
	v_lshl_add_u64 v[102:103], s[28:29], 0, v[2:3]
	v_lshl_add_u64 v[104:105], s[30:31], 0, v[2:3]
	v_lshlrev_b64 v[2:3], 3, v[16:17]
	v_mad_u64_u32 v[8:9], s[4:5], s26, v8, 0
	s_add_u32 s20, s0, 64
	v_lshl_add_u64 v[106:107], s[28:29], 0, v[2:3]
	v_lshl_add_u64 v[108:109], s[30:31], 0, v[2:3]
	v_lshlrev_b64 v[2:3], 3, v[18:19]
	v_add3_u32 v9, v9, v20, v4
	s_addc_u32 s21, s1, 0
	s_waitcnt lgkmcnt(0)
	s_lshl_b32 s3, s3, 7
	v_lshl_add_u64 v[110:111], s[28:29], 0, v[2:3]
	v_lshl_add_u64 v[112:113], s[30:31], 0, v[2:3]
	v_mbcnt_lo_u32_b32 v2, -1, 0
	s_add_u32 s22, s36, 0x7f
	s_mul_i32 s5, s27, s3
	s_mul_hi_u32 s6, s26, s3
	v_lshlrev_b64 v[8:9], 3, v[8:9]
	v_mbcnt_hi_u32_b32 v2, -1, v2
	s_addc_u32 s23, 0, 0
	s_add_i32 s7, s6, s5
	s_mul_i32 s6, s26, s3
	v_lshl_add_u64 v[82:83], s[28:29], 0, v[8:9]
	v_lshl_add_u64 v[84:85], s[30:31], 0, v[8:9]
	s_movk_i32 s28, 0xff81
	s_movk_i32 s30, 0xff82
	;; [unrolled: 1-line block ×8, first 2 shown]
	v_lshlrev_b32_e32 v2, 2, v2
	s_mov_b32 s4, 0
	s_lshl_b64 s[38:39], s[6:7], 3
	s_mov_b32 s29, -1
	s_mov_b32 s31, -1
	;; [unrolled: 1-line block ×8, first 2 shown]
	v_and_b32_e32 v121, 0x100, v2
	v_mov_b64_e32 v[114:115], 0
.LBB136_53:                             ; =>This Inner Loop Header: Depth=1
	v_mov_b64_e32 v[2:3], s[24:25]
	v_cmp_ge_i64_e32 vcc, s[22:23], v[2:3]
	v_lshl_add_u64 v[116:117], v[50:51], 0, s[22:23]
	s_cbranch_vccz .LBB136_75
; %bb.54:                               ;   in Loop: Header=BB136_53 Depth=1
	s_load_dword s5, s[20:21], 0xc
	v_mov_b64_e32 v[118:119], 0
	s_waitcnt lgkmcnt(0)
	s_and_b32 s5, s5, 0xffff
	v_mad_u32_u24 v2, v120, s5, v1
	v_and_b32_e32 v4, 63, v2
	v_cmp_gt_u32_e32 vcc, 8, v4
	s_and_saveexec_b64 s[6:7], vcc
	s_cbranch_execz .LBB136_58
; %bb.55:                               ;   in Loop: Header=BB136_53 Depth=1
	v_lshl_add_u64 v[2:3], v[116:117], 0, v[4:5]
	v_lshl_add_u64 v[2:3], v[2:3], 0, s[28:29]
	v_cmp_gt_i64_e32 vcc, s[24:25], v[2:3]
	v_mov_b64_e32 v[118:119], 0
	s_and_saveexec_b64 s[8:9], vcc
	s_cbranch_execz .LBB136_57
; %bb.56:                               ;   in Loop: Header=BB136_53 Depth=1
	v_lshl_add_u64 v[2:3], v[2:3], 3, s[34:35]
	global_load_dwordx2 v[118:119], v[2:3], off
.LBB136_57:                             ;   in Loop: Header=BB136_53 Depth=1
	s_or_b64 exec, exec, s[8:9]
.LBB136_58:                             ;   in Loop: Header=BB136_53 Depth=1
	s_or_b64 exec, exec, s[6:7]
	s_mov_b32 s18, s4
	s_mov_b32 s19, s4
	;; [unrolled: 1-line block ×15, first 2 shown]
	v_mov_b64_e32 v[32:33], s[18:19]
	v_lshl_add_u64 v[2:3], v[116:117], 0, s[28:29]
	v_mov_b64_e32 v[30:31], s[16:17]
	v_mov_b64_e32 v[28:29], s[14:15]
	;; [unrolled: 1-line block ×8, first 2 shown]
	v_cmp_gt_i64_e32 vcc, s[24:25], v[2:3]
	v_mov_b64_e32 v[46:47], v[30:31]
	v_mov_b64_e32 v[44:45], v[28:29]
	;; [unrolled: 1-line block ×7, first 2 shown]
	s_and_saveexec_b64 s[6:7], vcc
	s_cbranch_execz .LBB136_60
; %bb.59:                               ;   in Loop: Header=BB136_53 Depth=1
	v_lshl_add_u64 v[2:3], v[82:83], 0, v[52:53]
	global_load_dwordx2 v[2:3], v[2:3], off
	v_lshl_add_u64 v[6:7], v[84:85], 0, v[52:53]
	global_load_dwordx2 v[18:19], v[6:7], off
	v_mov_b32_e32 v16, v5
	v_mov_b32_e32 v17, v5
	;; [unrolled: 1-line block ×13, first 2 shown]
	s_waitcnt vmcnt(1)
	v_mov_b64_e32 v[48:49], v[16:17]
	v_mov_b32_e32 v20, v5
	v_mov_b32_e32 v21, v5
	;; [unrolled: 1-line block ×14, first 2 shown]
	v_mov_b64_e32 v[46:47], v[14:15]
	v_mov_b64_e32 v[44:45], v[12:13]
	;; [unrolled: 1-line block ×7, first 2 shown]
.LBB136_60:                             ;   in Loop: Header=BB136_53 Depth=1
	s_or_b64 exec, exec, s[6:7]
	v_lshl_add_u64 v[2:3], v[116:117], 0, s[30:31]
	v_cmp_gt_i64_e32 vcc, s[24:25], v[2:3]
	s_and_saveexec_b64 s[6:7], vcc
	s_cbranch_execz .LBB136_62
; %bb.61:                               ;   in Loop: Header=BB136_53 Depth=1
	v_lshl_add_u64 v[2:3], v[110:111], 0, v[52:53]
	global_load_dwordx2 v[36:37], v[2:3], off
	v_lshl_add_u64 v[2:3], v[112:113], 0, v[52:53]
	global_load_dwordx2 v[20:21], v[2:3], off
.LBB136_62:                             ;   in Loop: Header=BB136_53 Depth=1
	s_or_b64 exec, exec, s[6:7]
	v_lshl_add_u64 v[2:3], v[116:117], 0, s[40:41]
	v_cmp_gt_i64_e32 vcc, s[24:25], v[2:3]
	s_and_saveexec_b64 s[6:7], vcc
	s_cbranch_execz .LBB136_64
; %bb.63:                               ;   in Loop: Header=BB136_53 Depth=1
	v_lshl_add_u64 v[2:3], v[106:107], 0, v[52:53]
	global_load_dwordx2 v[38:39], v[2:3], off
	v_lshl_add_u64 v[2:3], v[108:109], 0, v[52:53]
	global_load_dwordx2 v[22:23], v[2:3], off
.LBB136_64:                             ;   in Loop: Header=BB136_53 Depth=1
	;; [unrolled: 11-line block ×7, first 2 shown]
	s_or_b64 exec, exec, s[6:7]
	s_waitcnt vmcnt(0)
	ds_bpermute_b32 v2, v121, v118
	ds_bpermute_b32 v3, v121, v119
	ds_bpermute_b32 v6, v121, v118 offset:4
	ds_bpermute_b32 v7, v121, v119 offset:4
	v_mul_f64 v[8:9], v[18:19], v[34:35]
	ds_bpermute_b32 v10, v121, v118 offset:12
	s_waitcnt lgkmcnt(3)
	v_fma_f64 v[2:3], v[8:9], v[2:3], v[114:115]
	v_mul_f64 v[8:9], v[20:21], v[36:37]
	s_waitcnt lgkmcnt(1)
	v_fmac_f64_e32 v[2:3], v[8:9], v[6:7]
	ds_bpermute_b32 v6, v121, v118 offset:8
	ds_bpermute_b32 v7, v121, v119 offset:8
	;; [unrolled: 1-line block ×5, first 2 shown]
	v_mul_f64 v[8:9], v[22:23], v[38:39]
	s_waitcnt lgkmcnt(3)
	v_fmac_f64_e32 v[2:3], v[8:9], v[6:7]
	v_mul_f64 v[6:7], v[24:25], v[40:41]
	s_waitcnt lgkmcnt(2)
	v_fmac_f64_e32 v[2:3], v[6:7], v[10:11]
	;; [unrolled: 3-line block ×3, first 2 shown]
	ds_bpermute_b32 v6, v121, v118 offset:20
	ds_bpermute_b32 v7, v121, v119 offset:20
	;; [unrolled: 1-line block ×6, first 2 shown]
	v_mul_f64 v[8:9], v[28:29], v[44:45]
	s_waitcnt lgkmcnt(4)
	v_fmac_f64_e32 v[2:3], v[8:9], v[6:7]
	v_mul_f64 v[6:7], v[30:31], v[46:47]
	s_waitcnt lgkmcnt(2)
	v_fmac_f64_e32 v[2:3], v[6:7], v[10:11]
	;; [unrolled: 3-line block ×3, first 2 shown]
	s_branch .LBB136_81
.LBB136_75:                             ;   in Loop: Header=BB136_53 Depth=1
                                        ; implicit-def: $vgpr2_vgpr3
	s_cbranch_execz .LBB136_81
; %bb.76:                               ;   in Loop: Header=BB136_53 Depth=1
	s_load_dword s5, s[20:21], 0x0
	s_waitcnt lgkmcnt(0)
	s_cmp_lt_u32 s2, s5
	s_cselect_b32 s5, 12, 18
	s_add_u32 s6, s20, s5
	s_addc_u32 s7, s21, 0
	global_load_ushort v2, v5, s[6:7]
	s_waitcnt vmcnt(0)
	v_mad_u32_u24 v2, v120, v2, v1
	v_and_b32_e32 v4, 63, v2
	v_cmp_gt_u32_e32 vcc, 8, v4
	v_mov_b64_e32 v[2:3], 0
	s_and_saveexec_b64 s[6:7], vcc
	s_cbranch_execz .LBB136_80
; %bb.77:                               ;   in Loop: Header=BB136_53 Depth=1
	v_lshl_add_u64 v[2:3], v[116:117], 0, v[4:5]
	v_lshl_add_u64 v[6:7], v[2:3], 0, s[28:29]
	v_cmp_gt_i64_e32 vcc, s[24:25], v[6:7]
	v_mov_b64_e32 v[2:3], 0
	s_and_saveexec_b64 s[8:9], vcc
	s_cbranch_execz .LBB136_79
; %bb.78:                               ;   in Loop: Header=BB136_53 Depth=1
	v_lshl_add_u64 v[2:3], v[6:7], 3, s[34:35]
	global_load_dwordx2 v[2:3], v[2:3], off
.LBB136_79:                             ;   in Loop: Header=BB136_53 Depth=1
	s_or_b64 exec, exec, s[8:9]
.LBB136_80:                             ;   in Loop: Header=BB136_53 Depth=1
	s_or_b64 exec, exec, s[6:7]
	v_lshl_add_u64 v[6:7], v[82:83], 0, v[52:53]
	v_lshl_add_u64 v[8:9], v[84:85], 0, v[52:53]
	global_load_dwordx2 v[6:7], v[6:7], off
	v_lshl_add_u64 v[10:11], v[54:55], 0, v[52:53]
	global_load_dwordx2 v[8:9], v[8:9], off
	;; [unrolled: 2-line block ×10, first 2 shown]
	v_lshl_add_u64 v[28:29], v[76:77], 0, v[52:53]
	v_lshl_add_u64 v[30:31], v[68:69], 0, v[52:53]
	;; [unrolled: 1-line block ×3, first 2 shown]
	global_load_dwordx2 v[34:35], v[26:27], off
	global_load_dwordx2 v[36:37], v[28:29], off
	;; [unrolled: 1-line block ×4, first 2 shown]
	v_lshl_add_u64 v[26:27], v[72:73], 0, v[52:53]
	v_lshl_add_u64 v[28:29], v[80:81], 0, v[52:53]
	global_load_dwordx2 v[30:31], v[26:27], off
	global_load_dwordx2 v[32:33], v[28:29], off
	s_waitcnt vmcnt(16)
	ds_bpermute_b32 v26, v121, v2
	ds_bpermute_b32 v27, v121, v3
	ds_bpermute_b32 v28, v121, v2 offset:4
	ds_bpermute_b32 v29, v121, v3 offset:4
	;; [unrolled: 1-line block ×14, first 2 shown]
	s_waitcnt vmcnt(14)
	v_mul_f64 v[6:7], v[6:7], v[8:9]
	s_waitcnt lgkmcnt(14)
	v_fmac_f64_e32 v[114:115], v[6:7], v[26:27]
	s_waitcnt vmcnt(12)
	v_mul_f64 v[8:9], v[10:11], v[12:13]
	s_waitcnt lgkmcnt(12)
	v_fmac_f64_e32 v[114:115], v[8:9], v[28:29]
	;; [unrolled: 4-line block ×8, first 2 shown]
	v_mov_b64_e32 v[2:3], v[114:115]
.LBB136_81:                             ;   in Loop: Header=BB136_53 Depth=1
	s_add_u32 s36, s36, s3
	s_addc_u32 s37, s37, 0
	v_mov_b64_e32 v[6:7], s[24:25]
	s_add_u32 s22, s22, s3
	v_cmp_ge_i64_e32 vcc, s[36:37], v[6:7]
	s_addc_u32 s23, s23, 0
	v_lshl_add_u64 v[54:55], v[54:55], 0, s[38:39]
	v_lshl_add_u64 v[56:57], v[56:57], 0, s[38:39]
	;; [unrolled: 1-line block ×30, first 2 shown]
	s_cbranch_vccnz .LBB136_83
; %bb.82:                               ;   in Loop: Header=BB136_53 Depth=1
	v_mov_b64_e32 v[114:115], v[2:3]
	s_branch .LBB136_53
.LBB136_83:
	v_and_b32_e32 v1, 0x3ff, v0
	v_bfe_u32 v0, v0, 10, 10
	v_mad_u32_u24 v4, v0, 33, v1
	v_lshl_add_u32 v5, v4, 3, 0
	ds_write_b64 v5, v[2:3]
	v_mov_b32_e32 v2, 0
	v_mov_b32_e32 v3, v2
	ds_write_b64 v5, v[2:3] offset:4224
	v_sub_u32_e32 v3, v4, v0
	s_movk_i32 s4, 0x800
	s_mov_b32 s3, 0
	v_cmp_gt_u32_e32 vcc, s4, v3
	s_waitcnt lgkmcnt(0)
	s_barrier
	s_and_saveexec_b64 s[4:5], vcc
	s_cbranch_execz .LBB136_90
; %bb.84:
	v_mbcnt_lo_u32_b32 v4, -1, 0
	v_mbcnt_hi_u32_b32 v4, -1, v4
	v_lshrrev_b32_e32 v0, 6, v3
	v_and_b32_e32 v3, 63, v3
	v_and_b32_e32 v5, 64, v4
	s_load_dwordx2 s[12:13], s[0:1], 0x30
	v_cmp_gt_u32_e32 vcc, 16, v3
	v_add_u32_e32 v5, 64, v5
	v_cmp_ne_u32_e64 s[0:1], 0, v1
	v_mul_u32_u24_e32 v1, 0x108, v3
	v_xor_b32_e32 v3, 8, v4
	v_cmp_lt_i32_e64 s[4:5], v3, v5
	s_lshl_b64 s[6:7], s[2:3], 5
	s_waitcnt lgkmcnt(0)
	s_cmp_eq_u64 s[12:13], 0
	v_cndmask_b32_e64 v3, v4, v3, s[4:5]
	v_lshlrev_b32_e32 v6, 2, v3
	v_xor_b32_e32 v3, 4, v4
	v_cmp_lt_i32_e64 s[4:5], v3, v5
	s_cselect_b64 s[10:11], -1, 0
	s_lshl_b64 s[2:3], s[2:3], 8
	v_cndmask_b32_e64 v3, v4, v3, s[4:5]
	v_lshlrev_b32_e32 v7, 2, v3
	v_xor_b32_e32 v3, 2, v4
	v_cmp_lt_i32_e64 s[4:5], v3, v5
	s_add_u32 s2, s12, s2
	s_addc_u32 s3, s13, s3
	v_cndmask_b32_e64 v3, v4, v3, s[4:5]
	v_lshlrev_b32_e32 v8, 2, v3
	v_xor_b32_e32 v3, 1, v4
	v_cmp_lt_i32_e64 s[4:5], v3, v5
	v_mov_b32_e32 v5, v2
	s_mov_b64 s[8:9], 0
	v_cndmask_b32_e64 v3, v4, v3, s[4:5]
	v_lshlrev_b32_e32 v4, 3, v0
	v_lshlrev_b32_e32 v9, 2, v3
	v_add3_u32 v10, v1, v4, 0
	v_mov_b32_e32 v1, v2
	v_lshl_add_u64 v[2:3], s[2:3], 0, v[4:5]
                                        ; implicit-def: $vgpr4_vgpr5
	s_branch .LBB136_86
.LBB136_85:                             ;   in Loop: Header=BB136_86 Depth=1
	s_or_b64 exec, exec, s[2:3]
	v_lshl_add_u64 v[0:1], v[0:1], 0, 8
	v_add_u32_e32 v11, -8, v0
	v_cmp_lt_u32_e64 s[2:3], 23, v11
	v_add_u32_e32 v10, 64, v10
	s_or_b64 s[8:9], s[2:3], s[8:9]
	v_lshl_add_u64 v[2:3], v[2:3], 0, 64
	s_andn2_b64 exec, exec, s[8:9]
	s_cbranch_execz .LBB136_90
.LBB136_86:                             ; =>This Inner Loop Header: Depth=1
	s_and_saveexec_b64 s[2:3], vcc
	s_cbranch_execz .LBB136_88
; %bb.87:                               ;   in Loop: Header=BB136_86 Depth=1
	ds_read_b64 v[4:5], v10
.LBB136_88:                             ;   in Loop: Header=BB136_86 Depth=1
	s_or_b64 exec, exec, s[2:3]
	s_waitcnt lgkmcnt(0)
	ds_bpermute_b32 v12, v6, v4
	ds_bpermute_b32 v13, v6, v5
	v_lshl_add_u64 v[14:15], s[6:7], 0, v[0:1]
	v_cmp_le_i64_e64 s[2:3], s[26:27], v[14:15]
	s_or_b64 s[2:3], s[0:1], s[2:3]
	s_or_b64 s[2:3], s[10:11], s[2:3]
	s_waitcnt lgkmcnt(0)
	v_add_f64 v[4:5], v[4:5], v[12:13]
	ds_bpermute_b32 v12, v7, v4
	ds_bpermute_b32 v13, v7, v5
	s_xor_b64 s[4:5], s[2:3], -1
	s_waitcnt lgkmcnt(0)
	v_add_f64 v[4:5], v[4:5], v[12:13]
	ds_bpermute_b32 v12, v8, v4
	ds_bpermute_b32 v13, v8, v5
	s_waitcnt lgkmcnt(0)
	v_add_f64 v[4:5], v[4:5], v[12:13]
	ds_bpermute_b32 v12, v9, v4
	ds_bpermute_b32 v13, v9, v5
	s_waitcnt lgkmcnt(0)
	v_add_f64 v[4:5], v[4:5], v[12:13]
	s_and_saveexec_b64 s[2:3], s[4:5]
	s_cbranch_execz .LBB136_85
; %bb.89:                               ;   in Loop: Header=BB136_86 Depth=1
	global_store_dwordx2 v[2:3], v[4:5], off
	s_branch .LBB136_85
.LBB136_90:
	s_endpgm
	.section	.rodata,"a",@progbits
	.p2align	6, 0x0
	.amdhsa_kernel _ZN2at6native12_GLOBAL__N_135GammaBetaBackwardCUDAKernelTemplateIddLj32ELj16ELj128ELb0ELb0ELb1EEEvllPKT_S5_PKT0_S8_PS3_S9_
		.amdhsa_group_segment_fixed_size 0
		.amdhsa_private_segment_fixed_size 0
		.amdhsa_kernarg_size 320
		.amdhsa_user_sgpr_count 2
		.amdhsa_user_sgpr_dispatch_ptr 0
		.amdhsa_user_sgpr_queue_ptr 0
		.amdhsa_user_sgpr_kernarg_segment_ptr 1
		.amdhsa_user_sgpr_dispatch_id 0
		.amdhsa_user_sgpr_kernarg_preload_length 0
		.amdhsa_user_sgpr_kernarg_preload_offset 0
		.amdhsa_user_sgpr_private_segment_size 0
		.amdhsa_uses_dynamic_stack 0
		.amdhsa_enable_private_segment 0
		.amdhsa_system_sgpr_workgroup_id_x 1
		.amdhsa_system_sgpr_workgroup_id_y 1
		.amdhsa_system_sgpr_workgroup_id_z 0
		.amdhsa_system_sgpr_workgroup_info 0
		.amdhsa_system_vgpr_workitem_id 1
		.amdhsa_next_free_vgpr 122
		.amdhsa_next_free_sgpr 64
		.amdhsa_accum_offset 124
		.amdhsa_reserve_vcc 1
		.amdhsa_float_round_mode_32 0
		.amdhsa_float_round_mode_16_64 0
		.amdhsa_float_denorm_mode_32 3
		.amdhsa_float_denorm_mode_16_64 3
		.amdhsa_dx10_clamp 1
		.amdhsa_ieee_mode 1
		.amdhsa_fp16_overflow 0
		.amdhsa_tg_split 0
		.amdhsa_exception_fp_ieee_invalid_op 0
		.amdhsa_exception_fp_denorm_src 0
		.amdhsa_exception_fp_ieee_div_zero 0
		.amdhsa_exception_fp_ieee_overflow 0
		.amdhsa_exception_fp_ieee_underflow 0
		.amdhsa_exception_fp_ieee_inexact 0
		.amdhsa_exception_int_div_zero 0
	.end_amdhsa_kernel
	.section	.text._ZN2at6native12_GLOBAL__N_135GammaBetaBackwardCUDAKernelTemplateIddLj32ELj16ELj128ELb0ELb0ELb1EEEvllPKT_S5_PKT0_S8_PS3_S9_,"axG",@progbits,_ZN2at6native12_GLOBAL__N_135GammaBetaBackwardCUDAKernelTemplateIddLj32ELj16ELj128ELb0ELb0ELb1EEEvllPKT_S5_PKT0_S8_PS3_S9_,comdat
.Lfunc_end136:
	.size	_ZN2at6native12_GLOBAL__N_135GammaBetaBackwardCUDAKernelTemplateIddLj32ELj16ELj128ELb0ELb0ELb1EEEvllPKT_S5_PKT0_S8_PS3_S9_, .Lfunc_end136-_ZN2at6native12_GLOBAL__N_135GammaBetaBackwardCUDAKernelTemplateIddLj32ELj16ELj128ELb0ELb0ELb1EEEvllPKT_S5_PKT0_S8_PS3_S9_
                                        ; -- End function
	.section	.AMDGPU.csdata,"",@progbits
; Kernel info:
; codeLenInByte = 6908
; NumSgprs: 70
; NumVgprs: 122
; NumAgprs: 0
; TotalNumVgprs: 122
; ScratchSize: 0
; MemoryBound: 1
; FloatMode: 240
; IeeeMode: 1
; LDSByteSize: 0 bytes/workgroup (compile time only)
; SGPRBlocks: 8
; VGPRBlocks: 15
; NumSGPRsForWavesPerEU: 70
; NumVGPRsForWavesPerEU: 122
; AccumOffset: 124
; Occupancy: 4
; WaveLimiterHint : 0
; COMPUTE_PGM_RSRC2:SCRATCH_EN: 0
; COMPUTE_PGM_RSRC2:USER_SGPR: 2
; COMPUTE_PGM_RSRC2:TRAP_HANDLER: 0
; COMPUTE_PGM_RSRC2:TGID_X_EN: 1
; COMPUTE_PGM_RSRC2:TGID_Y_EN: 1
; COMPUTE_PGM_RSRC2:TGID_Z_EN: 0
; COMPUTE_PGM_RSRC2:TIDIG_COMP_CNT: 1
; COMPUTE_PGM_RSRC3_GFX90A:ACCUM_OFFSET: 30
; COMPUTE_PGM_RSRC3_GFX90A:TG_SPLIT: 0
	.section	.text._ZN2at6native12_GLOBAL__N_135GammaBetaBackwardCUDAKernelTemplateIddLj32ELj32ELj256ELb0ELb1ELb1EEEvllPKT_S5_PKT0_S8_PS3_S9_,"axG",@progbits,_ZN2at6native12_GLOBAL__N_135GammaBetaBackwardCUDAKernelTemplateIddLj32ELj32ELj256ELb0ELb1ELb1EEEvllPKT_S5_PKT0_S8_PS3_S9_,comdat
	.globl	_ZN2at6native12_GLOBAL__N_135GammaBetaBackwardCUDAKernelTemplateIddLj32ELj32ELj256ELb0ELb1ELb1EEEvllPKT_S5_PKT0_S8_PS3_S9_ ; -- Begin function _ZN2at6native12_GLOBAL__N_135GammaBetaBackwardCUDAKernelTemplateIddLj32ELj32ELj256ELb0ELb1ELb1EEEvllPKT_S5_PKT0_S8_PS3_S9_
	.p2align	8
	.type	_ZN2at6native12_GLOBAL__N_135GammaBetaBackwardCUDAKernelTemplateIddLj32ELj32ELj256ELb0ELb1ELb1EEEvllPKT_S5_PKT0_S8_PS3_S9_,@function
_ZN2at6native12_GLOBAL__N_135GammaBetaBackwardCUDAKernelTemplateIddLj32ELj32ELj256ELb0ELb1ELb1EEEvllPKT_S5_PKT0_S8_PS3_S9_: ; @_ZN2at6native12_GLOBAL__N_135GammaBetaBackwardCUDAKernelTemplateIddLj32ELj32ELj256ELb0ELb1ELb1EEEvllPKT_S5_PKT0_S8_PS3_S9_
; %bb.0:
	s_load_dwordx4 s[4:7], s[0:1], 0x0
	s_lshl_b32 s14, s3, 8
	s_mov_b32 s15, 0
	v_bfe_u32 v16, v0, 10, 10
	s_waitcnt lgkmcnt(0)
	v_mov_b64_e32 v[2:3], s[4:5]
	v_cmp_lt_i64_e32 vcc, s[14:15], v[2:3]
	s_cbranch_vccnz .LBB137_2
; %bb.1:
	s_mov_b64 s[8:9], 0
	s_mov_b64 s[10:11], 0
	v_bfe_u32 v2, v0, 10, 10
	s_branch .LBB137_3
.LBB137_2:
	s_mov_b64 s[8:9], -1
                                        ; implicit-def: $sgpr10_sgpr11
                                        ; implicit-def: $vgpr2
.LBB137_3:
	s_load_dwordx2 s[12:13], s[0:1], 0x30
	v_and_b32_e32 v14, 0x3ff, v0
	s_andn2_b64 vcc, exec, s[8:9]
	v_mov_b64_e32 v[4:5], s[10:11]
	v_mbcnt_lo_u32_b32 v15, -1, 0
	s_cbranch_vccnz .LBB137_11
; %bb.4:
	s_load_dword s3, s[0:1], 0x4c
	s_load_dword s16, s[0:1], 0x44
	s_load_dwordx2 s[18:19], s[0:1], 0x28
	s_load_dwordx4 s[8:11], s[0:1], 0x10
	v_mbcnt_hi_u32_b32 v6, -1, v15
	s_waitcnt lgkmcnt(0)
	s_and_b32 s0, s3, 0xffff
	v_mad_u32_u24 v1, v16, s0, v14
	v_lshlrev_b32_e32 v0, 3, v16
	v_and_b32_e32 v2, 63, v1
	v_mov_b32_e32 v1, 0
	v_lshlrev_b32_e32 v6, 2, v6
	v_mov_b32_e32 v3, v1
	v_and_b32_e32 v17, 0x100, v6
	v_lshl_add_u64 v[6:7], v[0:1], 0, s[14:15]
	v_mov_b32_e32 v5, v1
	s_lshl_b32 s16, s16, 8
	v_lshl_add_u64 v[0:1], v[6:7], 0, v[2:3]
	v_mul_lo_u32 v8, s7, v6
	v_mul_lo_u32 v9, s6, v7
	v_mad_u64_u32 v[6:7], s[20:21], s6, v6, 0
	v_lshl_add_u32 v4, s2, 5, v14
	s_mul_i32 s3, s7, s16
	s_mul_hi_u32 s20, s6, s16
	s_mov_b32 s17, 0
	v_add3_u32 v7, v7, v9, v8
	v_lshlrev_b64 v[4:5], 3, v[4:5]
	s_add_i32 s21, s20, s3
	s_mul_i32 s20, s6, s16
	v_mov_b64_e32 v[8:9], 0
	v_cmp_gt_u32_e64 s[0:1], 8, v2
	v_or_b32_e32 v18, 4, v17
	v_or_b32_e32 v19, 8, v17
	;; [unrolled: 1-line block ×7, first 2 shown]
	v_lshl_add_u64 v[2:3], v[0:1], 3, s[18:19]
	s_lshl_b64 s[18:19], s[16:17], 3
	v_lshl_add_u64 v[6:7], v[6:7], 3, v[4:5]
	s_lshl_b64 s[20:21], s[20:21], 3
	s_lshl_b64 s[6:7], s[6:7], 3
	v_mov_b64_e32 v[10:11], s[4:5]
	v_mov_b64_e32 v[4:5], v[8:9]
	s_branch .LBB137_7
.LBB137_5:                              ;   in Loop: Header=BB137_7 Depth=1
	s_or_b64 exec, exec, s[24:25]
.LBB137_6:                              ;   in Loop: Header=BB137_7 Depth=1
	s_or_b64 exec, exec, s[22:23]
	v_lshl_add_u64 v[26:27], s[8:9], 0, v[6:7]
	v_lshl_add_u64 v[30:31], s[10:11], 0, v[6:7]
	global_load_dwordx2 v[28:29], v[26:27], off
	global_load_dwordx2 v[32:33], v[30:31], off
	v_lshl_add_u64 v[26:27], v[26:27], 0, s[6:7]
	v_lshl_add_u64 v[30:31], v[30:31], 0, s[6:7]
	global_load_dwordx2 v[34:35], v[26:27], off
	global_load_dwordx2 v[36:37], v[30:31], off
	;; [unrolled: 4-line block ×7, first 2 shown]
	v_lshl_add_u64 v[26:27], v[26:27], 0, s[6:7]
	v_lshl_add_u64 v[30:31], v[30:31], 0, s[6:7]
	global_load_dwordx2 v[26:27], v[26:27], off
	s_waitcnt vmcnt(15)
	ds_bpermute_b32 v58, v17, v12
	global_load_dwordx2 v[30:31], v[30:31], off
	ds_bpermute_b32 v59, v17, v13
	s_add_u32 s14, s14, s16
	s_addc_u32 s15, s15, 0
	v_cmp_lt_i64_e32 vcc, s[14:15], v[10:11]
	v_lshl_add_u64 v[2:3], v[2:3], 0, s[18:19]
	v_lshl_add_u64 v[0:1], v[0:1], 0, s[16:17]
	;; [unrolled: 1-line block ×3, first 2 shown]
	s_and_b64 vcc, exec, vcc
	s_waitcnt vmcnt(14)
	v_mul_f64 v[28:29], v[28:29], v[32:33]
	s_waitcnt lgkmcnt(0)
	v_fmac_f64_e32 v[4:5], v[28:29], v[58:59]
	ds_bpermute_b32 v28, v18, v12
	ds_bpermute_b32 v29, v18, v13
	s_waitcnt vmcnt(12)
	v_mul_f64 v[32:33], v[34:35], v[36:37]
	s_waitcnt lgkmcnt(0)
	v_fmac_f64_e32 v[4:5], v[32:33], v[28:29]
	ds_bpermute_b32 v28, v19, v12
	ds_bpermute_b32 v29, v19, v13
	;; [unrolled: 6-line block ×5, first 2 shown]
	s_waitcnt vmcnt(4)
	v_mul_f64 v[32:33], v[50:51], v[52:53]
	s_waitcnt vmcnt(0)
	v_mul_f64 v[26:27], v[26:27], v[30:31]
	s_waitcnt lgkmcnt(0)
	v_fmac_f64_e32 v[4:5], v[32:33], v[28:29]
	ds_bpermute_b32 v28, v23, v12
	ds_bpermute_b32 v29, v23, v13
	;; [unrolled: 1-line block ×4, first 2 shown]
	v_mul_f64 v[32:33], v[54:55], v[56:57]
	s_waitcnt lgkmcnt(2)
	v_fmac_f64_e32 v[4:5], v[32:33], v[28:29]
	s_waitcnt lgkmcnt(0)
	v_fmac_f64_e32 v[4:5], v[26:27], v[12:13]
	s_cbranch_vccz .LBB137_10
.LBB137_7:                              ; =>This Inner Loop Header: Depth=1
	v_mov_b64_e32 v[12:13], v[8:9]
	s_and_saveexec_b64 s[22:23], s[0:1]
	s_cbranch_execz .LBB137_6
; %bb.8:                                ;   in Loop: Header=BB137_7 Depth=1
	v_cmp_gt_i64_e32 vcc, s[4:5], v[0:1]
	v_mov_b64_e32 v[12:13], 0
	s_and_saveexec_b64 s[24:25], vcc
	s_cbranch_execz .LBB137_5
; %bb.9:                                ;   in Loop: Header=BB137_7 Depth=1
	global_load_dwordx2 v[12:13], v[2:3], off
	s_branch .LBB137_5
.LBB137_10:
	v_mov_b32_e32 v2, v16
.LBB137_11:
	v_mad_u32_u24 v3, v2, 33, v14
	v_mov_b32_e32 v0, 0
	v_lshl_add_u32 v6, v3, 3, 0
	v_mov_b32_e32 v1, v0
	ds_write_b64 v6, v[0:1] offset:8448
	v_sub_u32_e32 v1, v3, v2
	s_movk_i32 s0, 0x800
	s_mov_b32 s3, 0
	v_cmp_gt_u32_e32 vcc, s0, v1
	ds_write_b64 v6, v[4:5]
	s_waitcnt lgkmcnt(0)
	s_barrier
	s_and_saveexec_b64 s[0:1], vcc
	s_cbranch_execz .LBB137_18
; %bb.12:
	v_mbcnt_hi_u32_b32 v2, -1, v15
	v_and_b32_e32 v4, 64, v2
	s_cmp_lg_u64 s[12:13], 0
	v_add_u32_e32 v8, 64, v4
	v_cmp_eq_u32_e64 s[0:1], 0, v14
	s_cselect_b64 s[6:7], -1, 0
	v_xor_b32_e32 v4, 16, v2
	s_and_b64 s[6:7], s[0:1], s[6:7]
	v_cmp_lt_i32_e64 s[0:1], v4, v8
	v_xor_b32_e32 v5, 8, v2
	v_xor_b32_e32 v6, 4, v2
	v_cndmask_b32_e64 v4, v2, v4, s[0:1]
	v_cmp_lt_i32_e64 s[0:1], v5, v8
	v_xor_b32_e32 v7, 2, v2
	v_xor_b32_e32 v9, 1, v2
	v_cndmask_b32_e64 v5, v2, v5, s[0:1]
	v_cmp_lt_i32_e64 s[0:1], v6, v8
	v_lshrrev_b32_e32 v3, 6, v1
	v_and_b32_e32 v1, 63, v1
	v_cndmask_b32_e64 v6, v2, v6, s[0:1]
	v_cmp_lt_i32_e64 s[0:1], v7, v8
	v_cmp_gt_u32_e32 vcc, 32, v1
	v_mul_u32_u24_e32 v1, 0x108, v1
	v_cndmask_b32_e64 v7, v2, v7, s[0:1]
	v_cmp_lt_i32_e64 s[0:1], v9, v8
	v_add_u32_e32 v10, -16, v3
	s_mov_b64 s[4:5], 0
	v_cndmask_b32_e64 v2, v2, v9, s[0:1]
	s_lshl_b64 s[0:1], s[2:3], 8
	s_add_u32 s0, s12, s0
	v_lshlrev_b32_e32 v8, 2, v2
	v_lshlrev_b32_e32 v2, 3, v3
	v_mov_b32_e32 v3, v0
	s_addc_u32 s1, s13, s1
	v_lshlrev_b32_e32 v4, 2, v4
	v_lshlrev_b32_e32 v5, 2, v5
	;; [unrolled: 1-line block ×4, first 2 shown]
	v_add3_u32 v9, v1, v2, 0
	v_lshl_add_u64 v[0:1], s[0:1], 0, v[2:3]
	s_mov_b64 s[2:3], 0x80
                                        ; implicit-def: $vgpr2_vgpr3
	s_branch .LBB137_14
.LBB137_13:                             ;   in Loop: Header=BB137_14 Depth=1
	s_or_b64 exec, exec, s[0:1]
	v_add_co_u32_e64 v10, s[0:1], 16, v10
	s_xor_b64 s[0:1], s[0:1], -1
	s_and_b64 s[0:1], exec, s[0:1]
	v_add_u32_e32 v9, 0x80, v9
	s_or_b64 s[4:5], s[0:1], s[4:5]
	v_lshl_add_u64 v[0:1], v[0:1], 0, s[2:3]
	s_andn2_b64 exec, exec, s[4:5]
	s_cbranch_execz .LBB137_18
.LBB137_14:                             ; =>This Inner Loop Header: Depth=1
	s_and_saveexec_b64 s[0:1], vcc
	s_cbranch_execz .LBB137_16
; %bb.15:                               ;   in Loop: Header=BB137_14 Depth=1
	ds_read_b64 v[2:3], v9
.LBB137_16:                             ;   in Loop: Header=BB137_14 Depth=1
	s_or_b64 exec, exec, s[0:1]
	s_waitcnt lgkmcnt(0)
	ds_bpermute_b32 v12, v4, v2
	ds_bpermute_b32 v13, v4, v3
	s_waitcnt lgkmcnt(0)
	v_add_f64 v[2:3], v[2:3], v[12:13]
	ds_bpermute_b32 v12, v5, v2
	ds_bpermute_b32 v13, v5, v3
	s_waitcnt lgkmcnt(0)
	v_add_f64 v[2:3], v[2:3], v[12:13]
	;; [unrolled: 4-line block ×5, first 2 shown]
	s_and_saveexec_b64 s[0:1], s[6:7]
	s_cbranch_execz .LBB137_13
; %bb.17:                               ;   in Loop: Header=BB137_14 Depth=1
	global_store_dwordx2 v[0:1], v[2:3], off
	s_branch .LBB137_13
.LBB137_18:
	s_endpgm
	.section	.rodata,"a",@progbits
	.p2align	6, 0x0
	.amdhsa_kernel _ZN2at6native12_GLOBAL__N_135GammaBetaBackwardCUDAKernelTemplateIddLj32ELj32ELj256ELb0ELb1ELb1EEEvllPKT_S5_PKT0_S8_PS3_S9_
		.amdhsa_group_segment_fixed_size 0
		.amdhsa_private_segment_fixed_size 0
		.amdhsa_kernarg_size 320
		.amdhsa_user_sgpr_count 2
		.amdhsa_user_sgpr_dispatch_ptr 0
		.amdhsa_user_sgpr_queue_ptr 0
		.amdhsa_user_sgpr_kernarg_segment_ptr 1
		.amdhsa_user_sgpr_dispatch_id 0
		.amdhsa_user_sgpr_kernarg_preload_length 0
		.amdhsa_user_sgpr_kernarg_preload_offset 0
		.amdhsa_user_sgpr_private_segment_size 0
		.amdhsa_uses_dynamic_stack 0
		.amdhsa_enable_private_segment 0
		.amdhsa_system_sgpr_workgroup_id_x 1
		.amdhsa_system_sgpr_workgroup_id_y 1
		.amdhsa_system_sgpr_workgroup_id_z 0
		.amdhsa_system_sgpr_workgroup_info 0
		.amdhsa_system_vgpr_workitem_id 1
		.amdhsa_next_free_vgpr 60
		.amdhsa_next_free_sgpr 26
		.amdhsa_accum_offset 60
		.amdhsa_reserve_vcc 1
		.amdhsa_float_round_mode_32 0
		.amdhsa_float_round_mode_16_64 0
		.amdhsa_float_denorm_mode_32 3
		.amdhsa_float_denorm_mode_16_64 3
		.amdhsa_dx10_clamp 1
		.amdhsa_ieee_mode 1
		.amdhsa_fp16_overflow 0
		.amdhsa_tg_split 0
		.amdhsa_exception_fp_ieee_invalid_op 0
		.amdhsa_exception_fp_denorm_src 0
		.amdhsa_exception_fp_ieee_div_zero 0
		.amdhsa_exception_fp_ieee_overflow 0
		.amdhsa_exception_fp_ieee_underflow 0
		.amdhsa_exception_fp_ieee_inexact 0
		.amdhsa_exception_int_div_zero 0
	.end_amdhsa_kernel
	.section	.text._ZN2at6native12_GLOBAL__N_135GammaBetaBackwardCUDAKernelTemplateIddLj32ELj32ELj256ELb0ELb1ELb1EEEvllPKT_S5_PKT0_S8_PS3_S9_,"axG",@progbits,_ZN2at6native12_GLOBAL__N_135GammaBetaBackwardCUDAKernelTemplateIddLj32ELj32ELj256ELb0ELb1ELb1EEEvllPKT_S5_PKT0_S8_PS3_S9_,comdat
.Lfunc_end137:
	.size	_ZN2at6native12_GLOBAL__N_135GammaBetaBackwardCUDAKernelTemplateIddLj32ELj32ELj256ELb0ELb1ELb1EEEvllPKT_S5_PKT0_S8_PS3_S9_, .Lfunc_end137-_ZN2at6native12_GLOBAL__N_135GammaBetaBackwardCUDAKernelTemplateIddLj32ELj32ELj256ELb0ELb1ELb1EEEvllPKT_S5_PKT0_S8_PS3_S9_
                                        ; -- End function
	.section	.AMDGPU.csdata,"",@progbits
; Kernel info:
; codeLenInByte = 1540
; NumSgprs: 32
; NumVgprs: 60
; NumAgprs: 0
; TotalNumVgprs: 60
; ScratchSize: 0
; MemoryBound: 0
; FloatMode: 240
; IeeeMode: 1
; LDSByteSize: 0 bytes/workgroup (compile time only)
; SGPRBlocks: 3
; VGPRBlocks: 7
; NumSGPRsForWavesPerEU: 32
; NumVGPRsForWavesPerEU: 60
; AccumOffset: 60
; Occupancy: 8
; WaveLimiterHint : 0
; COMPUTE_PGM_RSRC2:SCRATCH_EN: 0
; COMPUTE_PGM_RSRC2:USER_SGPR: 2
; COMPUTE_PGM_RSRC2:TRAP_HANDLER: 0
; COMPUTE_PGM_RSRC2:TGID_X_EN: 1
; COMPUTE_PGM_RSRC2:TGID_Y_EN: 1
; COMPUTE_PGM_RSRC2:TGID_Z_EN: 0
; COMPUTE_PGM_RSRC2:TIDIG_COMP_CNT: 1
; COMPUTE_PGM_RSRC3_GFX90A:ACCUM_OFFSET: 14
; COMPUTE_PGM_RSRC3_GFX90A:TG_SPLIT: 0
	.section	.text._ZN2at6native12_GLOBAL__N_135GammaBetaBackwardCUDAKernelTemplateIddLj32ELj32ELj256ELb0ELb0ELb1EEEvllPKT_S5_PKT0_S8_PS3_S9_,"axG",@progbits,_ZN2at6native12_GLOBAL__N_135GammaBetaBackwardCUDAKernelTemplateIddLj32ELj32ELj256ELb0ELb0ELb1EEEvllPKT_S5_PKT0_S8_PS3_S9_,comdat
	.globl	_ZN2at6native12_GLOBAL__N_135GammaBetaBackwardCUDAKernelTemplateIddLj32ELj32ELj256ELb0ELb0ELb1EEEvllPKT_S5_PKT0_S8_PS3_S9_ ; -- Begin function _ZN2at6native12_GLOBAL__N_135GammaBetaBackwardCUDAKernelTemplateIddLj32ELj32ELj256ELb0ELb0ELb1EEEvllPKT_S5_PKT0_S8_PS3_S9_
	.p2align	8
	.type	_ZN2at6native12_GLOBAL__N_135GammaBetaBackwardCUDAKernelTemplateIddLj32ELj32ELj256ELb0ELb0ELb1EEEvllPKT_S5_PKT0_S8_PS3_S9_,@function
_ZN2at6native12_GLOBAL__N_135GammaBetaBackwardCUDAKernelTemplateIddLj32ELj32ELj256ELb0ELb0ELb1EEEvllPKT_S5_PKT0_S8_PS3_S9_: ; @_ZN2at6native12_GLOBAL__N_135GammaBetaBackwardCUDAKernelTemplateIddLj32ELj32ELj256ELb0ELb0ELb1EEEvllPKT_S5_PKT0_S8_PS3_S9_
; %bb.0:
	s_load_dwordx8 s[24:31], s[0:1], 0x0
	s_load_dwordx2 s[34:35], s[0:1], 0x28
	s_lshl_b32 s33, s2, 5
	s_or_b32 s36, s33, 31
	s_mov_b32 s37, 0
	s_waitcnt lgkmcnt(0)
	v_mov_b64_e32 v[2:3], s[26:27]
	v_cmp_ge_i64_e32 vcc, s[36:37], v[2:3]
	s_lshl_b32 s36, s3, 8
	v_mov_b64_e32 v[2:3], s[24:25]
	v_cmp_lt_i64_e64 s[4:5], s[36:37], v[2:3]
	s_nop 1
	v_cndmask_b32_e64 v1, 0, 1, s[4:5]
	v_cmp_ne_u32_e64 s[4:5], 1, v1
	s_cbranch_vccz .LBB138_49
; %bb.1:
	s_and_b64 vcc, exec, s[4:5]
	v_mov_b64_e32 v[2:3], 0
	s_cbranch_vccnz .LBB138_50
; %bb.2:
	v_mov_b32_e32 v5, 0
	v_bfe_u32 v92, v0, 10, 10
	s_load_dword s3, s[0:1], 0x44
	v_lshlrev_b32_e32 v50, 3, v92
	v_mov_b32_e32 v51, v5
	v_and_b32_e32 v1, 0x3ff, v0
	v_lshl_add_u64 v[2:3], v[50:51], 0, s[36:37]
	v_add_u32_e32 v4, s33, v1
	v_lshl_add_u64 v[6:7], v[2:3], 0, 7
	s_add_u32 s38, s0, 64
	v_cmp_gt_i64_e64 s[6:7], s[26:27], v[4:5]
	v_lshlrev_b64 v[52:53], 3, v[4:5]
	v_mul_lo_u32 v4, s27, v6
	v_mul_lo_u32 v8, s26, v7
	v_mad_u64_u32 v[6:7], s[10:11], s26, v6, 0
	s_addc_u32 s39, s1, 0
	s_waitcnt lgkmcnt(0)
	s_lshl_b32 s3, s3, 8
	v_add3_u32 v7, v7, v8, v4
	v_lshlrev_b64 v[6:7], 3, v[6:7]
	s_mul_i32 s9, s27, s3
	s_mul_hi_u32 s10, s26, s3
	v_lshl_add_u64 v[54:55], s[28:29], 0, v[6:7]
	s_add_i32 s11, s10, s9
	s_mul_i32 s10, s26, s3
	v_lshl_add_u64 v[56:57], s[30:31], 0, v[6:7]
	v_lshl_add_u64 v[6:7], v[2:3], 0, 6
	s_lshl_b64 s[40:41], s[10:11], 3
	v_mul_lo_u32 v4, s27, v6
	v_mul_lo_u32 v8, s26, v7
	v_mad_u64_u32 v[6:7], s[10:11], s26, v6, 0
	v_add3_u32 v7, v7, v8, v4
	v_lshlrev_b64 v[6:7], 3, v[6:7]
	v_lshl_add_u64 v[58:59], s[28:29], 0, v[6:7]
	v_lshl_add_u64 v[60:61], s[30:31], 0, v[6:7]
	v_lshl_add_u64 v[6:7], v[2:3], 0, 5
	v_mul_lo_u32 v4, s27, v6
	v_mul_lo_u32 v8, s26, v7
	v_mad_u64_u32 v[6:7], s[10:11], s26, v6, 0
	v_add3_u32 v7, v7, v8, v4
	v_lshlrev_b64 v[6:7], 3, v[6:7]
	v_lshl_add_u64 v[62:63], s[28:29], 0, v[6:7]
	v_lshl_add_u64 v[64:65], s[30:31], 0, v[6:7]
	v_lshl_add_u64 v[6:7], v[2:3], 0, 4
	v_mul_lo_u32 v4, s27, v6
	v_mul_lo_u32 v8, s26, v7
	v_mad_u64_u32 v[6:7], s[10:11], s26, v6, 0
	v_add3_u32 v7, v7, v8, v4
	v_lshlrev_b64 v[6:7], 3, v[6:7]
	v_lshl_add_u64 v[66:67], s[28:29], 0, v[6:7]
	v_lshl_add_u64 v[68:69], s[30:31], 0, v[6:7]
	v_lshl_add_u64 v[6:7], v[2:3], 0, 3
	v_mul_lo_u32 v4, s27, v6
	v_mul_lo_u32 v8, s26, v7
	v_mad_u64_u32 v[6:7], s[10:11], s26, v6, 0
	v_add3_u32 v7, v7, v8, v4
	v_lshlrev_b64 v[6:7], 3, v[6:7]
	v_lshl_add_u64 v[70:71], s[28:29], 0, v[6:7]
	v_lshl_add_u64 v[72:73], s[30:31], 0, v[6:7]
	v_lshl_add_u64 v[6:7], v[2:3], 0, 2
	v_mul_lo_u32 v4, s27, v6
	v_mul_lo_u32 v8, s26, v7
	v_mad_u64_u32 v[6:7], s[10:11], s26, v6, 0
	v_add3_u32 v7, v7, v8, v4
	v_lshlrev_b64 v[6:7], 3, v[6:7]
	v_lshl_add_u64 v[74:75], s[28:29], 0, v[6:7]
	v_lshl_add_u64 v[76:77], s[30:31], 0, v[6:7]
	v_mov_b64_e32 v[6:7], s[26:27]
	v_mad_u64_u32 v[6:7], s[10:11], s26, v2, v[6:7]
	v_mul_lo_u32 v4, s26, v3
	v_mul_lo_u32 v8, s27, v2
	v_mad_u64_u32 v[2:3], s[10:11], s26, v2, 0
	v_add3_u32 v3, v3, v4, v8
	v_lshlrev_b64 v[2:3], 3, v[2:3]
	v_lshl_add_u64 v[82:83], s[28:29], 0, v[2:3]
	v_lshl_add_u64 v[84:85], s[30:31], 0, v[2:3]
	v_mbcnt_lo_u32_b32 v2, -1, 0
	v_add3_u32 v7, v8, v7, v4
	v_mbcnt_hi_u32_b32 v2, -1, v2
	v_lshlrev_b64 v[6:7], 3, v[6:7]
	s_add_u32 s42, s36, 0xff
	s_movk_i32 s44, 0xff01
	s_movk_i32 s46, 0xff02
	;; [unrolled: 1-line block ×8, first 2 shown]
	v_lshlrev_b32_e32 v2, 2, v2
	s_mov_b32 s8, 0
	v_lshl_add_u64 v[78:79], s[28:29], 0, v[6:7]
	v_lshl_add_u64 v[80:81], s[30:31], 0, v[6:7]
	s_addc_u32 s43, 0, 0
	v_mov_b64_e32 v[86:87], 0
	s_mov_b32 s45, -1
	s_mov_b32 s47, -1
	;; [unrolled: 1-line block ×8, first 2 shown]
	v_and_b32_e32 v93, 0x100, v2
	s_mov_b64 s[60:61], s[36:37]
.LBB138_3:                              ; =>This Inner Loop Header: Depth=1
	v_mov_b64_e32 v[2:3], s[24:25]
	v_cmp_ge_i64_e32 vcc, s[42:43], v[2:3]
	v_lshl_add_u64 v[88:89], v[50:51], 0, s[42:43]
	s_cbranch_vccz .LBB138_25
; %bb.4:                                ;   in Loop: Header=BB138_3 Depth=1
	s_load_dword s9, s[38:39], 0xc
	v_mov_b64_e32 v[90:91], 0
	s_waitcnt lgkmcnt(0)
	s_and_b32 s9, s9, 0xffff
	v_mad_u32_u24 v2, v92, s9, v1
	v_and_b32_e32 v4, 63, v2
	v_cmp_gt_u32_e32 vcc, 8, v4
	s_and_saveexec_b64 s[10:11], vcc
	s_cbranch_execz .LBB138_8
; %bb.5:                                ;   in Loop: Header=BB138_3 Depth=1
	v_lshl_add_u64 v[2:3], v[88:89], 0, v[4:5]
	v_lshl_add_u64 v[2:3], v[2:3], 0, s[44:45]
	v_cmp_gt_i64_e32 vcc, s[24:25], v[2:3]
	v_mov_b64_e32 v[90:91], 0
	s_and_saveexec_b64 s[12:13], vcc
	s_cbranch_execz .LBB138_7
; %bb.6:                                ;   in Loop: Header=BB138_3 Depth=1
	v_lshl_add_u64 v[2:3], v[2:3], 3, s[34:35]
	global_load_dwordx2 v[90:91], v[2:3], off
.LBB138_7:                              ;   in Loop: Header=BB138_3 Depth=1
	s_or_b64 exec, exec, s[12:13]
.LBB138_8:                              ;   in Loop: Header=BB138_3 Depth=1
	s_or_b64 exec, exec, s[10:11]
	s_mov_b32 s22, s8
	s_mov_b32 s23, s8
	v_lshl_add_u64 v[2:3], v[88:89], 0, s[44:45]
	s_mov_b32 s9, s8
	s_mov_b32 s10, s8
	;; [unrolled: 1-line block ×13, first 2 shown]
	v_mov_b64_e32 v[32:33], s[22:23]
	v_cmp_gt_i64_e32 vcc, s[24:25], v[2:3]
	v_mov_b64_e32 v[30:31], s[20:21]
	v_mov_b64_e32 v[28:29], s[18:19]
	;; [unrolled: 1-line block ×8, first 2 shown]
	s_and_b64 s[62:63], s[6:7], vcc
	v_mov_b64_e32 v[46:47], v[30:31]
	v_mov_b64_e32 v[44:45], v[28:29]
	v_mov_b64_e32 v[42:43], v[26:27]
	v_mov_b64_e32 v[40:41], v[24:25]
	v_mov_b64_e32 v[38:39], v[22:23]
	v_mov_b64_e32 v[36:37], v[20:21]
	v_mov_b64_e32 v[34:35], v[18:19]
	s_and_saveexec_b64 s[10:11], s[62:63]
	s_cbranch_execz .LBB138_10
; %bb.9:                                ;   in Loop: Header=BB138_3 Depth=1
	v_lshl_add_u64 v[2:3], v[82:83], 0, v[52:53]
	global_load_dwordx2 v[2:3], v[2:3], off
	v_lshl_add_u64 v[6:7], v[84:85], 0, v[52:53]
	global_load_dwordx2 v[18:19], v[6:7], off
	v_mov_b32_e32 v16, v5
	v_mov_b32_e32 v17, v5
	;; [unrolled: 1-line block ×13, first 2 shown]
	s_waitcnt vmcnt(1)
	v_mov_b64_e32 v[48:49], v[16:17]
	v_mov_b32_e32 v20, v5
	v_mov_b32_e32 v21, v5
	;; [unrolled: 1-line block ×14, first 2 shown]
	v_mov_b64_e32 v[46:47], v[14:15]
	v_mov_b64_e32 v[44:45], v[12:13]
	;; [unrolled: 1-line block ×7, first 2 shown]
.LBB138_10:                             ;   in Loop: Header=BB138_3 Depth=1
	s_or_b64 exec, exec, s[10:11]
	v_lshl_add_u64 v[2:3], v[88:89], 0, s[46:47]
	v_cmp_gt_i64_e32 vcc, s[24:25], v[2:3]
	s_and_b64 s[12:13], s[6:7], vcc
	s_and_saveexec_b64 s[10:11], s[12:13]
	s_cbranch_execz .LBB138_12
; %bb.11:                               ;   in Loop: Header=BB138_3 Depth=1
	v_lshl_add_u64 v[2:3], v[78:79], 0, v[52:53]
	global_load_dwordx2 v[36:37], v[2:3], off
	v_lshl_add_u64 v[2:3], v[80:81], 0, v[52:53]
	global_load_dwordx2 v[20:21], v[2:3], off
.LBB138_12:                             ;   in Loop: Header=BB138_3 Depth=1
	s_or_b64 exec, exec, s[10:11]
	v_lshl_add_u64 v[2:3], v[88:89], 0, s[48:49]
	v_cmp_gt_i64_e32 vcc, s[24:25], v[2:3]
	s_and_b64 s[12:13], s[6:7], vcc
	s_and_saveexec_b64 s[10:11], s[12:13]
	s_cbranch_execz .LBB138_14
; %bb.13:                               ;   in Loop: Header=BB138_3 Depth=1
	v_lshl_add_u64 v[2:3], v[74:75], 0, v[52:53]
	global_load_dwordx2 v[38:39], v[2:3], off
	v_lshl_add_u64 v[2:3], v[76:77], 0, v[52:53]
	global_load_dwordx2 v[22:23], v[2:3], off
.LBB138_14:                             ;   in Loop: Header=BB138_3 Depth=1
	;; [unrolled: 12-line block ×7, first 2 shown]
	s_or_b64 exec, exec, s[10:11]
	s_waitcnt vmcnt(0)
	ds_bpermute_b32 v2, v93, v90
	ds_bpermute_b32 v3, v93, v91
	ds_bpermute_b32 v6, v93, v90 offset:4
	ds_bpermute_b32 v7, v93, v91 offset:4
	v_mul_f64 v[8:9], v[18:19], v[34:35]
	ds_bpermute_b32 v10, v93, v90 offset:12
	s_waitcnt lgkmcnt(3)
	v_fma_f64 v[2:3], v[8:9], v[2:3], v[86:87]
	v_mul_f64 v[8:9], v[20:21], v[36:37]
	s_waitcnt lgkmcnt(1)
	v_fmac_f64_e32 v[2:3], v[8:9], v[6:7]
	ds_bpermute_b32 v6, v93, v90 offset:8
	ds_bpermute_b32 v7, v93, v91 offset:8
	;; [unrolled: 1-line block ×5, first 2 shown]
	v_mul_f64 v[8:9], v[22:23], v[38:39]
	s_waitcnt lgkmcnt(3)
	v_fmac_f64_e32 v[2:3], v[8:9], v[6:7]
	v_mul_f64 v[6:7], v[24:25], v[40:41]
	s_waitcnt lgkmcnt(2)
	v_fmac_f64_e32 v[2:3], v[6:7], v[10:11]
	v_mul_f64 v[6:7], v[26:27], v[42:43]
	ds_bpermute_b32 v8, v93, v90 offset:20
	ds_bpermute_b32 v9, v93, v91 offset:20
	s_waitcnt lgkmcnt(2)
	v_fmac_f64_e32 v[2:3], v[6:7], v[12:13]
	ds_bpermute_b32 v12, v93, v90 offset:24
	ds_bpermute_b32 v13, v93, v91 offset:24
	;; [unrolled: 1-line block ×4, first 2 shown]
	v_mul_f64 v[10:11], v[28:29], v[44:45]
	s_waitcnt lgkmcnt(4)
	v_fmac_f64_e32 v[2:3], v[10:11], v[8:9]
	v_mul_f64 v[8:9], v[30:31], v[46:47]
	s_waitcnt lgkmcnt(2)
	v_fmac_f64_e32 v[2:3], v[8:9], v[12:13]
	s_branch .LBB138_40
.LBB138_25:                             ;   in Loop: Header=BB138_3 Depth=1
                                        ; implicit-def: $vgpr2_vgpr3
                                        ; implicit-def: $vgpr18_vgpr19_vgpr20_vgpr21_vgpr22_vgpr23_vgpr24_vgpr25_vgpr26_vgpr27_vgpr28_vgpr29_vgpr30_vgpr31_vgpr32_vgpr33
                                        ; implicit-def: $vgpr34_vgpr35_vgpr36_vgpr37_vgpr38_vgpr39_vgpr40_vgpr41_vgpr42_vgpr43_vgpr44_vgpr45_vgpr46_vgpr47_vgpr48_vgpr49
                                        ; implicit-def: $vgpr6
	s_cbranch_execz .LBB138_40
; %bb.26:                               ;   in Loop: Header=BB138_3 Depth=1
	s_load_dword s9, s[38:39], 0x0
	v_mov_b64_e32 v[90:91], 0
	s_waitcnt lgkmcnt(0)
	s_cmp_lt_u32 s2, s9
	s_cselect_b32 s9, 12, 18
	s_add_u32 s10, s38, s9
	s_addc_u32 s11, s39, 0
	global_load_ushort v2, v5, s[10:11]
	s_waitcnt vmcnt(0)
	v_mad_u32_u24 v2, v92, v2, v1
	v_and_b32_e32 v4, 63, v2
	v_cmp_gt_u32_e32 vcc, 8, v4
	s_and_saveexec_b64 s[10:11], vcc
	s_cbranch_execz .LBB138_30
; %bb.27:                               ;   in Loop: Header=BB138_3 Depth=1
	v_lshl_add_u64 v[2:3], v[88:89], 0, v[4:5]
	v_lshl_add_u64 v[2:3], v[2:3], 0, s[44:45]
	v_cmp_gt_i64_e32 vcc, s[24:25], v[2:3]
	v_mov_b64_e32 v[90:91], 0
	s_and_saveexec_b64 s[12:13], vcc
	s_cbranch_execz .LBB138_29
; %bb.28:                               ;   in Loop: Header=BB138_3 Depth=1
	v_lshl_add_u64 v[2:3], v[2:3], 3, s[34:35]
	global_load_dwordx2 v[90:91], v[2:3], off
.LBB138_29:                             ;   in Loop: Header=BB138_3 Depth=1
	s_or_b64 exec, exec, s[12:13]
.LBB138_30:                             ;   in Loop: Header=BB138_3 Depth=1
	s_or_b64 exec, exec, s[10:11]
	s_mov_b32 s22, s8
	s_mov_b32 s23, s8
	;; [unrolled: 1-line block ×15, first 2 shown]
	v_mov_b64_e32 v[32:33], s[22:23]
	v_mov_b64_e32 v[30:31], s[20:21]
	;; [unrolled: 1-line block ×16, first 2 shown]
	s_and_saveexec_b64 s[10:11], s[6:7]
	s_cbranch_execnz .LBB138_42
; %bb.31:                               ;   in Loop: Header=BB138_3 Depth=1
	s_or_b64 exec, exec, s[10:11]
	s_and_saveexec_b64 s[10:11], s[6:7]
	s_cbranch_execnz .LBB138_43
.LBB138_32:                             ;   in Loop: Header=BB138_3 Depth=1
	s_or_b64 exec, exec, s[10:11]
	s_and_saveexec_b64 s[10:11], s[6:7]
	s_cbranch_execnz .LBB138_44
.LBB138_33:                             ;   in Loop: Header=BB138_3 Depth=1
	s_or_b64 exec, exec, s[10:11]
	s_and_saveexec_b64 s[10:11], s[6:7]
	s_cbranch_execnz .LBB138_45
.LBB138_34:                             ;   in Loop: Header=BB138_3 Depth=1
	s_or_b64 exec, exec, s[10:11]
	s_and_saveexec_b64 s[10:11], s[6:7]
	s_cbranch_execnz .LBB138_46
.LBB138_35:                             ;   in Loop: Header=BB138_3 Depth=1
	s_or_b64 exec, exec, s[10:11]
	s_and_saveexec_b64 s[10:11], s[6:7]
	s_cbranch_execnz .LBB138_47
.LBB138_36:                             ;   in Loop: Header=BB138_3 Depth=1
	s_or_b64 exec, exec, s[10:11]
	s_and_saveexec_b64 s[10:11], s[6:7]
	s_cbranch_execnz .LBB138_48
.LBB138_37:                             ;   in Loop: Header=BB138_3 Depth=1
	s_or_b64 exec, exec, s[10:11]
	s_and_saveexec_b64 s[10:11], s[6:7]
	s_cbranch_execz .LBB138_39
.LBB138_38:                             ;   in Loop: Header=BB138_3 Depth=1
	v_lshl_add_u64 v[2:3], v[54:55], 0, v[52:53]
	global_load_dwordx2 v[48:49], v[2:3], off
	v_lshl_add_u64 v[2:3], v[56:57], 0, v[52:53]
	global_load_dwordx2 v[32:33], v[2:3], off
.LBB138_39:                             ;   in Loop: Header=BB138_3 Depth=1
	s_or_b64 exec, exec, s[10:11]
	s_waitcnt vmcnt(0)
	ds_bpermute_b32 v2, v93, v90
	ds_bpermute_b32 v3, v93, v91
	ds_bpermute_b32 v6, v93, v90 offset:4
	ds_bpermute_b32 v7, v93, v91 offset:4
	v_mul_f64 v[8:9], v[18:19], v[34:35]
	ds_bpermute_b32 v10, v93, v90 offset:16
	s_waitcnt lgkmcnt(3)
	v_fmac_f64_e32 v[86:87], v[8:9], v[2:3]
	v_mul_f64 v[2:3], v[20:21], v[36:37]
	s_waitcnt lgkmcnt(1)
	v_fmac_f64_e32 v[86:87], v[2:3], v[6:7]
	ds_bpermute_b32 v2, v93, v90 offset:8
	ds_bpermute_b32 v3, v93, v91 offset:8
	;; [unrolled: 1-line block ×5, first 2 shown]
	v_mul_f64 v[6:7], v[22:23], v[38:39]
	s_waitcnt lgkmcnt(3)
	v_fmac_f64_e32 v[86:87], v[6:7], v[2:3]
	v_mul_f64 v[2:3], v[24:25], v[40:41]
	s_waitcnt lgkmcnt(1)
	v_fmac_f64_e32 v[86:87], v[2:3], v[8:9]
	;; [unrolled: 3-line block ×3, first 2 shown]
	ds_bpermute_b32 v2, v93, v90 offset:20
	ds_bpermute_b32 v3, v93, v91 offset:20
	;; [unrolled: 1-line block ×4, first 2 shown]
	v_mul_f64 v[8:9], v[28:29], v[44:45]
	ds_bpermute_b32 v6, v93, v90 offset:28
	s_waitcnt lgkmcnt(3)
	v_fmac_f64_e32 v[86:87], v[8:9], v[2:3]
	v_mul_f64 v[2:3], v[30:31], v[46:47]
	s_waitcnt lgkmcnt(1)
	v_fmac_f64_e32 v[86:87], v[2:3], v[10:11]
	ds_bpermute_b32 v7, v93, v91 offset:28
	v_mov_b64_e32 v[2:3], v[86:87]
.LBB138_40:                             ;   in Loop: Header=BB138_3 Depth=1
	v_mul_f64 v[8:9], v[48:49], v[32:33]
	s_add_u32 s60, s60, s3
	s_waitcnt lgkmcnt(0)
	v_fmac_f64_e32 v[2:3], v[8:9], v[6:7]
	s_addc_u32 s61, s61, 0
	v_mov_b64_e32 v[6:7], s[24:25]
	s_add_u32 s42, s42, s3
	v_cmp_lt_i64_e32 vcc, s[60:61], v[6:7]
	v_lshl_add_u64 v[54:55], v[54:55], 0, s[40:41]
	v_lshl_add_u64 v[56:57], v[56:57], 0, s[40:41]
	;; [unrolled: 1-line block ×14, first 2 shown]
	s_addc_u32 s43, s43, 0
	v_lshl_add_u64 v[82:83], v[82:83], 0, s[40:41]
	v_lshl_add_u64 v[84:85], v[84:85], 0, s[40:41]
	s_cbranch_vccz .LBB138_50
; %bb.41:                               ;   in Loop: Header=BB138_3 Depth=1
	v_mov_b64_e32 v[86:87], v[2:3]
	s_branch .LBB138_3
.LBB138_42:                             ;   in Loop: Header=BB138_3 Depth=1
	v_lshl_add_u64 v[2:3], v[82:83], 0, v[52:53]
	global_load_dwordx2 v[2:3], v[2:3], off
	v_lshl_add_u64 v[6:7], v[84:85], 0, v[52:53]
	global_load_dwordx2 v[18:19], v[6:7], off
	v_mov_b32_e32 v16, v5
	v_mov_b32_e32 v17, v5
	;; [unrolled: 1-line block ×13, first 2 shown]
	s_waitcnt vmcnt(1)
	v_mov_b64_e32 v[48:49], v[16:17]
	v_mov_b32_e32 v20, v5
	v_mov_b32_e32 v21, v5
	;; [unrolled: 1-line block ×14, first 2 shown]
	v_mov_b64_e32 v[46:47], v[14:15]
	v_mov_b64_e32 v[44:45], v[12:13]
	;; [unrolled: 1-line block ×7, first 2 shown]
	s_or_b64 exec, exec, s[10:11]
	s_and_saveexec_b64 s[10:11], s[6:7]
	s_cbranch_execz .LBB138_32
.LBB138_43:                             ;   in Loop: Header=BB138_3 Depth=1
	v_lshl_add_u64 v[2:3], v[78:79], 0, v[52:53]
	global_load_dwordx2 v[36:37], v[2:3], off
	v_lshl_add_u64 v[2:3], v[80:81], 0, v[52:53]
	global_load_dwordx2 v[20:21], v[2:3], off
	s_or_b64 exec, exec, s[10:11]
	s_and_saveexec_b64 s[10:11], s[6:7]
	s_cbranch_execz .LBB138_33
.LBB138_44:                             ;   in Loop: Header=BB138_3 Depth=1
	v_lshl_add_u64 v[2:3], v[74:75], 0, v[52:53]
	global_load_dwordx2 v[38:39], v[2:3], off
	v_lshl_add_u64 v[2:3], v[76:77], 0, v[52:53]
	global_load_dwordx2 v[22:23], v[2:3], off
	s_or_b64 exec, exec, s[10:11]
	s_and_saveexec_b64 s[10:11], s[6:7]
	s_cbranch_execz .LBB138_34
.LBB138_45:                             ;   in Loop: Header=BB138_3 Depth=1
	v_lshl_add_u64 v[2:3], v[70:71], 0, v[52:53]
	global_load_dwordx2 v[40:41], v[2:3], off
	v_lshl_add_u64 v[2:3], v[72:73], 0, v[52:53]
	global_load_dwordx2 v[24:25], v[2:3], off
	s_or_b64 exec, exec, s[10:11]
	s_and_saveexec_b64 s[10:11], s[6:7]
	s_cbranch_execz .LBB138_35
.LBB138_46:                             ;   in Loop: Header=BB138_3 Depth=1
	v_lshl_add_u64 v[2:3], v[66:67], 0, v[52:53]
	global_load_dwordx2 v[42:43], v[2:3], off
	v_lshl_add_u64 v[2:3], v[68:69], 0, v[52:53]
	global_load_dwordx2 v[26:27], v[2:3], off
	s_or_b64 exec, exec, s[10:11]
	s_and_saveexec_b64 s[10:11], s[6:7]
	s_cbranch_execz .LBB138_36
.LBB138_47:                             ;   in Loop: Header=BB138_3 Depth=1
	v_lshl_add_u64 v[2:3], v[62:63], 0, v[52:53]
	global_load_dwordx2 v[44:45], v[2:3], off
	v_lshl_add_u64 v[2:3], v[64:65], 0, v[52:53]
	global_load_dwordx2 v[28:29], v[2:3], off
	s_or_b64 exec, exec, s[10:11]
	s_and_saveexec_b64 s[10:11], s[6:7]
	s_cbranch_execz .LBB138_37
.LBB138_48:                             ;   in Loop: Header=BB138_3 Depth=1
	v_lshl_add_u64 v[2:3], v[58:59], 0, v[52:53]
	global_load_dwordx2 v[46:47], v[2:3], off
	v_lshl_add_u64 v[2:3], v[60:61], 0, v[52:53]
	global_load_dwordx2 v[30:31], v[2:3], off
	s_or_b64 exec, exec, s[10:11]
	s_and_saveexec_b64 s[10:11], s[6:7]
	s_cbranch_execnz .LBB138_38
	s_branch .LBB138_39
.LBB138_49:
                                        ; implicit-def: $vgpr2_vgpr3
	s_branch .LBB138_51
.LBB138_50:
	s_cbranch_execnz .LBB138_83
.LBB138_51:
	s_and_b64 vcc, exec, s[4:5]
	v_mov_b64_e32 v[2:3], 0
	s_cbranch_vccnz .LBB138_83
; %bb.52:
	v_and_b32_e32 v1, 0x3ff, v0
	v_add_u32_e32 v4, s33, v1
	v_mov_b32_e32 v5, 0
	v_bfe_u32 v120, v0, 10, 10
	v_lshlrev_b64 v[52:53], 3, v[4:5]
	v_lshlrev_b32_e32 v4, 6, v120
	v_lshl_add_u64 v[2:3], s[36:37], 3, v[4:5]
	v_lshl_add_u64 v[6:7], v[2:3], 0, 8
	v_mov_b64_e32 v[8:9], s[28:29]
	v_mov_b64_e32 v[18:19], s[30:31]
	v_mad_u64_u32 v[54:55], s[4:5], s26, v6, v[8:9]
	v_mul_lo_u32 v4, s26, v7
	v_mul_lo_u32 v7, s27, v6
	v_mad_u64_u32 v[64:65], s[4:5], s26, v6, v[18:19]
	v_lshlrev_b32_e32 v50, 3, v120
	v_mov_b32_e32 v51, v5
	v_add3_u32 v55, v7, v55, v4
	v_lshl_add_u64 v[10:11], v[2:3], 0, 16
	v_lshl_add_u64 v[12:13], v[2:3], 0, 24
	;; [unrolled: 1-line block ×4, first 2 shown]
	v_add3_u32 v65, v7, v65, v4
	v_lshl_add_u64 v[6:7], v[2:3], 0, 48
	v_lshl_add_u64 v[2:3], v[2:3], 0, 56
	v_mad_u64_u32 v[56:57], s[4:5], s26, v10, v[8:9]
	v_mul_lo_u32 v20, s27, v10
	v_mad_u64_u32 v[58:59], s[4:5], s26, v12, v[8:9]
	v_mad_u64_u32 v[60:61], s[4:5], s26, v14, v[8:9]
	;; [unrolled: 1-line block ×6, first 2 shown]
	v_mul_lo_u32 v3, s26, v3
	v_mul_lo_u32 v10, s27, v2
	v_lshl_add_u64 v[8:9], v[50:51], 0, s[36:37]
	v_mad_u64_u32 v[80:81], s[4:5], s26, v2, v[18:19]
	v_mul_lo_u32 v4, s26, v7
	v_mul_lo_u32 v7, s27, v6
	v_add3_u32 v73, v10, v73, v3
	v_mad_u64_u32 v[78:79], s[4:5], s26, v6, v[18:19]
	v_add3_u32 v81, v10, v81, v3
	v_lshl_add_u64 v[2:3], v[8:9], 0, 7
	v_add3_u32 v69, v7, v69, v4
	v_add3_u32 v79, v7, v79, v4
	v_mul_lo_u32 v4, s27, v2
	v_mul_lo_u32 v6, s26, v3
	v_mad_u64_u32 v[2:3], s[4:5], s26, v2, 0
	v_add3_u32 v3, v3, v6, v4
	v_lshl_add_u64 v[6:7], v[8:9], 0, 6
	v_mul_lo_u32 v11, s26, v11
	v_mul_lo_u32 v4, s27, v6
	;; [unrolled: 1-line block ×3, first 2 shown]
	v_mad_u64_u32 v[6:7], s[4:5], s26, v6, 0
	v_add3_u32 v57, v20, v57, v11
	v_add3_u32 v67, v20, v67, v11
	v_add3_u32 v7, v7, v10, v4
	v_lshl_add_u64 v[10:11], v[8:9], 0, 5
	v_mul_lo_u32 v13, s26, v13
	v_mul_lo_u32 v21, s27, v12
	v_mad_u64_u32 v[70:71], s[4:5], s26, v12, v[18:19]
	v_mul_lo_u32 v4, s27, v10
	v_mul_lo_u32 v12, s26, v11
	v_mad_u64_u32 v[10:11], s[4:5], s26, v10, 0
	v_add3_u32 v59, v21, v59, v13
	v_add3_u32 v71, v21, v71, v13
	v_add3_u32 v11, v11, v12, v4
	v_lshl_add_u64 v[12:13], v[8:9], 0, 4
	v_mul_lo_u32 v15, s26, v15
	v_mul_lo_u32 v22, s27, v14
	v_mad_u64_u32 v[74:75], s[4:5], s26, v14, v[18:19]
	v_mul_lo_u32 v4, s27, v12
	v_mul_lo_u32 v14, s26, v13
	;; [unrolled: 10-line block ×3, first 2 shown]
	v_mad_u64_u32 v[14:15], s[4:5], s26, v14, 0
	v_lshlrev_b64 v[2:3], 3, v[2:3]
	v_add3_u32 v63, v23, v63, v17
	v_add3_u32 v77, v23, v77, v17
	;; [unrolled: 1-line block ×3, first 2 shown]
	v_lshl_add_u64 v[16:17], v[8:9], 0, 2
	v_lshl_add_u64 v[86:87], s[28:29], 0, v[2:3]
	;; [unrolled: 1-line block ×3, first 2 shown]
	v_lshlrev_b64 v[2:3], 3, v[6:7]
	v_mul_lo_u32 v4, s27, v16
	v_mul_lo_u32 v18, s26, v17
	v_mad_u64_u32 v[16:17], s[4:5], s26, v16, 0
	s_load_dword s3, s[0:1], 0x44
	v_lshl_add_u64 v[90:91], s[28:29], 0, v[2:3]
	v_lshl_add_u64 v[92:93], s[30:31], 0, v[2:3]
	v_lshlrev_b64 v[2:3], 3, v[10:11]
	v_add3_u32 v17, v17, v18, v4
	v_mov_b64_e32 v[18:19], s[26:27]
	v_lshl_add_u64 v[94:95], s[28:29], 0, v[2:3]
	v_lshl_add_u64 v[96:97], s[30:31], 0, v[2:3]
	v_lshlrev_b64 v[2:3], 3, v[12:13]
	v_mad_u64_u32 v[18:19], s[4:5], s26, v8, v[18:19]
	v_mul_lo_u32 v4, s27, v8
	v_mul_lo_u32 v20, s26, v9
	v_lshl_add_u64 v[98:99], s[28:29], 0, v[2:3]
	v_lshl_add_u64 v[100:101], s[30:31], 0, v[2:3]
	v_lshlrev_b64 v[2:3], 3, v[14:15]
	v_add3_u32 v19, v4, v19, v20
	v_lshl_add_u64 v[102:103], s[28:29], 0, v[2:3]
	v_lshl_add_u64 v[104:105], s[30:31], 0, v[2:3]
	v_lshlrev_b64 v[2:3], 3, v[16:17]
	v_mad_u64_u32 v[8:9], s[4:5], s26, v8, 0
	s_add_u32 s20, s0, 64
	v_lshl_add_u64 v[106:107], s[28:29], 0, v[2:3]
	v_lshl_add_u64 v[108:109], s[30:31], 0, v[2:3]
	v_lshlrev_b64 v[2:3], 3, v[18:19]
	v_add3_u32 v9, v9, v20, v4
	s_addc_u32 s21, s1, 0
	s_waitcnt lgkmcnt(0)
	s_lshl_b32 s3, s3, 8
	v_lshl_add_u64 v[110:111], s[28:29], 0, v[2:3]
	v_lshl_add_u64 v[112:113], s[30:31], 0, v[2:3]
	v_mbcnt_lo_u32_b32 v2, -1, 0
	s_add_u32 s22, s36, 0xff
	s_mul_i32 s5, s27, s3
	s_mul_hi_u32 s6, s26, s3
	v_lshlrev_b64 v[8:9], 3, v[8:9]
	v_mbcnt_hi_u32_b32 v2, -1, v2
	s_addc_u32 s23, 0, 0
	s_add_i32 s7, s6, s5
	s_mul_i32 s6, s26, s3
	v_lshl_add_u64 v[82:83], s[28:29], 0, v[8:9]
	v_lshl_add_u64 v[84:85], s[30:31], 0, v[8:9]
	s_movk_i32 s28, 0xff01
	s_movk_i32 s30, 0xff02
	;; [unrolled: 1-line block ×8, first 2 shown]
	v_lshlrev_b32_e32 v2, 2, v2
	s_mov_b32 s4, 0
	s_lshl_b64 s[38:39], s[6:7], 3
	s_mov_b32 s29, -1
	s_mov_b32 s31, -1
	;; [unrolled: 1-line block ×8, first 2 shown]
	v_and_b32_e32 v121, 0x100, v2
	v_mov_b64_e32 v[114:115], 0
.LBB138_53:                             ; =>This Inner Loop Header: Depth=1
	v_mov_b64_e32 v[2:3], s[24:25]
	v_cmp_ge_i64_e32 vcc, s[22:23], v[2:3]
	v_lshl_add_u64 v[116:117], v[50:51], 0, s[22:23]
	s_cbranch_vccz .LBB138_75
; %bb.54:                               ;   in Loop: Header=BB138_53 Depth=1
	s_load_dword s5, s[20:21], 0xc
	v_mov_b64_e32 v[118:119], 0
	s_waitcnt lgkmcnt(0)
	s_and_b32 s5, s5, 0xffff
	v_mad_u32_u24 v2, v120, s5, v1
	v_and_b32_e32 v4, 63, v2
	v_cmp_gt_u32_e32 vcc, 8, v4
	s_and_saveexec_b64 s[6:7], vcc
	s_cbranch_execz .LBB138_58
; %bb.55:                               ;   in Loop: Header=BB138_53 Depth=1
	v_lshl_add_u64 v[2:3], v[116:117], 0, v[4:5]
	v_lshl_add_u64 v[2:3], v[2:3], 0, s[28:29]
	v_cmp_gt_i64_e32 vcc, s[24:25], v[2:3]
	v_mov_b64_e32 v[118:119], 0
	s_and_saveexec_b64 s[8:9], vcc
	s_cbranch_execz .LBB138_57
; %bb.56:                               ;   in Loop: Header=BB138_53 Depth=1
	v_lshl_add_u64 v[2:3], v[2:3], 3, s[34:35]
	global_load_dwordx2 v[118:119], v[2:3], off
.LBB138_57:                             ;   in Loop: Header=BB138_53 Depth=1
	s_or_b64 exec, exec, s[8:9]
.LBB138_58:                             ;   in Loop: Header=BB138_53 Depth=1
	s_or_b64 exec, exec, s[6:7]
	s_mov_b32 s18, s4
	s_mov_b32 s19, s4
	;; [unrolled: 1-line block ×15, first 2 shown]
	v_mov_b64_e32 v[32:33], s[18:19]
	v_lshl_add_u64 v[2:3], v[116:117], 0, s[28:29]
	v_mov_b64_e32 v[30:31], s[16:17]
	v_mov_b64_e32 v[28:29], s[14:15]
	;; [unrolled: 1-line block ×8, first 2 shown]
	v_cmp_gt_i64_e32 vcc, s[24:25], v[2:3]
	v_mov_b64_e32 v[46:47], v[30:31]
	v_mov_b64_e32 v[44:45], v[28:29]
	;; [unrolled: 1-line block ×7, first 2 shown]
	s_and_saveexec_b64 s[6:7], vcc
	s_cbranch_execz .LBB138_60
; %bb.59:                               ;   in Loop: Header=BB138_53 Depth=1
	v_lshl_add_u64 v[2:3], v[82:83], 0, v[52:53]
	global_load_dwordx2 v[2:3], v[2:3], off
	v_lshl_add_u64 v[6:7], v[84:85], 0, v[52:53]
	global_load_dwordx2 v[18:19], v[6:7], off
	v_mov_b32_e32 v16, v5
	v_mov_b32_e32 v17, v5
	;; [unrolled: 1-line block ×13, first 2 shown]
	s_waitcnt vmcnt(1)
	v_mov_b64_e32 v[48:49], v[16:17]
	v_mov_b32_e32 v20, v5
	v_mov_b32_e32 v21, v5
	;; [unrolled: 1-line block ×14, first 2 shown]
	v_mov_b64_e32 v[46:47], v[14:15]
	v_mov_b64_e32 v[44:45], v[12:13]
	;; [unrolled: 1-line block ×7, first 2 shown]
.LBB138_60:                             ;   in Loop: Header=BB138_53 Depth=1
	s_or_b64 exec, exec, s[6:7]
	v_lshl_add_u64 v[2:3], v[116:117], 0, s[30:31]
	v_cmp_gt_i64_e32 vcc, s[24:25], v[2:3]
	s_and_saveexec_b64 s[6:7], vcc
	s_cbranch_execz .LBB138_62
; %bb.61:                               ;   in Loop: Header=BB138_53 Depth=1
	v_lshl_add_u64 v[2:3], v[110:111], 0, v[52:53]
	global_load_dwordx2 v[36:37], v[2:3], off
	v_lshl_add_u64 v[2:3], v[112:113], 0, v[52:53]
	global_load_dwordx2 v[20:21], v[2:3], off
.LBB138_62:                             ;   in Loop: Header=BB138_53 Depth=1
	s_or_b64 exec, exec, s[6:7]
	v_lshl_add_u64 v[2:3], v[116:117], 0, s[40:41]
	v_cmp_gt_i64_e32 vcc, s[24:25], v[2:3]
	s_and_saveexec_b64 s[6:7], vcc
	s_cbranch_execz .LBB138_64
; %bb.63:                               ;   in Loop: Header=BB138_53 Depth=1
	v_lshl_add_u64 v[2:3], v[106:107], 0, v[52:53]
	global_load_dwordx2 v[38:39], v[2:3], off
	v_lshl_add_u64 v[2:3], v[108:109], 0, v[52:53]
	global_load_dwordx2 v[22:23], v[2:3], off
.LBB138_64:                             ;   in Loop: Header=BB138_53 Depth=1
	;; [unrolled: 11-line block ×7, first 2 shown]
	s_or_b64 exec, exec, s[6:7]
	s_waitcnt vmcnt(0)
	ds_bpermute_b32 v2, v121, v118
	ds_bpermute_b32 v3, v121, v119
	ds_bpermute_b32 v6, v121, v118 offset:4
	ds_bpermute_b32 v7, v121, v119 offset:4
	v_mul_f64 v[8:9], v[18:19], v[34:35]
	ds_bpermute_b32 v10, v121, v118 offset:12
	s_waitcnt lgkmcnt(3)
	v_fma_f64 v[2:3], v[8:9], v[2:3], v[114:115]
	v_mul_f64 v[8:9], v[20:21], v[36:37]
	s_waitcnt lgkmcnt(1)
	v_fmac_f64_e32 v[2:3], v[8:9], v[6:7]
	ds_bpermute_b32 v6, v121, v118 offset:8
	ds_bpermute_b32 v7, v121, v119 offset:8
	;; [unrolled: 1-line block ×5, first 2 shown]
	v_mul_f64 v[8:9], v[22:23], v[38:39]
	s_waitcnt lgkmcnt(3)
	v_fmac_f64_e32 v[2:3], v[8:9], v[6:7]
	v_mul_f64 v[6:7], v[24:25], v[40:41]
	s_waitcnt lgkmcnt(2)
	v_fmac_f64_e32 v[2:3], v[6:7], v[10:11]
	;; [unrolled: 3-line block ×3, first 2 shown]
	ds_bpermute_b32 v6, v121, v118 offset:20
	ds_bpermute_b32 v7, v121, v119 offset:20
	;; [unrolled: 1-line block ×6, first 2 shown]
	v_mul_f64 v[8:9], v[28:29], v[44:45]
	s_waitcnt lgkmcnt(4)
	v_fmac_f64_e32 v[2:3], v[8:9], v[6:7]
	v_mul_f64 v[6:7], v[30:31], v[46:47]
	s_waitcnt lgkmcnt(2)
	v_fmac_f64_e32 v[2:3], v[6:7], v[10:11]
	;; [unrolled: 3-line block ×3, first 2 shown]
	s_branch .LBB138_81
.LBB138_75:                             ;   in Loop: Header=BB138_53 Depth=1
                                        ; implicit-def: $vgpr2_vgpr3
	s_cbranch_execz .LBB138_81
; %bb.76:                               ;   in Loop: Header=BB138_53 Depth=1
	s_load_dword s5, s[20:21], 0x0
	s_waitcnt lgkmcnt(0)
	s_cmp_lt_u32 s2, s5
	s_cselect_b32 s5, 12, 18
	s_add_u32 s6, s20, s5
	s_addc_u32 s7, s21, 0
	global_load_ushort v2, v5, s[6:7]
	s_waitcnt vmcnt(0)
	v_mad_u32_u24 v2, v120, v2, v1
	v_and_b32_e32 v4, 63, v2
	v_cmp_gt_u32_e32 vcc, 8, v4
	v_mov_b64_e32 v[2:3], 0
	s_and_saveexec_b64 s[6:7], vcc
	s_cbranch_execz .LBB138_80
; %bb.77:                               ;   in Loop: Header=BB138_53 Depth=1
	v_lshl_add_u64 v[2:3], v[116:117], 0, v[4:5]
	v_lshl_add_u64 v[6:7], v[2:3], 0, s[28:29]
	v_cmp_gt_i64_e32 vcc, s[24:25], v[6:7]
	v_mov_b64_e32 v[2:3], 0
	s_and_saveexec_b64 s[8:9], vcc
	s_cbranch_execz .LBB138_79
; %bb.78:                               ;   in Loop: Header=BB138_53 Depth=1
	v_lshl_add_u64 v[2:3], v[6:7], 3, s[34:35]
	global_load_dwordx2 v[2:3], v[2:3], off
.LBB138_79:                             ;   in Loop: Header=BB138_53 Depth=1
	s_or_b64 exec, exec, s[8:9]
.LBB138_80:                             ;   in Loop: Header=BB138_53 Depth=1
	s_or_b64 exec, exec, s[6:7]
	v_lshl_add_u64 v[6:7], v[82:83], 0, v[52:53]
	v_lshl_add_u64 v[8:9], v[84:85], 0, v[52:53]
	global_load_dwordx2 v[6:7], v[6:7], off
	v_lshl_add_u64 v[10:11], v[54:55], 0, v[52:53]
	global_load_dwordx2 v[8:9], v[8:9], off
	;; [unrolled: 2-line block ×10, first 2 shown]
	v_lshl_add_u64 v[28:29], v[76:77], 0, v[52:53]
	v_lshl_add_u64 v[30:31], v[68:69], 0, v[52:53]
	;; [unrolled: 1-line block ×3, first 2 shown]
	global_load_dwordx2 v[26:27], v[26:27], off
	s_nop 0
	global_load_dwordx2 v[28:29], v[28:29], off
	s_nop 0
	;; [unrolled: 2-line block ×3, first 2 shown]
	global_load_dwordx2 v[32:33], v[32:33], off
	v_lshl_add_u64 v[34:35], v[72:73], 0, v[52:53]
	v_lshl_add_u64 v[36:37], v[80:81], 0, v[52:53]
	global_load_dwordx2 v[34:35], v[34:35], off
	s_nop 0
	global_load_dwordx2 v[36:37], v[36:37], off
	s_waitcnt vmcnt(16)
	ds_bpermute_b32 v38, v121, v2
	ds_bpermute_b32 v39, v121, v3
	ds_bpermute_b32 v40, v121, v2 offset:4
	ds_bpermute_b32 v41, v121, v3 offset:4
	;; [unrolled: 1-line block ×14, first 2 shown]
	s_waitcnt vmcnt(14)
	v_mul_f64 v[6:7], v[6:7], v[8:9]
	s_waitcnt lgkmcnt(14)
	v_fmac_f64_e32 v[114:115], v[6:7], v[38:39]
	s_waitcnt vmcnt(12)
	v_mul_f64 v[8:9], v[10:11], v[12:13]
	s_waitcnt lgkmcnt(12)
	v_fmac_f64_e32 v[114:115], v[8:9], v[40:41]
	;; [unrolled: 4-line block ×8, first 2 shown]
	v_mov_b64_e32 v[2:3], v[114:115]
.LBB138_81:                             ;   in Loop: Header=BB138_53 Depth=1
	s_add_u32 s36, s36, s3
	s_addc_u32 s37, s37, 0
	v_mov_b64_e32 v[6:7], s[24:25]
	s_add_u32 s22, s22, s3
	v_cmp_ge_i64_e32 vcc, s[36:37], v[6:7]
	s_addc_u32 s23, s23, 0
	v_lshl_add_u64 v[54:55], v[54:55], 0, s[38:39]
	v_lshl_add_u64 v[56:57], v[56:57], 0, s[38:39]
	;; [unrolled: 1-line block ×30, first 2 shown]
	s_cbranch_vccnz .LBB138_83
; %bb.82:                               ;   in Loop: Header=BB138_53 Depth=1
	v_mov_b64_e32 v[114:115], v[2:3]
	s_branch .LBB138_53
.LBB138_83:
	v_and_b32_e32 v1, 0x3ff, v0
	v_bfe_u32 v0, v0, 10, 10
	v_mad_u32_u24 v4, v0, 33, v1
	v_lshl_add_u32 v5, v4, 3, 0
	ds_write_b64 v5, v[2:3]
	v_mov_b32_e32 v2, 0
	v_mov_b32_e32 v3, v2
	ds_write_b64 v5, v[2:3] offset:8448
	v_sub_u32_e32 v3, v4, v0
	s_movk_i32 s4, 0x800
	s_mov_b32 s3, 0
	v_cmp_gt_u32_e32 vcc, s4, v3
	s_waitcnt lgkmcnt(0)
	s_barrier
	s_and_saveexec_b64 s[4:5], vcc
	s_cbranch_execz .LBB138_90
; %bb.84:
	v_mbcnt_lo_u32_b32 v4, -1, 0
	v_mbcnt_hi_u32_b32 v4, -1, v4
	v_lshrrev_b32_e32 v0, 6, v3
	v_and_b32_e32 v3, 63, v3
	v_and_b32_e32 v5, 64, v4
	s_load_dwordx2 s[12:13], s[0:1], 0x30
	v_cmp_gt_u32_e32 vcc, 32, v3
	v_add_u32_e32 v5, 64, v5
	v_cmp_ne_u32_e64 s[0:1], 0, v1
	v_mul_u32_u24_e32 v1, 0x108, v3
	v_xor_b32_e32 v3, 16, v4
	v_cmp_lt_i32_e64 s[4:5], v3, v5
	s_lshl_b64 s[6:7], s[2:3], 5
	s_waitcnt lgkmcnt(0)
	s_cmp_eq_u64 s[12:13], 0
	v_cndmask_b32_e64 v3, v4, v3, s[4:5]
	v_lshlrev_b32_e32 v6, 2, v3
	v_xor_b32_e32 v3, 8, v4
	v_cmp_lt_i32_e64 s[4:5], v3, v5
	s_cselect_b64 s[10:11], -1, 0
	s_lshl_b64 s[2:3], s[2:3], 8
	v_cndmask_b32_e64 v3, v4, v3, s[4:5]
	v_lshlrev_b32_e32 v7, 2, v3
	v_xor_b32_e32 v3, 4, v4
	v_cmp_lt_i32_e64 s[4:5], v3, v5
	s_add_u32 s2, s12, s2
	s_addc_u32 s3, s13, s3
	v_cndmask_b32_e64 v3, v4, v3, s[4:5]
	v_lshlrev_b32_e32 v8, 2, v3
	v_xor_b32_e32 v3, 2, v4
	v_cmp_lt_i32_e64 s[4:5], v3, v5
	s_mov_b64 s[8:9], 0
	s_nop 0
	v_cndmask_b32_e64 v3, v4, v3, s[4:5]
	v_lshlrev_b32_e32 v9, 2, v3
	v_xor_b32_e32 v3, 1, v4
	v_cmp_lt_i32_e64 s[4:5], v3, v5
	v_mov_b32_e32 v5, v2
	s_nop 0
	v_cndmask_b32_e64 v3, v4, v3, s[4:5]
	v_lshlrev_b32_e32 v4, 3, v0
	v_lshlrev_b32_e32 v10, 2, v3
	v_add3_u32 v11, v1, v4, 0
	v_mov_b32_e32 v1, v2
	v_lshl_add_u64 v[2:3], s[2:3], 0, v[4:5]
	s_mov_b64 s[4:5], 0x80
                                        ; implicit-def: $vgpr4_vgpr5
	s_branch .LBB138_86
.LBB138_85:                             ;   in Loop: Header=BB138_86 Depth=1
	s_or_b64 exec, exec, s[2:3]
	v_lshl_add_u64 v[0:1], v[0:1], 0, 16
	v_add_u32_e32 v12, -16, v0
	v_cmp_lt_u32_e64 s[2:3], 15, v12
	v_add_u32_e32 v11, 0x80, v11
	s_or_b64 s[8:9], s[2:3], s[8:9]
	v_lshl_add_u64 v[2:3], v[2:3], 0, s[4:5]
	s_andn2_b64 exec, exec, s[8:9]
	s_cbranch_execz .LBB138_90
.LBB138_86:                             ; =>This Inner Loop Header: Depth=1
	s_and_saveexec_b64 s[2:3], vcc
	s_cbranch_execz .LBB138_88
; %bb.87:                               ;   in Loop: Header=BB138_86 Depth=1
	ds_read_b64 v[4:5], v11
.LBB138_88:                             ;   in Loop: Header=BB138_86 Depth=1
	s_or_b64 exec, exec, s[2:3]
	s_waitcnt lgkmcnt(0)
	ds_bpermute_b32 v12, v6, v4
	ds_bpermute_b32 v13, v6, v5
	v_lshl_add_u64 v[14:15], s[6:7], 0, v[0:1]
	v_cmp_le_i64_e64 s[2:3], s[26:27], v[14:15]
	s_or_b64 s[2:3], s[0:1], s[2:3]
	s_or_b64 s[2:3], s[10:11], s[2:3]
	s_waitcnt lgkmcnt(0)
	v_add_f64 v[4:5], v[4:5], v[12:13]
	ds_bpermute_b32 v12, v7, v4
	ds_bpermute_b32 v13, v7, v5
	s_xor_b64 s[12:13], s[2:3], -1
	s_waitcnt lgkmcnt(0)
	v_add_f64 v[4:5], v[4:5], v[12:13]
	ds_bpermute_b32 v12, v8, v4
	ds_bpermute_b32 v13, v8, v5
	s_waitcnt lgkmcnt(0)
	v_add_f64 v[4:5], v[4:5], v[12:13]
	ds_bpermute_b32 v12, v9, v4
	ds_bpermute_b32 v13, v9, v5
	;; [unrolled: 4-line block ×3, first 2 shown]
	s_waitcnt lgkmcnt(0)
	v_add_f64 v[4:5], v[4:5], v[12:13]
	s_and_saveexec_b64 s[2:3], s[12:13]
	s_cbranch_execz .LBB138_85
; %bb.89:                               ;   in Loop: Header=BB138_86 Depth=1
	global_store_dwordx2 v[2:3], v[4:5], off
	s_branch .LBB138_85
.LBB138_90:
	s_endpgm
	.section	.rodata,"a",@progbits
	.p2align	6, 0x0
	.amdhsa_kernel _ZN2at6native12_GLOBAL__N_135GammaBetaBackwardCUDAKernelTemplateIddLj32ELj32ELj256ELb0ELb0ELb1EEEvllPKT_S5_PKT0_S8_PS3_S9_
		.amdhsa_group_segment_fixed_size 0
		.amdhsa_private_segment_fixed_size 0
		.amdhsa_kernarg_size 320
		.amdhsa_user_sgpr_count 2
		.amdhsa_user_sgpr_dispatch_ptr 0
		.amdhsa_user_sgpr_queue_ptr 0
		.amdhsa_user_sgpr_kernarg_segment_ptr 1
		.amdhsa_user_sgpr_dispatch_id 0
		.amdhsa_user_sgpr_kernarg_preload_length 0
		.amdhsa_user_sgpr_kernarg_preload_offset 0
		.amdhsa_user_sgpr_private_segment_size 0
		.amdhsa_uses_dynamic_stack 0
		.amdhsa_enable_private_segment 0
		.amdhsa_system_sgpr_workgroup_id_x 1
		.amdhsa_system_sgpr_workgroup_id_y 1
		.amdhsa_system_sgpr_workgroup_id_z 0
		.amdhsa_system_sgpr_workgroup_info 0
		.amdhsa_system_vgpr_workitem_id 1
		.amdhsa_next_free_vgpr 122
		.amdhsa_next_free_sgpr 64
		.amdhsa_accum_offset 124
		.amdhsa_reserve_vcc 1
		.amdhsa_float_round_mode_32 0
		.amdhsa_float_round_mode_16_64 0
		.amdhsa_float_denorm_mode_32 3
		.amdhsa_float_denorm_mode_16_64 3
		.amdhsa_dx10_clamp 1
		.amdhsa_ieee_mode 1
		.amdhsa_fp16_overflow 0
		.amdhsa_tg_split 0
		.amdhsa_exception_fp_ieee_invalid_op 0
		.amdhsa_exception_fp_denorm_src 0
		.amdhsa_exception_fp_ieee_div_zero 0
		.amdhsa_exception_fp_ieee_overflow 0
		.amdhsa_exception_fp_ieee_underflow 0
		.amdhsa_exception_fp_ieee_inexact 0
		.amdhsa_exception_int_div_zero 0
	.end_amdhsa_kernel
	.section	.text._ZN2at6native12_GLOBAL__N_135GammaBetaBackwardCUDAKernelTemplateIddLj32ELj32ELj256ELb0ELb0ELb1EEEvllPKT_S5_PKT0_S8_PS3_S9_,"axG",@progbits,_ZN2at6native12_GLOBAL__N_135GammaBetaBackwardCUDAKernelTemplateIddLj32ELj32ELj256ELb0ELb0ELb1EEEvllPKT_S5_PKT0_S8_PS3_S9_,comdat
.Lfunc_end138:
	.size	_ZN2at6native12_GLOBAL__N_135GammaBetaBackwardCUDAKernelTemplateIddLj32ELj32ELj256ELb0ELb0ELb1EEEvllPKT_S5_PKT0_S8_PS3_S9_, .Lfunc_end138-_ZN2at6native12_GLOBAL__N_135GammaBetaBackwardCUDAKernelTemplateIddLj32ELj32ELj256ELb0ELb0ELb1EEEvllPKT_S5_PKT0_S8_PS3_S9_
                                        ; -- End function
	.section	.AMDGPU.csdata,"",@progbits
; Kernel info:
; codeLenInByte = 6996
; NumSgprs: 70
; NumVgprs: 122
; NumAgprs: 0
; TotalNumVgprs: 122
; ScratchSize: 0
; MemoryBound: 1
; FloatMode: 240
; IeeeMode: 1
; LDSByteSize: 0 bytes/workgroup (compile time only)
; SGPRBlocks: 8
; VGPRBlocks: 15
; NumSGPRsForWavesPerEU: 70
; NumVGPRsForWavesPerEU: 122
; AccumOffset: 124
; Occupancy: 4
; WaveLimiterHint : 0
; COMPUTE_PGM_RSRC2:SCRATCH_EN: 0
; COMPUTE_PGM_RSRC2:USER_SGPR: 2
; COMPUTE_PGM_RSRC2:TRAP_HANDLER: 0
; COMPUTE_PGM_RSRC2:TGID_X_EN: 1
; COMPUTE_PGM_RSRC2:TGID_Y_EN: 1
; COMPUTE_PGM_RSRC2:TGID_Z_EN: 0
; COMPUTE_PGM_RSRC2:TIDIG_COMP_CNT: 1
; COMPUTE_PGM_RSRC3_GFX90A:ACCUM_OFFSET: 30
; COMPUTE_PGM_RSRC3_GFX90A:TG_SPLIT: 0
	.section	.text._ZN2at6native12_GLOBAL__N_118cuComputeGradInputIffLb1EEEvPKT_S5_llPKT0_S8_S5_PS3_,"axG",@progbits,_ZN2at6native12_GLOBAL__N_118cuComputeGradInputIffLb1EEEvPKT_S5_llPKT0_S8_S5_PS3_,comdat
	.globl	_ZN2at6native12_GLOBAL__N_118cuComputeGradInputIffLb1EEEvPKT_S5_llPKT0_S8_S5_PS3_ ; -- Begin function _ZN2at6native12_GLOBAL__N_118cuComputeGradInputIffLb1EEEvPKT_S5_llPKT0_S8_S5_PS3_
	.p2align	8
	.type	_ZN2at6native12_GLOBAL__N_118cuComputeGradInputIffLb1EEEvPKT_S5_llPKT0_S8_S5_PS3_,@function
_ZN2at6native12_GLOBAL__N_118cuComputeGradInputIffLb1EEEvPKT_S5_llPKT0_S8_S5_PS3_: ; @_ZN2at6native12_GLOBAL__N_118cuComputeGradInputIffLb1EEEvPKT_S5_llPKT0_S8_S5_PS3_
; %bb.0:
	s_load_dwordx4 s[16:19], s[0:1], 0x10
	s_mov_b32 s14, s3
	s_ashr_i32 s15, s3, 31
	s_waitcnt lgkmcnt(0)
	v_mov_b64_e32 v[2:3], s[16:17]
	v_cmp_ge_i64_e32 vcc, s[14:15], v[2:3]
	s_cbranch_vccnz .LBB139_49
; %bb.1:
	s_load_dword s8, s[0:1], 0x4c
	s_load_dwordx4 s[20:23], s[0:1], 0x30
	s_load_dword s33, s[0:1], 0x44
	s_load_dwordx4 s[24:27], s[0:1], 0x0
	s_load_dwordx2 s[28:29], s[0:1], 0x28
	s_waitcnt lgkmcnt(0)
	s_lshr_b32 s44, s8, 16
	s_and_b32 s45, s8, 0xffff
	s_cmp_lg_u64 s[20:21], 0
	s_cselect_b64 s[6:7], -1, 0
	s_xor_b32 s1, s18, s19
	s_flbit_i32 s0, s19
	s_ashr_i32 s1, s1, 31
	s_add_i32 s0, s0, -1
	s_add_i32 s1, s1, 32
	s_min_u32 s2, s0, s1
	s_lshl_b64 s[0:1], s[18:19], s2
	s_min_u32 s0, s0, 1
	s_or_b32 s0, s1, s0
	v_cvt_f32_i32_e32 v1, s0
	s_sub_i32 s0, 32, s2
	v_and_b32_e32 v12, 0x3ff, v0
	v_bfe_u32 v13, v0, 10, 10
	v_ldexp_f32 v15, v1, s0
	v_div_scale_f32 v1, s[0:1], v15, v15, 1.0
	v_rcp_f32_e32 v2, v1
	s_mul_i32 s30, s44, s45
	v_mad_u32_u24 v0, v13, s45, v12
	s_ashr_i32 s31, s30, 31
	v_fma_f32 v3, -v1, v2, 1.0
	v_fmac_f32_e32 v2, v3, v2
	v_div_scale_f32 v3, vcc, 1.0, v15, 1.0
	v_mul_f32_e32 v4, v3, v2
	v_fma_f32 v5, -v1, v4, v3
	v_fmac_f32_e32 v4, v5, v2
	v_fma_f32 v1, -v1, v4, v3
	v_div_fmas_f32 v1, v1, v2, v4
	v_add_u32_e32 v2, s30, v0
	v_ashrrev_i32_e32 v3, 31, v2
	v_mov_b32_e32 v4, s31
	v_subrev_co_u32_e32 v2, vcc, s30, v2
	v_mbcnt_lo_u32_b32 v6, -1, 0
	s_nop 0
	v_subb_co_u32_e32 v3, vcc, v3, v4, vcc
	v_cndmask_b32_e64 v4, 0, 1, s[6:7]
	v_cmp_gt_i64_e64 s[6:7], s[18:19], 0
	v_mbcnt_hi_u32_b32 v18, -1, v6
	v_div_fixup_f32 v17, v1, v15, 1.0
	v_mov_b32_e32 v1, 0
	v_cndmask_b32_e64 v5, 0, 1, s[6:7]
	v_and_b32_e32 v6, 64, v18
	v_lshl_add_u32 v14, v0, 3, 0
	v_cmp_eq_u32_e64 s[0:1], 0, v13
	v_cmp_ne_u32_e64 s[2:3], 0, v13
	v_lshl_add_u32 v16, v12, 3, 0
	v_cmp_gt_i64_e64 s[4:5], s[18:19], v[0:1]
	v_cmp_gt_u16_e64 s[34:35], s8, 1
	v_add_u32_e32 v19, 64, v6
	v_cmp_ne_u32_e64 s[6:7], 1, v4
	v_cmp_ne_u32_e64 s[8:9], 1, v5
	v_mov_b64_e32 v[4:5], s[18:19]
	v_mov_b64_e32 v[6:7], s[18:19]
	v_cmp_gt_u16_e64 s[36:37], s44, 1
	s_branch .LBB139_4
.LBB139_2:                              ;   in Loop: Header=BB139_4 Depth=1
	s_or_b64 exec, exec, s[12:13]
.LBB139_3:                              ;   in Loop: Header=BB139_4 Depth=1
	s_add_i32 s14, s33, s14
	s_ashr_i32 s15, s14, 31
	v_mov_b64_e32 v[8:9], s[16:17]
	v_cmp_ge_i64_e32 vcc, s[14:15], v[8:9]
	s_barrier
	s_cbranch_vccnz .LBB139_49
.LBB139_4:                              ; =>This Loop Header: Depth=1
                                        ;     Child Loop BB139_8 Depth 2
                                        ;     Child Loop BB139_20 Depth 2
                                        ;     Child Loop BB139_27 Depth 2
                                        ;     Child Loop BB139_29 Depth 2
                                        ;     Child Loop BB139_43 Depth 2
                                        ;     Child Loop BB139_48 Depth 2
	s_mul_i32 s10, s14, s19
	s_mul_hi_u32 s11, s14, s18
	s_add_i32 s10, s11, s10
	s_mul_i32 s11, s15, s18
	s_add_i32 s11, s10, s11
	s_lshl_b64 s[12:13], s[14:15], 2
	s_add_u32 s12, s28, s12
	s_mul_i32 s10, s14, s18
	s_addc_u32 s13, s29, s13
	s_load_dword s15, s[12:13], 0x0
	s_lshl_b64 s[42:43], s[10:11], 2
	s_add_u32 s38, s26, s42
	s_addc_u32 s39, s27, s43
	s_add_u32 s40, s24, s42
	s_addc_u32 s41, s25, s43
	s_and_b64 vcc, exec, s[6:7]
	s_cbranch_vccnz .LBB139_14
; %bb.5:                                ;   in Loop: Header=BB139_4 Depth=1
	s_and_b64 vcc, exec, s[8:9]
	s_cbranch_vccnz .LBB139_15
; %bb.6:                                ;   in Loop: Header=BB139_4 Depth=1
	s_mov_b32 s10, 0
	v_mov_b32_e32 v20, 0
	s_branch .LBB139_8
.LBB139_7:                              ;   in Loop: Header=BB139_8 Depth=2
	s_or_b64 exec, exec, s[12:13]
	s_add_i32 s10, s10, s30
	s_waitcnt vmcnt(0)
	v_mul_f32_e32 v8, v10, v21
	s_ashr_i32 s11, s10, 31
	v_mul_f32_e32 v8, v11, v8
	v_cmp_ge_i64_e32 vcc, s[10:11], v[4:5]
	s_waitcnt lgkmcnt(0)
	v_fmac_f32_e32 v20, s15, v8
	s_cbranch_vccnz .LBB139_16
.LBB139_8:                              ;   Parent Loop BB139_4 Depth=1
                                        ; =>  This Inner Loop Header: Depth=2
	v_add_u32_e32 v8, s10, v0
	v_ashrrev_i32_e32 v9, 31, v8
	v_cmp_gt_i64_e32 vcc, s[18:19], v[8:9]
	v_mov_b32_e32 v10, 0
	s_and_saveexec_b64 s[12:13], vcc
	s_cbranch_execz .LBB139_10
; %bb.9:                                ;   in Loop: Header=BB139_8 Depth=2
	v_lshl_add_u64 v[10:11], v[8:9], 2, s[20:21]
	global_load_dword v10, v[10:11], off
.LBB139_10:                             ;   in Loop: Header=BB139_8 Depth=2
	s_or_b64 exec, exec, s[12:13]
	v_mov_b32_e32 v21, 0
	v_mov_b32_e32 v11, 0
	s_and_saveexec_b64 s[12:13], vcc
	s_cbranch_execz .LBB139_12
; %bb.11:                               ;   in Loop: Header=BB139_8 Depth=2
	v_lshl_add_u64 v[22:23], v[8:9], 2, s[38:39]
	global_load_dword v11, v[22:23], off
.LBB139_12:                             ;   in Loop: Header=BB139_8 Depth=2
	s_or_b64 exec, exec, s[12:13]
	s_and_saveexec_b64 s[12:13], vcc
	s_cbranch_execz .LBB139_7
; %bb.13:                               ;   in Loop: Header=BB139_8 Depth=2
	v_lshl_add_u64 v[8:9], v[8:9], 2, s[40:41]
	global_load_dword v21, v[8:9], off
	s_branch .LBB139_7
.LBB139_14:                             ;   in Loop: Header=BB139_4 Depth=1
                                        ; implicit-def: $vgpr20
	s_branch .LBB139_17
.LBB139_15:                             ;   in Loop: Header=BB139_4 Depth=1
	v_mov_b32_e32 v20, 0
.LBB139_16:                             ;   in Loop: Header=BB139_4 Depth=1
	s_cbranch_execnz .LBB139_25
.LBB139_17:                             ;   in Loop: Header=BB139_4 Depth=1
	s_and_b64 vcc, exec, s[8:9]
	s_cbranch_vccnz .LBB139_24
; %bb.18:                               ;   in Loop: Header=BB139_4 Depth=1
	s_mov_b32 s10, 0
	v_mov_b32_e32 v20, 0
	s_branch .LBB139_20
.LBB139_19:                             ;   in Loop: Header=BB139_20 Depth=2
	s_or_b64 exec, exec, s[12:13]
	s_add_i32 s10, s10, s30
	s_ashr_i32 s11, s10, 31
	s_waitcnt vmcnt(0)
	v_mul_f32_e32 v8, v10, v11
	v_cmp_ge_i64_e32 vcc, s[10:11], v[6:7]
	s_waitcnt lgkmcnt(0)
	v_fmac_f32_e32 v20, s15, v8
	s_cbranch_vccnz .LBB139_25
.LBB139_20:                             ;   Parent Loop BB139_4 Depth=1
                                        ; =>  This Inner Loop Header: Depth=2
	v_add_u32_e32 v8, s10, v0
	v_ashrrev_i32_e32 v9, 31, v8
	v_cmp_gt_i64_e32 vcc, s[18:19], v[8:9]
	v_mov_b32_e32 v10, 0
	s_and_saveexec_b64 s[12:13], vcc
	s_cbranch_execz .LBB139_22
; %bb.21:                               ;   in Loop: Header=BB139_20 Depth=2
	v_lshl_add_u64 v[10:11], v[8:9], 2, s[38:39]
	global_load_dword v10, v[10:11], off
.LBB139_22:                             ;   in Loop: Header=BB139_20 Depth=2
	s_or_b64 exec, exec, s[12:13]
	v_mov_b32_e32 v11, 0
	s_and_saveexec_b64 s[12:13], vcc
	s_cbranch_execz .LBB139_19
; %bb.23:                               ;   in Loop: Header=BB139_20 Depth=2
	v_lshl_add_u64 v[8:9], v[8:9], 2, s[40:41]
	global_load_dword v11, v[8:9], off
	s_branch .LBB139_19
.LBB139_24:                             ;   in Loop: Header=BB139_4 Depth=1
	v_mov_b32_e32 v20, 0
.LBB139_25:                             ;   in Loop: Header=BB139_4 Depth=1
	s_andn2_b64 vcc, exec, s[34:35]
	s_cbranch_vccnz .LBB139_28
; %bb.26:                               ;   in Loop: Header=BB139_4 Depth=1
	s_mov_b32 s10, s45
.LBB139_27:                             ;   Parent Loop BB139_4 Depth=1
                                        ; =>  This Inner Loop Header: Depth=2
	s_lshr_b32 s11, s10, 1
	v_xor_b32_e32 v8, s11, v18
	v_cmp_lt_i32_e32 vcc, v8, v19
	s_cmp_lt_u32 s10, 4
	s_mov_b32 s10, s11
	v_cndmask_b32_e32 v8, v18, v8, vcc
	v_lshlrev_b32_e32 v8, 2, v8
	ds_bpermute_b32 v8, v8, v20
	s_waitcnt lgkmcnt(0)
	v_add_f32_e32 v20, v20, v8
	s_cbranch_scc0 .LBB139_27
.LBB139_28:                             ;   in Loop: Header=BB139_4 Depth=1
	s_andn2_b64 vcc, exec, s[36:37]
	s_mov_b32 s46, s44
	s_cbranch_vccnz .LBB139_40
.LBB139_29:                             ;   Parent Loop BB139_4 Depth=1
                                        ; =>  This Inner Loop Header: Depth=2
	s_lshr_b32 s47, s46, 1
	s_and_b32 s12, s46, 0xfffe
	v_cmp_le_u32_e64 s[10:11], s47, v13
	v_cmp_gt_u32_e64 s[12:13], s12, v13
	v_cmp_gt_u32_e32 vcc, s47, v13
	s_and_b64 s[12:13], s[10:11], s[12:13]
	s_and_saveexec_b64 s[10:11], s[12:13]
	s_cbranch_execz .LBB139_31
; %bb.30:                               ;   in Loop: Header=BB139_29 Depth=2
	v_subrev_u32_e32 v8, s47, v13
	v_mad_i32_i24 v8, v8, s45, v12
	v_lshl_add_u32 v8, v8, 3, 0
	ds_write_b32 v8, v20 offset:4
.LBB139_31:                             ;   in Loop: Header=BB139_29 Depth=2
	s_or_b64 exec, exec, s[10:11]
	s_waitcnt lgkmcnt(0)
	s_barrier
	s_and_saveexec_b64 s[10:11], vcc
	s_cbranch_execz .LBB139_33
; %bb.32:                               ;   in Loop: Header=BB139_29 Depth=2
	ds_read_b32 v8, v14 offset:4
	s_waitcnt lgkmcnt(0)
	v_add_f32_e32 v20, v20, v8
.LBB139_33:                             ;   in Loop: Header=BB139_29 Depth=2
	s_or_b64 exec, exec, s[10:11]
	s_cmp_lt_u32 s46, 4
	s_barrier
	s_cbranch_scc1 .LBB139_35
; %bb.34:                               ;   in Loop: Header=BB139_29 Depth=2
	s_mov_b32 s46, s47
	s_branch .LBB139_29
.LBB139_35:                             ;   in Loop: Header=BB139_4 Depth=1
	s_and_saveexec_b64 s[10:11], s[0:1]
	s_cbranch_execz .LBB139_37
; %bb.36:                               ;   in Loop: Header=BB139_4 Depth=1
	ds_write_b32 v16, v20 offset:4
.LBB139_37:                             ;   in Loop: Header=BB139_4 Depth=1
	s_or_b64 exec, exec, s[10:11]
	s_waitcnt lgkmcnt(0)
	s_barrier
	s_and_saveexec_b64 s[10:11], s[2:3]
	s_cbranch_execz .LBB139_39
; %bb.38:                               ;   in Loop: Header=BB139_4 Depth=1
	ds_read_b32 v20, v16 offset:4
.LBB139_39:                             ;   in Loop: Header=BB139_4 Depth=1
	s_or_b64 exec, exec, s[10:11]
.LBB139_40:                             ;   in Loop: Header=BB139_4 Depth=1
	s_add_u32 s10, s22, s42
	s_addc_u32 s11, s23, s43
	s_and_b64 vcc, exec, s[6:7]
	s_waitcnt lgkmcnt(0)
	v_mul_f32_e32 v21, s15, v17
	s_cbranch_vccnz .LBB139_45
; %bb.41:                               ;   in Loop: Header=BB139_4 Depth=1
	s_and_saveexec_b64 s[12:13], s[4:5]
	s_cbranch_execz .LBB139_44
; %bb.42:                               ;   in Loop: Header=BB139_4 Depth=1
	s_mov_b64 s[42:43], 0
	v_mov_b64_e32 v[8:9], v[2:3]
	v_mov_b64_e32 v[10:11], v[0:1]
.LBB139_43:                             ;   Parent Loop BB139_4 Depth=1
                                        ; =>  This Inner Loop Header: Depth=2
	v_lshlrev_b64 v[10:11], 2, v[10:11]
	v_lshl_add_u64 v[22:23], s[38:39], 0, v[10:11]
	v_lshl_add_u64 v[24:25], s[40:41], 0, v[10:11]
	;; [unrolled: 1-line block ×3, first 2 shown]
	global_load_dword v28, v[22:23], off
	global_load_dword v29, v[24:25], off
	;; [unrolled: 1-line block ×3, first 2 shown]
	v_lshl_add_u64 v[8:9], v[8:9], 0, s[30:31]
	v_cmp_le_i64_e32 vcc, s[18:19], v[8:9]
	v_lshl_add_u64 v[22:23], s[10:11], 0, v[10:11]
	v_ashrrev_i32_e32 v11, 31, v8
	v_mov_b32_e32 v10, v8
	s_or_b64 s[42:43], vcc, s[42:43]
	s_waitcnt vmcnt(2)
	v_mul_f32_e32 v25, s15, v28
	s_waitcnt vmcnt(1)
	v_mul_f32_e32 v24, v29, v15
	v_mul_f32_e32 v25, v20, v25
	s_waitcnt vmcnt(0)
	v_fma_f32 v24, v24, v30, -v25
	v_mul_f32_e32 v24, v21, v24
	global_store_dword v[22:23], v24, off
	s_andn2_b64 exec, exec, s[42:43]
	s_cbranch_execnz .LBB139_43
.LBB139_44:                             ;   in Loop: Header=BB139_4 Depth=1
	s_or_b64 exec, exec, s[12:13]
	s_cbranch_execnz .LBB139_3
	s_branch .LBB139_46
.LBB139_45:                             ;   in Loop: Header=BB139_4 Depth=1
.LBB139_46:                             ;   in Loop: Header=BB139_4 Depth=1
	s_and_saveexec_b64 s[12:13], s[4:5]
	s_cbranch_execz .LBB139_2
; %bb.47:                               ;   in Loop: Header=BB139_4 Depth=1
	s_mov_b64 s[42:43], 0
	v_mov_b64_e32 v[8:9], v[2:3]
	v_mov_b64_e32 v[10:11], v[0:1]
.LBB139_48:                             ;   Parent Loop BB139_4 Depth=1
                                        ; =>  This Inner Loop Header: Depth=2
	v_lshlrev_b64 v[10:11], 2, v[10:11]
	v_lshl_add_u64 v[22:23], s[38:39], 0, v[10:11]
	global_load_dword v24, v[22:23], off
	v_lshl_add_u64 v[22:23], s[40:41], 0, v[10:11]
	global_load_dword v25, v[22:23], off
	v_lshl_add_u64 v[8:9], v[8:9], 0, s[30:31]
	v_cmp_le_i64_e32 vcc, s[18:19], v[8:9]
	v_lshl_add_u64 v[22:23], s[10:11], 0, v[10:11]
	v_ashrrev_i32_e32 v11, 31, v8
	v_mov_b32_e32 v10, v8
	s_or_b64 s[42:43], vcc, s[42:43]
	s_waitcnt vmcnt(1)
	v_mul_f32_e32 v24, s15, v24
	v_mul_f32_e32 v24, v20, v24
	s_waitcnt vmcnt(0)
	v_fma_f32 v24, v25, v15, -v24
	v_mul_f32_e32 v24, v21, v24
	global_store_dword v[22:23], v24, off
	s_andn2_b64 exec, exec, s[42:43]
	s_cbranch_execnz .LBB139_48
	s_branch .LBB139_2
.LBB139_49:
	s_endpgm
	.section	.rodata,"a",@progbits
	.p2align	6, 0x0
	.amdhsa_kernel _ZN2at6native12_GLOBAL__N_118cuComputeGradInputIffLb1EEEvPKT_S5_llPKT0_S8_S5_PS3_
		.amdhsa_group_segment_fixed_size 0
		.amdhsa_private_segment_fixed_size 0
		.amdhsa_kernarg_size 320
		.amdhsa_user_sgpr_count 2
		.amdhsa_user_sgpr_dispatch_ptr 0
		.amdhsa_user_sgpr_queue_ptr 0
		.amdhsa_user_sgpr_kernarg_segment_ptr 1
		.amdhsa_user_sgpr_dispatch_id 0
		.amdhsa_user_sgpr_kernarg_preload_length 0
		.amdhsa_user_sgpr_kernarg_preload_offset 0
		.amdhsa_user_sgpr_private_segment_size 0
		.amdhsa_uses_dynamic_stack 0
		.amdhsa_enable_private_segment 0
		.amdhsa_system_sgpr_workgroup_id_x 1
		.amdhsa_system_sgpr_workgroup_id_y 1
		.amdhsa_system_sgpr_workgroup_id_z 0
		.amdhsa_system_sgpr_workgroup_info 0
		.amdhsa_system_vgpr_workitem_id 1
		.amdhsa_next_free_vgpr 31
		.amdhsa_next_free_sgpr 48
		.amdhsa_accum_offset 32
		.amdhsa_reserve_vcc 1
		.amdhsa_float_round_mode_32 0
		.amdhsa_float_round_mode_16_64 0
		.amdhsa_float_denorm_mode_32 3
		.amdhsa_float_denorm_mode_16_64 3
		.amdhsa_dx10_clamp 1
		.amdhsa_ieee_mode 1
		.amdhsa_fp16_overflow 0
		.amdhsa_tg_split 0
		.amdhsa_exception_fp_ieee_invalid_op 0
		.amdhsa_exception_fp_denorm_src 0
		.amdhsa_exception_fp_ieee_div_zero 0
		.amdhsa_exception_fp_ieee_overflow 0
		.amdhsa_exception_fp_ieee_underflow 0
		.amdhsa_exception_fp_ieee_inexact 0
		.amdhsa_exception_int_div_zero 0
	.end_amdhsa_kernel
	.section	.text._ZN2at6native12_GLOBAL__N_118cuComputeGradInputIffLb1EEEvPKT_S5_llPKT0_S8_S5_PS3_,"axG",@progbits,_ZN2at6native12_GLOBAL__N_118cuComputeGradInputIffLb1EEEvPKT_S5_llPKT0_S8_S5_PS3_,comdat
.Lfunc_end139:
	.size	_ZN2at6native12_GLOBAL__N_118cuComputeGradInputIffLb1EEEvPKT_S5_llPKT0_S8_S5_PS3_, .Lfunc_end139-_ZN2at6native12_GLOBAL__N_118cuComputeGradInputIffLb1EEEvPKT_S5_llPKT0_S8_S5_PS3_
                                        ; -- End function
	.section	.AMDGPU.csdata,"",@progbits
; Kernel info:
; codeLenInByte = 1420
; NumSgprs: 54
; NumVgprs: 31
; NumAgprs: 0
; TotalNumVgprs: 31
; ScratchSize: 0
; MemoryBound: 0
; FloatMode: 240
; IeeeMode: 1
; LDSByteSize: 0 bytes/workgroup (compile time only)
; SGPRBlocks: 6
; VGPRBlocks: 3
; NumSGPRsForWavesPerEU: 54
; NumVGPRsForWavesPerEU: 31
; AccumOffset: 32
; Occupancy: 8
; WaveLimiterHint : 0
; COMPUTE_PGM_RSRC2:SCRATCH_EN: 0
; COMPUTE_PGM_RSRC2:USER_SGPR: 2
; COMPUTE_PGM_RSRC2:TRAP_HANDLER: 0
; COMPUTE_PGM_RSRC2:TGID_X_EN: 1
; COMPUTE_PGM_RSRC2:TGID_Y_EN: 1
; COMPUTE_PGM_RSRC2:TGID_Z_EN: 0
; COMPUTE_PGM_RSRC2:TIDIG_COMP_CNT: 1
; COMPUTE_PGM_RSRC3_GFX90A:ACCUM_OFFSET: 7
; COMPUTE_PGM_RSRC3_GFX90A:TG_SPLIT: 0
	.section	.text._ZN2at6native12_GLOBAL__N_128layer_norm_grad_input_kernelIffLb1EEEvPKT_S5_PKT0_S8_S5_PS3_i,"axG",@progbits,_ZN2at6native12_GLOBAL__N_128layer_norm_grad_input_kernelIffLb1EEEvPKT_S5_PKT0_S8_S5_PS3_i,comdat
	.globl	_ZN2at6native12_GLOBAL__N_128layer_norm_grad_input_kernelIffLb1EEEvPKT_S5_PKT0_S8_S5_PS3_i ; -- Begin function _ZN2at6native12_GLOBAL__N_128layer_norm_grad_input_kernelIffLb1EEEvPKT_S5_PKT0_S8_S5_PS3_i
	.p2align	8
	.type	_ZN2at6native12_GLOBAL__N_128layer_norm_grad_input_kernelIffLb1EEEvPKT_S5_PKT0_S8_S5_PS3_i,@function
_ZN2at6native12_GLOBAL__N_128layer_norm_grad_input_kernelIffLb1EEEvPKT_S5_PKT0_S8_S5_PS3_i: ; @_ZN2at6native12_GLOBAL__N_128layer_norm_grad_input_kernelIffLb1EEEvPKT_S5_PKT0_S8_S5_PS3_i
; %bb.0:
	s_load_dword s30, s[0:1], 0x30
	s_load_dwordx4 s[8:11], s[0:1], 0x0
	s_load_dwordx4 s[4:7], s[0:1], 0x18
	s_mov_b32 s3, 0
	v_lshlrev_b32_e32 v2, 2, v0
	s_waitcnt lgkmcnt(0)
	s_ashr_i32 s12, s30, 31
	s_mul_hi_u32 s13, s30, s2
	s_mul_i32 s12, s12, s2
	s_add_i32 s17, s13, s12
	s_mul_i32 s16, s30, s2
	s_lshl_b64 s[2:3], s[2:3], 2
	s_add_u32 s2, s4, s2
	s_addc_u32 s3, s5, s3
	s_load_dword s31, s[2:3], 0x0
	s_lshl_b64 s[14:15], s[16:17], 2
	s_add_u32 s4, s10, s14
	s_addc_u32 s5, s11, s15
	s_add_u32 s12, s8, s14
	v_or_b32_e32 v1, 3, v2
	s_addc_u32 s13, s9, s15
	v_cmp_gt_u32_e32 vcc, s30, v1
	v_mov_b32_e32 v1, 0
	s_and_saveexec_b64 s[18:19], vcc
	s_cbranch_execz .LBB140_12
; %bb.1:
	s_load_dword s2, s[0:1], 0x44
	s_cmp_lg_u64 s[6:7], 0
	s_cselect_b64 s[22:23], -1, 0
	v_cndmask_b32_e64 v1, 0, 1, s[22:23]
	s_mov_b64 s[20:21], 0
	s_waitcnt lgkmcnt(0)
	s_and_b32 s2, s2, 0xffff
	s_lshl_b32 s33, s2, 2
	s_add_u32 s24, s6, 4
	s_addc_u32 s25, s7, 0
	s_add_u32 s26, s6, 8
	s_addc_u32 s27, s7, 0
	s_add_u32 s28, s6, 12
	v_mov_b32_e32 v3, 0
	s_addc_u32 s29, s7, 0
	v_cmp_ne_u32_e64 s[2:3], 1, v1
	v_mov_b32_e32 v1, 0
	s_branch .LBB140_3
.LBB140_2:                              ;   in Loop: Header=BB140_3 Depth=1
	global_load_dword v18, v[6:7], off offset:12
	global_load_dword v19, v[4:5], off offset:12
	s_waitcnt vmcnt(6)
	v_mul_f32_e32 v4, v9, v12
	s_waitcnt vmcnt(4)
	v_mul_f32_e32 v5, v8, v14
	v_mul_f32_e32 v4, v10, v4
	s_waitcnt vmcnt(2)
	v_mul_f32_e32 v6, v16, v17
	v_add_u32_e32 v2, s33, v2
	v_mul_f32_e32 v5, v13, v5
	v_fmac_f32_e32 v1, s31, v4
	v_mul_f32_e32 v6, v15, v6
	v_add_u32_e32 v7, 3, v2
	v_fmac_f32_e32 v1, s31, v5
	v_cmp_le_u32_e32 vcc, s30, v7
	v_fmac_f32_e32 v1, s31, v6
	s_or_b64 s[20:21], vcc, s[20:21]
	s_waitcnt vmcnt(1)
	v_mul_f32_e32 v4, v11, v18
	s_waitcnt vmcnt(0)
	v_mul_f32_e32 v4, v19, v4
	v_fmac_f32_e32 v1, s31, v4
	s_andn2_b64 exec, exec, s[20:21]
	s_cbranch_execz .LBB140_11
.LBB140_3:                              ; =>This Inner Loop Header: Depth=1
	s_and_b64 vcc, exec, s[22:23]
	v_mov_b32_e32 v8, 1.0
	v_mov_b32_e32 v9, 1.0
	s_cbranch_vccz .LBB140_5
; %bb.4:                                ;   in Loop: Header=BB140_3 Depth=1
	v_lshl_add_u64 v[4:5], v[2:3], 2, s[6:7]
	global_load_dword v9, v[4:5], off
.LBB140_5:                              ;   in Loop: Header=BB140_3 Depth=1
	v_lshlrev_b64 v[6:7], 2, v[2:3]
	v_lshl_add_u64 v[4:5], s[4:5], 0, v[6:7]
	v_lshl_add_u64 v[6:7], s[12:13], 0, v[6:7]
	global_load_dword v10, v[4:5], off
	global_load_dword v12, v[6:7], off
	s_and_b64 vcc, exec, s[2:3]
	s_cbranch_vccnz .LBB140_7
; %bb.6:                                ;   in Loop: Header=BB140_3 Depth=1
	v_lshl_add_u64 v[14:15], v[2:3], 2, s[24:25]
	global_load_dword v8, v[14:15], off
.LBB140_7:                              ;   in Loop: Header=BB140_3 Depth=1
	global_load_dword v13, v[4:5], off offset:4
	s_nop 0
	global_load_dword v14, v[6:7], off offset:4
	s_and_b64 vcc, exec, s[2:3]
	v_mov_b32_e32 v11, 1.0
	v_mov_b32_e32 v16, 1.0
	s_cbranch_vccnz .LBB140_9
; %bb.8:                                ;   in Loop: Header=BB140_3 Depth=1
	v_lshl_add_u64 v[16:17], v[2:3], 2, s[26:27]
	global_load_dword v16, v[16:17], off
.LBB140_9:                              ;   in Loop: Header=BB140_3 Depth=1
	s_nop 0
	global_load_dword v15, v[4:5], off offset:8
	global_load_dword v17, v[6:7], off offset:8
	s_and_b64 vcc, exec, s[2:3]
	s_cbranch_vccnz .LBB140_2
; %bb.10:                               ;   in Loop: Header=BB140_3 Depth=1
	v_lshl_add_u64 v[18:19], v[2:3], 2, s[28:29]
	global_load_dword v11, v[18:19], off
	s_branch .LBB140_2
.LBB140_11:
	s_or_b64 exec, exec, s[20:21]
.LBB140_12:
	s_or_b64 exec, exec, s[18:19]
	v_cmp_gt_u32_e32 vcc, s30, v2
	s_and_saveexec_b64 s[18:19], vcc
	s_cbranch_execz .LBB140_19
; %bb.13:
	s_cmp_lg_u64 s[6:7], 0
	v_mov_b32_e32 v3, 0
	v_lshlrev_b64 v[6:7], 2, v[2:3]
	s_cselect_b64 s[2:3], -1, 0
	v_lshl_add_u64 v[8:9], s[16:17], 2, v[6:7]
	v_cndmask_b32_e64 v3, 0, 1, s[2:3]
	s_mov_b64 s[20:21], 0
	v_lshl_add_u64 v[4:5], s[6:7], 0, v[6:7]
	v_lshl_add_u64 v[6:7], s[10:11], 0, v[8:9]
	;; [unrolled: 1-line block ×3, first 2 shown]
	v_cmp_ne_u32_e64 s[2:3], 1, v3
	s_branch .LBB140_16
.LBB140_14:                             ;   in Loop: Header=BB140_16 Depth=1
	global_load_dword v3, v[4:5], off
.LBB140_15:                             ;   in Loop: Header=BB140_16 Depth=1
	global_load_dword v10, v[8:9], off
	global_load_dword v11, v[6:7], off
	v_add_u32_e32 v2, 1, v2
	v_cmp_le_u32_e32 vcc, s30, v2
	v_lshl_add_u64 v[4:5], v[4:5], 0, 4
	v_lshl_add_u64 v[6:7], v[6:7], 0, 4
	s_or_b64 s[20:21], vcc, s[20:21]
	v_lshl_add_u64 v[8:9], v[8:9], 0, 4
	s_waitcnt vmcnt(1)
	v_mul_f32_e32 v3, v3, v10
	s_waitcnt vmcnt(0)
	v_mul_f32_e32 v3, v11, v3
	s_waitcnt lgkmcnt(0)
	v_fmac_f32_e32 v1, s31, v3
	s_andn2_b64 exec, exec, s[20:21]
	s_cbranch_execz .LBB140_18
.LBB140_16:                             ; =>This Inner Loop Header: Depth=1
	s_and_b64 vcc, exec, s[2:3]
	s_cbranch_vccz .LBB140_14
; %bb.17:                               ;   in Loop: Header=BB140_16 Depth=1
	v_mov_b32_e32 v3, 1.0
	s_branch .LBB140_15
.LBB140_18:
	s_or_b64 exec, exec, s[20:21]
.LBB140_19:
	s_or_b64 exec, exec, s[18:19]
	v_mbcnt_lo_u32_b32 v2, -1, 0
	v_mbcnt_hi_u32_b32 v6, -1, v2
	v_and_b32_e32 v9, 63, v6
	v_cmp_gt_u32_e32 vcc, 32, v9
	s_waitcnt lgkmcnt(0)
	s_barrier
	v_cndmask_b32_e64 v2, 0, 1, vcc
	v_lshlrev_b32_e32 v2, 5, v2
	v_add_lshl_u32 v2, v2, v6, 2
	ds_bpermute_b32 v3, v2, v1
	v_cmp_gt_u32_e32 vcc, 48, v9
	s_waitcnt lgkmcnt(0)
	v_add_f32_e32 v3, v1, v3
	v_cndmask_b32_e64 v4, 0, 1, vcc
	v_lshlrev_b32_e32 v4, 4, v4
	v_add_lshl_u32 v1, v4, v6, 2
	ds_bpermute_b32 v4, v1, v3
	v_cmp_gt_u32_e32 vcc, 56, v9
	s_waitcnt lgkmcnt(0)
	v_add_f32_e32 v4, v3, v4
	;; [unrolled: 7-line block ×4, first 2 shown]
	v_cndmask_b32_e64 v8, 0, 1, vcc
	v_lshlrev_b32_e32 v8, 1, v8
	v_add_lshl_u32 v5, v8, v6, 2
	ds_bpermute_b32 v8, v5, v10
	v_cmp_ne_u32_e32 vcc, 63, v9
	v_and_b32_e32 v7, 63, v0
	s_waitcnt lgkmcnt(0)
	v_add_f32_e32 v8, v10, v8
	v_addc_co_u32_e32 v6, vcc, 0, v6, vcc
	v_lshlrev_b32_e32 v6, 2, v6
	ds_bpermute_b32 v9, v6, v8
	v_cmp_eq_u32_e32 vcc, 0, v7
	s_and_saveexec_b64 s[2:3], vcc
	s_cbranch_execz .LBB140_21
; %bb.20:
	v_lshrrev_b32_e32 v10, 4, v0
	v_add_u32_e32 v10, 0, v10
	s_waitcnt lgkmcnt(0)
	v_add_f32_e32 v8, v8, v9
	ds_write_b32 v10, v8
.LBB140_21:
	s_or_b64 exec, exec, s[2:3]
	s_waitcnt lgkmcnt(0)
	s_barrier
	s_load_dword s8, s[0:1], 0x44
	v_mov_b32_e32 v8, 0
	s_waitcnt lgkmcnt(0)
	s_bfe_u32 s2, s8, 0xa0006
	v_cmp_gt_u32_e32 vcc, s2, v0
	s_and_saveexec_b64 s[2:3], vcc
	s_cbranch_execnz .LBB140_32
; %bb.22:
	s_or_b64 exec, exec, s[2:3]
	v_cmp_gt_u32_e32 vcc, 64, v0
	s_and_saveexec_b64 s[2:3], vcc
	s_cbranch_execnz .LBB140_33
.LBB140_23:
	s_or_b64 exec, exec, s[2:3]
	v_cmp_eq_u32_e32 vcc, 0, v0
	s_and_saveexec_b64 s[2:3], vcc
	s_cbranch_execz .LBB140_25
.LBB140_24:
	v_mov_b32_e32 v1, 0
	s_waitcnt lgkmcnt(0)
	ds_write_b32 v1, v8 offset:4
.LBB140_25:
	s_or_b64 exec, exec, s[2:3]
	v_cmp_gt_i32_e32 vcc, s30, v0
	s_waitcnt lgkmcnt(0)
	s_barrier
	s_and_saveexec_b64 s[2:3], vcc
	s_cbranch_execz .LBB140_31
; %bb.26:
	v_cvt_f32_i32_e32 v2, s30
	s_load_dwordx2 s[0:1], s[0:1], 0x28
	v_mov_b32_e32 v1, 0
	ds_read_b32 v3, v1 offset:4
	v_div_scale_f32 v4, s[2:3], v2, v2, 1.0
	v_rcp_f32_e32 v5, v4
	v_div_scale_f32 v1, vcc, 1.0, v2, 1.0
	s_and_b32 s10, s8, 0xffff
	v_fma_f32 v6, -v4, v5, 1.0
	v_fmac_f32_e32 v5, v6, v5
	v_mul_f32_e32 v6, v1, v5
	v_fma_f32 v7, -v4, v6, v1
	v_fmac_f32_e32 v6, v7, v5
	s_waitcnt lgkmcnt(0)
	s_add_u32 s2, s0, s14
	v_fma_f32 v1, -v4, v6, v1
	s_addc_u32 s3, s1, s15
	v_div_fmas_f32 v1, v1, v5, v6
	s_cmp_lg_u64 s[6:7], 0
	v_div_fixup_f32 v1, v1, v2, 1.0
	s_cselect_b64 s[0:1], -1, 0
	v_mul_f32_e32 v4, s31, v1
	v_cndmask_b32_e64 v1, 0, 1, s[0:1]
	s_mov_b64 s[8:9], 0
	v_cmp_ne_u32_e64 s[0:1], 1, v1
	s_branch .LBB140_29
.LBB140_27:                             ;   in Loop: Header=BB140_29 Depth=1
	v_lshl_add_u64 v[8:9], v[0:1], 2, s[6:7]
	global_load_dword v7, v[8:9], off
.LBB140_28:                             ;   in Loop: Header=BB140_29 Depth=1
	s_waitcnt vmcnt(1)
	v_mul_f32_e32 v5, s31, v5
	s_waitcnt vmcnt(0)
	v_mul_f32_e32 v7, v7, v2
	v_mul_f32_e32 v5, v3, v5
	v_fma_f32 v5, v6, v7, -v5
	v_lshl_add_u64 v[6:7], v[0:1], 2, s[2:3]
	v_add_u32_e32 v0, s10, v0
	v_cmp_le_i32_e32 vcc, s30, v0
	v_mul_f32_e32 v5, v4, v5
	s_or_b64 s[8:9], vcc, s[8:9]
	global_store_dword v[6:7], v5, off
	s_andn2_b64 exec, exec, s[8:9]
	s_cbranch_execz .LBB140_31
.LBB140_29:                             ; =>This Inner Loop Header: Depth=1
	v_ashrrev_i32_e32 v1, 31, v0
	v_lshlrev_b64 v[6:7], 2, v[0:1]
	v_lshl_add_u64 v[8:9], s[4:5], 0, v[6:7]
	v_lshl_add_u64 v[6:7], s[12:13], 0, v[6:7]
	global_load_dword v5, v[8:9], off
	s_and_b64 vcc, exec, s[0:1]
	global_load_dword v6, v[6:7], off
	s_cbranch_vccz .LBB140_27
; %bb.30:                               ;   in Loop: Header=BB140_29 Depth=1
	v_mov_b32_e32 v7, 1.0
	s_branch .LBB140_28
.LBB140_31:
	s_endpgm
.LBB140_32:
	v_lshl_add_u32 v7, v7, 2, 0
	ds_read_b32 v8, v7
	s_or_b64 exec, exec, s[2:3]
	v_cmp_gt_u32_e32 vcc, 64, v0
	s_and_saveexec_b64 s[2:3], vcc
	s_cbranch_execz .LBB140_23
.LBB140_33:
	s_waitcnt lgkmcnt(0)
	ds_bpermute_b32 v2, v2, v8
	s_waitcnt lgkmcnt(0)
	v_add_f32_e32 v2, v8, v2
	ds_bpermute_b32 v1, v1, v2
	s_waitcnt lgkmcnt(0)
	v_add_f32_e32 v1, v2, v1
	;; [unrolled: 3-line block ×6, first 2 shown]
	s_or_b64 exec, exec, s[2:3]
	v_cmp_eq_u32_e32 vcc, 0, v0
	s_and_saveexec_b64 s[2:3], vcc
	s_cbranch_execnz .LBB140_24
	s_branch .LBB140_25
	.section	.rodata,"a",@progbits
	.p2align	6, 0x0
	.amdhsa_kernel _ZN2at6native12_GLOBAL__N_128layer_norm_grad_input_kernelIffLb1EEEvPKT_S5_PKT0_S8_S5_PS3_i
		.amdhsa_group_segment_fixed_size 0
		.amdhsa_private_segment_fixed_size 0
		.amdhsa_kernarg_size 312
		.amdhsa_user_sgpr_count 2
		.amdhsa_user_sgpr_dispatch_ptr 0
		.amdhsa_user_sgpr_queue_ptr 0
		.amdhsa_user_sgpr_kernarg_segment_ptr 1
		.amdhsa_user_sgpr_dispatch_id 0
		.amdhsa_user_sgpr_kernarg_preload_length 0
		.amdhsa_user_sgpr_kernarg_preload_offset 0
		.amdhsa_user_sgpr_private_segment_size 0
		.amdhsa_uses_dynamic_stack 0
		.amdhsa_enable_private_segment 0
		.amdhsa_system_sgpr_workgroup_id_x 1
		.amdhsa_system_sgpr_workgroup_id_y 0
		.amdhsa_system_sgpr_workgroup_id_z 0
		.amdhsa_system_sgpr_workgroup_info 0
		.amdhsa_system_vgpr_workitem_id 0
		.amdhsa_next_free_vgpr 20
		.amdhsa_next_free_sgpr 34
		.amdhsa_accum_offset 20
		.amdhsa_reserve_vcc 1
		.amdhsa_float_round_mode_32 0
		.amdhsa_float_round_mode_16_64 0
		.amdhsa_float_denorm_mode_32 3
		.amdhsa_float_denorm_mode_16_64 3
		.amdhsa_dx10_clamp 1
		.amdhsa_ieee_mode 1
		.amdhsa_fp16_overflow 0
		.amdhsa_tg_split 0
		.amdhsa_exception_fp_ieee_invalid_op 0
		.amdhsa_exception_fp_denorm_src 0
		.amdhsa_exception_fp_ieee_div_zero 0
		.amdhsa_exception_fp_ieee_overflow 0
		.amdhsa_exception_fp_ieee_underflow 0
		.amdhsa_exception_fp_ieee_inexact 0
		.amdhsa_exception_int_div_zero 0
	.end_amdhsa_kernel
	.section	.text._ZN2at6native12_GLOBAL__N_128layer_norm_grad_input_kernelIffLb1EEEvPKT_S5_PKT0_S8_S5_PS3_i,"axG",@progbits,_ZN2at6native12_GLOBAL__N_128layer_norm_grad_input_kernelIffLb1EEEvPKT_S5_PKT0_S8_S5_PS3_i,comdat
.Lfunc_end140:
	.size	_ZN2at6native12_GLOBAL__N_128layer_norm_grad_input_kernelIffLb1EEEvPKT_S5_PKT0_S8_S5_PS3_i, .Lfunc_end140-_ZN2at6native12_GLOBAL__N_128layer_norm_grad_input_kernelIffLb1EEEvPKT_S5_PKT0_S8_S5_PS3_i
                                        ; -- End function
	.section	.AMDGPU.csdata,"",@progbits
; Kernel info:
; codeLenInByte = 1580
; NumSgprs: 40
; NumVgprs: 20
; NumAgprs: 0
; TotalNumVgprs: 20
; ScratchSize: 0
; MemoryBound: 0
; FloatMode: 240
; IeeeMode: 1
; LDSByteSize: 0 bytes/workgroup (compile time only)
; SGPRBlocks: 4
; VGPRBlocks: 2
; NumSGPRsForWavesPerEU: 40
; NumVGPRsForWavesPerEU: 20
; AccumOffset: 20
; Occupancy: 8
; WaveLimiterHint : 0
; COMPUTE_PGM_RSRC2:SCRATCH_EN: 0
; COMPUTE_PGM_RSRC2:USER_SGPR: 2
; COMPUTE_PGM_RSRC2:TRAP_HANDLER: 0
; COMPUTE_PGM_RSRC2:TGID_X_EN: 1
; COMPUTE_PGM_RSRC2:TGID_Y_EN: 0
; COMPUTE_PGM_RSRC2:TGID_Z_EN: 0
; COMPUTE_PGM_RSRC2:TIDIG_COMP_CNT: 0
; COMPUTE_PGM_RSRC3_GFX90A:ACCUM_OFFSET: 4
; COMPUTE_PGM_RSRC3_GFX90A:TG_SPLIT: 0
	.section	.text._ZN2at6native12_GLOBAL__N_133GammaBetaBackwardSimpleCUDAKernelIffLb1EEEvllPKT_S5_PKT0_S8_PS3_S9_,"axG",@progbits,_ZN2at6native12_GLOBAL__N_133GammaBetaBackwardSimpleCUDAKernelIffLb1EEEvllPKT_S5_PKT0_S8_PS3_S9_,comdat
	.globl	_ZN2at6native12_GLOBAL__N_133GammaBetaBackwardSimpleCUDAKernelIffLb1EEEvllPKT_S5_PKT0_S8_PS3_S9_ ; -- Begin function _ZN2at6native12_GLOBAL__N_133GammaBetaBackwardSimpleCUDAKernelIffLb1EEEvllPKT_S5_PKT0_S8_PS3_S9_
	.p2align	8
	.type	_ZN2at6native12_GLOBAL__N_133GammaBetaBackwardSimpleCUDAKernelIffLb1EEEvllPKT_S5_PKT0_S8_PS3_S9_,@function
_ZN2at6native12_GLOBAL__N_133GammaBetaBackwardSimpleCUDAKernelIffLb1EEEvllPKT_S5_PKT0_S8_PS3_S9_: ; @_ZN2at6native12_GLOBAL__N_133GammaBetaBackwardSimpleCUDAKernelIffLb1EEEvllPKT_S5_PKT0_S8_PS3_S9_
; %bb.0:
	s_load_dword s3, s[0:1], 0x4c
	s_load_dwordx8 s[4:11], s[0:1], 0x0
	v_mov_b32_e32 v1, 0
	v_mov_b32_e32 v2, s2
	s_waitcnt lgkmcnt(0)
	s_and_b32 s3, s3, 0xffff
	v_mad_u64_u32 v[2:3], s[2:3], s3, v2, v[0:1]
	v_cmp_gt_i64_e32 vcc, s[6:7], v[2:3]
	s_and_saveexec_b64 s[2:3], vcc
	s_cbranch_execz .LBB141_8
; %bb.1:
	s_load_dwordx4 s[12:15], s[0:1], 0x28
	v_cmp_lt_i64_e64 s[0:1], s[4:5], 1
	s_and_b64 vcc, exec, s[0:1]
	s_cbranch_vccnz .LBB141_6
; %bb.2:
	s_waitcnt lgkmcnt(0)
	s_cmp_lg_u64 s[14:15], 0
	s_cselect_b64 s[0:1], -1, 0
	v_cndmask_b32_e64 v0, 0, 1, s[0:1]
	v_lshlrev_b64 v[4:5], 2, v[2:3]
	s_lshl_b64 s[2:3], s[6:7], 2
	v_mov_b32_e32 v1, 0
	v_cmp_ne_u32_e64 s[0:1], 1, v0
	s_branch .LBB141_4
.LBB141_3:                              ;   in Loop: Header=BB141_4 Depth=1
	s_add_u32 s4, s4, -1
	s_addc_u32 s5, s5, -1
	s_add_u32 s12, s12, 4
	s_addc_u32 s13, s13, 0
	v_add_f32_e32 v1, v1, v0
	s_cmp_eq_u64 s[4:5], 0
	v_lshl_add_u64 v[4:5], v[4:5], 0, s[2:3]
	s_cbranch_scc1 .LBB141_6
.LBB141_4:                              ; =>This Inner Loop Header: Depth=1
	s_and_b64 vcc, exec, s[0:1]
	v_mov_b32_e32 v0, 0
	s_cbranch_vccnz .LBB141_3
; %bb.5:                                ;   in Loop: Header=BB141_4 Depth=1
	v_lshl_add_u64 v[6:7], s[8:9], 0, v[4:5]
	global_load_dword v0, v[6:7], off
	v_lshl_add_u64 v[6:7], s[10:11], 0, v[4:5]
	global_load_dword v6, v[6:7], off
	s_load_dword s6, s[12:13], 0x0
	s_waitcnt vmcnt(0)
	v_mul_f32_e32 v0, v0, v6
	s_waitcnt lgkmcnt(0)
	v_mul_f32_e32 v0, s6, v0
	s_branch .LBB141_3
.LBB141_6:
	s_waitcnt lgkmcnt(0)
	s_cmp_lg_u64 s[14:15], 0
	s_cbranch_scc0 .LBB141_8
; %bb.7:
	v_lshl_add_u64 v[2:3], v[2:3], 2, s[14:15]
	global_store_dword v[2:3], v1, off
.LBB141_8:
	s_endpgm
	.section	.rodata,"a",@progbits
	.p2align	6, 0x0
	.amdhsa_kernel _ZN2at6native12_GLOBAL__N_133GammaBetaBackwardSimpleCUDAKernelIffLb1EEEvllPKT_S5_PKT0_S8_PS3_S9_
		.amdhsa_group_segment_fixed_size 0
		.amdhsa_private_segment_fixed_size 0
		.amdhsa_kernarg_size 320
		.amdhsa_user_sgpr_count 2
		.amdhsa_user_sgpr_dispatch_ptr 0
		.amdhsa_user_sgpr_queue_ptr 0
		.amdhsa_user_sgpr_kernarg_segment_ptr 1
		.amdhsa_user_sgpr_dispatch_id 0
		.amdhsa_user_sgpr_kernarg_preload_length 0
		.amdhsa_user_sgpr_kernarg_preload_offset 0
		.amdhsa_user_sgpr_private_segment_size 0
		.amdhsa_uses_dynamic_stack 0
		.amdhsa_enable_private_segment 0
		.amdhsa_system_sgpr_workgroup_id_x 1
		.amdhsa_system_sgpr_workgroup_id_y 0
		.amdhsa_system_sgpr_workgroup_id_z 0
		.amdhsa_system_sgpr_workgroup_info 0
		.amdhsa_system_vgpr_workitem_id 0
		.amdhsa_next_free_vgpr 8
		.amdhsa_next_free_sgpr 16
		.amdhsa_accum_offset 8
		.amdhsa_reserve_vcc 1
		.amdhsa_float_round_mode_32 0
		.amdhsa_float_round_mode_16_64 0
		.amdhsa_float_denorm_mode_32 3
		.amdhsa_float_denorm_mode_16_64 3
		.amdhsa_dx10_clamp 1
		.amdhsa_ieee_mode 1
		.amdhsa_fp16_overflow 0
		.amdhsa_tg_split 0
		.amdhsa_exception_fp_ieee_invalid_op 0
		.amdhsa_exception_fp_denorm_src 0
		.amdhsa_exception_fp_ieee_div_zero 0
		.amdhsa_exception_fp_ieee_overflow 0
		.amdhsa_exception_fp_ieee_underflow 0
		.amdhsa_exception_fp_ieee_inexact 0
		.amdhsa_exception_int_div_zero 0
	.end_amdhsa_kernel
	.section	.text._ZN2at6native12_GLOBAL__N_133GammaBetaBackwardSimpleCUDAKernelIffLb1EEEvllPKT_S5_PKT0_S8_PS3_S9_,"axG",@progbits,_ZN2at6native12_GLOBAL__N_133GammaBetaBackwardSimpleCUDAKernelIffLb1EEEvllPKT_S5_PKT0_S8_PS3_S9_,comdat
.Lfunc_end141:
	.size	_ZN2at6native12_GLOBAL__N_133GammaBetaBackwardSimpleCUDAKernelIffLb1EEEvllPKT_S5_PKT0_S8_PS3_S9_, .Lfunc_end141-_ZN2at6native12_GLOBAL__N_133GammaBetaBackwardSimpleCUDAKernelIffLb1EEEvllPKT_S5_PKT0_S8_PS3_S9_
                                        ; -- End function
	.section	.AMDGPU.csdata,"",@progbits
; Kernel info:
; codeLenInByte = 268
; NumSgprs: 22
; NumVgprs: 8
; NumAgprs: 0
; TotalNumVgprs: 8
; ScratchSize: 0
; MemoryBound: 0
; FloatMode: 240
; IeeeMode: 1
; LDSByteSize: 0 bytes/workgroup (compile time only)
; SGPRBlocks: 2
; VGPRBlocks: 0
; NumSGPRsForWavesPerEU: 22
; NumVGPRsForWavesPerEU: 8
; AccumOffset: 8
; Occupancy: 8
; WaveLimiterHint : 0
; COMPUTE_PGM_RSRC2:SCRATCH_EN: 0
; COMPUTE_PGM_RSRC2:USER_SGPR: 2
; COMPUTE_PGM_RSRC2:TRAP_HANDLER: 0
; COMPUTE_PGM_RSRC2:TGID_X_EN: 1
; COMPUTE_PGM_RSRC2:TGID_Y_EN: 0
; COMPUTE_PGM_RSRC2:TGID_Z_EN: 0
; COMPUTE_PGM_RSRC2:TIDIG_COMP_CNT: 0
; COMPUTE_PGM_RSRC3_GFX90A:ACCUM_OFFSET: 1
; COMPUTE_PGM_RSRC3_GFX90A:TG_SPLIT: 0
	.section	.text._ZN2at6native12_GLOBAL__N_135GammaBetaBackwardCUDAKernelTemplateIffLj64ELj1ELj32ELb1ELb1ELb1EEEvllPKT_S5_PKT0_S8_PS3_S9_,"axG",@progbits,_ZN2at6native12_GLOBAL__N_135GammaBetaBackwardCUDAKernelTemplateIffLj64ELj1ELj32ELb1ELb1ELb1EEEvllPKT_S5_PKT0_S8_PS3_S9_,comdat
	.globl	_ZN2at6native12_GLOBAL__N_135GammaBetaBackwardCUDAKernelTemplateIffLj64ELj1ELj32ELb1ELb1ELb1EEEvllPKT_S5_PKT0_S8_PS3_S9_ ; -- Begin function _ZN2at6native12_GLOBAL__N_135GammaBetaBackwardCUDAKernelTemplateIffLj64ELj1ELj32ELb1ELb1ELb1EEEvllPKT_S5_PKT0_S8_PS3_S9_
	.p2align	8
	.type	_ZN2at6native12_GLOBAL__N_135GammaBetaBackwardCUDAKernelTemplateIffLj64ELj1ELj32ELb1ELb1ELb1EEEvllPKT_S5_PKT0_S8_PS3_S9_,@function
_ZN2at6native12_GLOBAL__N_135GammaBetaBackwardCUDAKernelTemplateIffLj64ELj1ELj32ELb1ELb1ELb1EEEvllPKT_S5_PKT0_S8_PS3_S9_: ; @_ZN2at6native12_GLOBAL__N_135GammaBetaBackwardCUDAKernelTemplateIffLj64ELj1ELj32ELb1ELb1ELb1EEEvllPKT_S5_PKT0_S8_PS3_S9_
; %bb.0:
	s_load_dwordx4 s[8:11], s[0:1], 0x0
	s_load_dwordx2 s[16:17], s[0:1], 0x30
	s_lshl_b32 s18, s3, 5
	s_mov_b32 s19, 0
	s_mov_b32 s6, s3
	s_waitcnt lgkmcnt(0)
	v_mov_b64_e32 v[2:3], s[8:9]
	v_cmp_ge_i64_e32 vcc, s[18:19], v[2:3]
	v_mov_b32_e32 v11, 0
	v_bfe_u32 v2, v0, 10, 10
	s_cbranch_vccnz .LBB142_7
; %bb.1:
	s_load_dword s3, s[0:1], 0x4c
	s_load_dword s7, s[0:1], 0x44
	s_load_dwordx4 s[12:15], s[0:1], 0x10
	s_load_dwordx2 s[22:23], s[0:1], 0x28
	v_and_b32_e32 v1, 0x3ff, v0
	s_waitcnt lgkmcnt(0)
	s_and_b32 s3, s3, 0xffff
	v_mad_u32_u24 v3, v2, s3, v1
	v_lshlrev_b32_e32 v10, 5, v2
	v_mov_b32_e32 v11, 0
	v_lshl_or_b32 v8, s2, 6, v1
	v_mbcnt_lo_u32_b32 v1, -1, 0
	v_and_b32_e32 v4, 63, v3
	v_mov_b32_e32 v5, v11
	v_mbcnt_hi_u32_b32 v1, -1, v1
	s_lshl_b32 s20, s7, 5
	v_lshl_add_u64 v[12:13], v[10:11], 0, s[18:19]
	v_cmp_gt_u32_e64 s[4:5], 32, v4
	v_mov_b32_e32 v9, v11
	v_lshlrev_b32_e32 v1, 2, v1
	v_lshl_add_u64 v[4:5], v[12:13], 0, v[4:5]
	v_mul_lo_u32 v10, s11, v12
	v_mul_lo_u32 v14, s10, v13
	v_mad_u64_u32 v[12:13], s[24:25], s10, v12, 0
	s_mul_i32 s3, s11, s20
	s_mul_hi_u32 s7, s10, s20
	v_and_b32_e32 v1, 0x100, v1
	s_mov_b32 s21, s19
	v_add3_u32 v13, v13, v14, v10
	v_lshlrev_b64 v[8:9], 2, v[8:9]
	s_add_i32 s25, s7, s3
	s_mul_i32 s24, s10, s20
	v_or_b32_e32 v3, 4, v1
	v_or_b32_e32 v38, 8, v1
	;; [unrolled: 1-line block ×31, first 2 shown]
	v_lshl_add_u64 v[6:7], v[4:5], 2, s[22:23]
	s_lshl_b64 s[22:23], s[20:21], 2
	v_lshl_add_u64 v[8:9], v[12:13], 2, v[8:9]
	s_lshl_b64 s[24:25], s[24:25], 2
	s_lshl_b64 s[26:27], s[10:11], 2
	v_mov_b64_e32 v[12:13], s[8:9]
	s_branch .LBB142_4
.LBB142_2:                              ;   in Loop: Header=BB142_4 Depth=1
	s_or_b64 exec, exec, s[30:31]
.LBB142_3:                              ;   in Loop: Header=BB142_4 Depth=1
	s_or_b64 exec, exec, s[28:29]
	v_lshl_add_u64 v[14:15], s[12:13], 0, v[8:9]
	v_lshl_add_u64 v[16:17], s[14:15], 0, v[8:9]
	global_load_dword v72, v[14:15], off
	global_load_dword v73, v[16:17], off
	v_lshl_add_u64 v[14:15], v[14:15], 0, s[26:27]
	v_lshl_add_u64 v[16:17], v[16:17], 0, s[26:27]
	global_load_dword v74, v[14:15], off
	global_load_dword v75, v[16:17], off
	;; [unrolled: 4-line block ×30, first 2 shown]
	v_lshl_add_u64 v[68:69], v[14:15], 0, s[26:27]
	global_load_dword v14, v[68:69], off
	v_lshl_add_u64 v[70:71], v[16:17], 0, s[26:27]
	v_lshl_add_u64 v[68:69], v[68:69], 0, s[26:27]
	global_load_dword v15, v[68:69], off
	v_lshl_add_u64 v[68:69], v[70:71], 0, s[26:27]
	global_load_dword v16, v[70:71], off
	global_load_dword v17, v[68:69], off
	s_waitcnt vmcnt(62)
	ds_bpermute_b32 v112, v1, v10
	ds_bpermute_b32 v68, v3, v10
	v_mul_f32_e32 v69, v72, v73
	s_waitcnt vmcnt(60)
	v_mul_f32_e32 v70, v74, v75
	s_add_u32 s18, s18, s20
	s_waitcnt lgkmcnt(1)
	v_fmac_f32_e32 v11, v69, v112
	ds_bpermute_b32 v69, v38, v10
	s_waitcnt lgkmcnt(1)
	v_fmac_f32_e32 v11, v70, v68
	ds_bpermute_b32 v68, v39, v10
	s_waitcnt vmcnt(58)
	v_mul_f32_e32 v70, v76, v77
	s_addc_u32 s19, s19, 0
	s_waitcnt lgkmcnt(1)
	v_fmac_f32_e32 v11, v70, v69
	ds_bpermute_b32 v69, v40, v10
	s_waitcnt vmcnt(56)
	v_mul_f32_e32 v70, v78, v79
	s_waitcnt lgkmcnt(1)
	v_fmac_f32_e32 v11, v70, v68
	ds_bpermute_b32 v68, v41, v10
	s_waitcnt vmcnt(54)
	v_mul_f32_e32 v70, v80, v81
	;; [unrolled: 5-line block ×15, first 2 shown]
	s_waitcnt lgkmcnt(1)
	v_fmac_f32_e32 v11, v70, v68
	s_waitcnt vmcnt(26)
	v_mul_f32_e32 v68, v108, v109
	ds_bpermute_b32 v70, v55, v10
	s_waitcnt lgkmcnt(1)
	v_fmac_f32_e32 v11, v68, v69
	ds_bpermute_b32 v68, v56, v10
	ds_bpermute_b32 v69, v57, v10
	s_waitcnt vmcnt(20)
	v_pk_mul_f32 v[34:35], v[34:35], v[36:37]
	ds_bpermute_b32 v36, v58, v10
	ds_bpermute_b32 v37, v59, v10
	v_mul_f32_e32 v71, v110, v111
	s_waitcnt lgkmcnt(4)
	v_fmac_f32_e32 v11, v71, v70
	s_waitcnt lgkmcnt(2)
	v_pk_mul_f32 v[34:35], v[34:35], v[68:69]
	s_waitcnt vmcnt(16)
	v_pk_mul_f32 v[28:29], v[28:29], v[32:33]
	v_add_f32_e32 v11, v11, v34
	v_add_f32_e32 v11, v11, v35
	s_waitcnt lgkmcnt(0)
	v_pk_mul_f32 v[28:29], v[28:29], v[36:37]
	ds_bpermute_b32 v32, v60, v10
	ds_bpermute_b32 v33, v61, v10
	v_add_f32_e32 v11, v11, v28
	v_add_f32_e32 v11, v11, v29
	ds_bpermute_b32 v28, v62, v10
	ds_bpermute_b32 v29, v63, v10
	s_waitcnt vmcnt(12)
	v_pk_mul_f32 v[26:27], v[26:27], v[30:31]
	s_waitcnt vmcnt(8)
	v_pk_mul_f32 v[20:21], v[20:21], v[24:25]
	s_waitcnt lgkmcnt(2)
	v_pk_mul_f32 v[26:27], v[26:27], v[32:33]
	ds_bpermute_b32 v24, v64, v10
	v_add_f32_e32 v11, v11, v26
	ds_bpermute_b32 v25, v65, v10
	v_add_f32_e32 v11, v11, v27
	s_waitcnt lgkmcnt(2)
	v_pk_mul_f32 v[20:21], v[20:21], v[28:29]
	s_waitcnt vmcnt(4)
	v_pk_mul_f32 v[18:19], v[18:19], v[22:23]
	v_add_f32_e32 v11, v11, v20
	v_add_f32_e32 v26, v11, v21
	ds_bpermute_b32 v20, v66, v10
	ds_bpermute_b32 v21, v67, v10
	s_waitcnt lgkmcnt(2)
	v_pk_mul_f32 v[10:11], v[18:19], v[24:25]
	v_cmp_lt_i64_e32 vcc, s[18:19], v[12:13]
	v_add_f32_e32 v10, v26, v10
	v_add_f32_e32 v18, v10, v11
	s_waitcnt vmcnt(0)
	v_pk_mul_f32 v[10:11], v[14:15], v[16:17]
	v_lshl_add_u64 v[6:7], v[6:7], 0, s[22:23]
	s_waitcnt lgkmcnt(0)
	v_pk_mul_f32 v[10:11], v[10:11], v[20:21]
	v_lshl_add_u64 v[4:5], v[4:5], 0, s[20:21]
	v_add_f32_e32 v10, v18, v10
	v_add_f32_e32 v11, v10, v11
	v_lshl_add_u64 v[8:9], v[8:9], 0, s[24:25]
	s_cbranch_vccz .LBB142_7
.LBB142_4:                              ; =>This Inner Loop Header: Depth=1
	v_mov_b32_e32 v10, 0
	s_and_saveexec_b64 s[28:29], s[4:5]
	s_cbranch_execz .LBB142_3
; %bb.5:                                ;   in Loop: Header=BB142_4 Depth=1
	v_cmp_gt_i64_e32 vcc, s[8:9], v[4:5]
	v_mov_b32_e32 v10, 0
	s_and_saveexec_b64 s[30:31], vcc
	s_cbranch_execz .LBB142_2
; %bb.6:                                ;   in Loop: Header=BB142_4 Depth=1
	global_load_dword v10, v[6:7], off
	s_branch .LBB142_2
.LBB142_7:
	s_cmp_eq_u64 s[16:17], 0
	s_cbranch_scc1 .LBB142_9
; %bb.8:
	s_load_dword s0, s[0:1], 0x4c
	v_mov_b32_e32 v3, 0
	v_mov_b32_e32 v1, s6
	s_mov_b32 s3, 0
	v_and_b32_e32 v0, 0x3ff, v0
	s_waitcnt lgkmcnt(0)
	s_lshr_b32 s0, s0, 16
	v_mad_u64_u32 v[4:5], s[0:1], s0, v1, v[2:3]
	v_mul_lo_u32 v1, v5, s10
	v_mul_lo_u32 v2, v4, s11
	v_mad_u64_u32 v[4:5], s[0:1], v4, s10, 0
	s_lshl_b64 s[0:1], s[2:3], 8
	s_add_u32 s0, s0, s16
	v_add3_u32 v5, v5, v2, v1
	s_addc_u32 s1, s1, s17
	v_lshl_add_u64 v[4:5], v[4:5], 2, s[0:1]
	v_lshlrev_b32_e32 v2, 2, v0
	v_lshl_add_u64 v[0:1], v[4:5], 0, v[2:3]
	global_store_dword v[0:1], v11, off
.LBB142_9:
	s_endpgm
	.section	.rodata,"a",@progbits
	.p2align	6, 0x0
	.amdhsa_kernel _ZN2at6native12_GLOBAL__N_135GammaBetaBackwardCUDAKernelTemplateIffLj64ELj1ELj32ELb1ELb1ELb1EEEvllPKT_S5_PKT0_S8_PS3_S9_
		.amdhsa_group_segment_fixed_size 0
		.amdhsa_private_segment_fixed_size 0
		.amdhsa_kernarg_size 320
		.amdhsa_user_sgpr_count 2
		.amdhsa_user_sgpr_dispatch_ptr 0
		.amdhsa_user_sgpr_queue_ptr 0
		.amdhsa_user_sgpr_kernarg_segment_ptr 1
		.amdhsa_user_sgpr_dispatch_id 0
		.amdhsa_user_sgpr_kernarg_preload_length 0
		.amdhsa_user_sgpr_kernarg_preload_offset 0
		.amdhsa_user_sgpr_private_segment_size 0
		.amdhsa_uses_dynamic_stack 0
		.amdhsa_enable_private_segment 0
		.amdhsa_system_sgpr_workgroup_id_x 1
		.amdhsa_system_sgpr_workgroup_id_y 1
		.amdhsa_system_sgpr_workgroup_id_z 0
		.amdhsa_system_sgpr_workgroup_info 0
		.amdhsa_system_vgpr_workitem_id 1
		.amdhsa_next_free_vgpr 113
		.amdhsa_next_free_sgpr 32
		.amdhsa_accum_offset 116
		.amdhsa_reserve_vcc 1
		.amdhsa_float_round_mode_32 0
		.amdhsa_float_round_mode_16_64 0
		.amdhsa_float_denorm_mode_32 3
		.amdhsa_float_denorm_mode_16_64 3
		.amdhsa_dx10_clamp 1
		.amdhsa_ieee_mode 1
		.amdhsa_fp16_overflow 0
		.amdhsa_tg_split 0
		.amdhsa_exception_fp_ieee_invalid_op 0
		.amdhsa_exception_fp_denorm_src 0
		.amdhsa_exception_fp_ieee_div_zero 0
		.amdhsa_exception_fp_ieee_overflow 0
		.amdhsa_exception_fp_ieee_underflow 0
		.amdhsa_exception_fp_ieee_inexact 0
		.amdhsa_exception_int_div_zero 0
	.end_amdhsa_kernel
	.section	.text._ZN2at6native12_GLOBAL__N_135GammaBetaBackwardCUDAKernelTemplateIffLj64ELj1ELj32ELb1ELb1ELb1EEEvllPKT_S5_PKT0_S8_PS3_S9_,"axG",@progbits,_ZN2at6native12_GLOBAL__N_135GammaBetaBackwardCUDAKernelTemplateIffLj64ELj1ELj32ELb1ELb1ELb1EEEvllPKT_S5_PKT0_S8_PS3_S9_,comdat
.Lfunc_end142:
	.size	_ZN2at6native12_GLOBAL__N_135GammaBetaBackwardCUDAKernelTemplateIffLj64ELj1ELj32ELb1ELb1ELb1EEEvllPKT_S5_PKT0_S8_PS3_S9_, .Lfunc_end142-_ZN2at6native12_GLOBAL__N_135GammaBetaBackwardCUDAKernelTemplateIffLj64ELj1ELj32ELb1ELb1ELb1EEEvllPKT_S5_PKT0_S8_PS3_S9_
                                        ; -- End function
	.section	.AMDGPU.csdata,"",@progbits
; Kernel info:
; codeLenInByte = 2484
; NumSgprs: 38
; NumVgprs: 113
; NumAgprs: 0
; TotalNumVgprs: 113
; ScratchSize: 0
; MemoryBound: 0
; FloatMode: 240
; IeeeMode: 1
; LDSByteSize: 0 bytes/workgroup (compile time only)
; SGPRBlocks: 4
; VGPRBlocks: 14
; NumSGPRsForWavesPerEU: 38
; NumVGPRsForWavesPerEU: 113
; AccumOffset: 116
; Occupancy: 4
; WaveLimiterHint : 0
; COMPUTE_PGM_RSRC2:SCRATCH_EN: 0
; COMPUTE_PGM_RSRC2:USER_SGPR: 2
; COMPUTE_PGM_RSRC2:TRAP_HANDLER: 0
; COMPUTE_PGM_RSRC2:TGID_X_EN: 1
; COMPUTE_PGM_RSRC2:TGID_Y_EN: 1
; COMPUTE_PGM_RSRC2:TGID_Z_EN: 0
; COMPUTE_PGM_RSRC2:TIDIG_COMP_CNT: 1
; COMPUTE_PGM_RSRC3_GFX90A:ACCUM_OFFSET: 28
; COMPUTE_PGM_RSRC3_GFX90A:TG_SPLIT: 0
	.section	.text._ZN2at6native12_GLOBAL__N_135GammaBetaBackwardCUDAKernelTemplateIffLj64ELj1ELj32ELb1ELb0ELb1EEEvllPKT_S5_PKT0_S8_PS3_S9_,"axG",@progbits,_ZN2at6native12_GLOBAL__N_135GammaBetaBackwardCUDAKernelTemplateIffLj64ELj1ELj32ELb1ELb0ELb1EEEvllPKT_S5_PKT0_S8_PS3_S9_,comdat
	.globl	_ZN2at6native12_GLOBAL__N_135GammaBetaBackwardCUDAKernelTemplateIffLj64ELj1ELj32ELb1ELb0ELb1EEEvllPKT_S5_PKT0_S8_PS3_S9_ ; -- Begin function _ZN2at6native12_GLOBAL__N_135GammaBetaBackwardCUDAKernelTemplateIffLj64ELj1ELj32ELb1ELb0ELb1EEEvllPKT_S5_PKT0_S8_PS3_S9_
	.p2align	8
	.type	_ZN2at6native12_GLOBAL__N_135GammaBetaBackwardCUDAKernelTemplateIffLj64ELj1ELj32ELb1ELb0ELb1EEEvllPKT_S5_PKT0_S8_PS3_S9_,@function
_ZN2at6native12_GLOBAL__N_135GammaBetaBackwardCUDAKernelTemplateIffLj64ELj1ELj32ELb1ELb0ELb1EEEvllPKT_S5_PKT0_S8_PS3_S9_: ; @_ZN2at6native12_GLOBAL__N_135GammaBetaBackwardCUDAKernelTemplateIffLj64ELj1ELj32ELb1ELb0ELb1EEEvllPKT_S5_PKT0_S8_PS3_S9_
; %bb.0:
	s_load_dwordx8 s[12:19], s[0:1], 0x0
	s_load_dwordx2 s[10:11], s[0:1], 0x28
	s_mov_b32 s8, s3
	s_lshl_b32 s3, s2, 6
	s_or_b32 s20, s3, 63
	s_mov_b32 s21, 0
	s_waitcnt lgkmcnt(0)
	v_mov_b64_e32 v[2:3], s[14:15]
	v_cmp_ge_i64_e32 vcc, s[20:21], v[2:3]
	s_lshl_b32 s20, s8, 5
	v_mov_b64_e32 v[2:3], s[12:13]
	v_cmp_lt_i64_e64 s[4:5], s[20:21], v[2:3]
	s_nop 1
	v_cndmask_b32_e64 v1, 0, 1, s[4:5]
	v_cmp_ne_u32_e64 s[4:5], 1, v1
	s_cbranch_vccz .LBB143_145
; %bb.1:
	s_and_b64 vcc, exec, s[4:5]
	v_mov_b32_e32 v31, 0
	s_cbranch_vccnz .LBB143_147
; %bb.2:
	v_mov_b32_e32 v209, 0
	v_bfe_u32 v161, v0, 10, 10
	v_lshlrev_b32_e32 v2, 5, v161
	v_mov_b32_e32 v3, v209
	v_lshl_add_u64 v[130:131], v[2:3], 0, s[20:21]
	v_lshl_add_u64 v[6:7], v[130:131], 0, 31
	v_and_b32_e32 v160, 0x3ff, v0
	v_mov_b32_e32 v206, v0
	v_mul_lo_u32 v0, s15, v6
	v_mul_lo_u32 v8, s14, v7
	v_mad_u64_u32 v[6:7], s[28:29], s14, v6, 0
	v_lshl_add_u64 v[10:11], v[130:131], 0, 30
	v_add3_u32 v7, v7, v8, v0
	v_mul_lo_u32 v0, s15, v10
	v_mul_lo_u32 v12, s14, v11
	v_mad_u64_u32 v[10:11], s[30:31], s14, v10, 0
	v_lshl_add_u64 v[14:15], v[130:131], 0, 29
	v_add3_u32 v11, v11, v12, v0
	;; [unrolled: 5-line block ×6, first 2 shown]
	v_mul_lo_u32 v0, s15, v30
	v_mul_lo_u32 v32, s14, v31
	v_mad_u64_u32 v[30:31], s[30:31], s14, v30, 0
	v_add3_u32 v31, v31, v32, v0
	v_lshlrev_b64 v[30:31], 2, v[30:31]
	v_lshl_add_u64 v[166:167], s[16:17], 0, v[30:31]
	v_lshl_add_u64 v[32:33], s[18:19], 0, v[30:31]
	v_lshl_add_u64 v[30:31], v[130:131], 0, 24
	v_mul_lo_u32 v0, s15, v30
	v_mul_lo_u32 v34, s14, v31
	v_mad_u64_u32 v[30:31], s[30:31], s14, v30, 0
	v_add3_u32 v31, v31, v34, v0
	v_lshlrev_b64 v[30:31], 2, v[30:31]
	v_lshl_add_u64 v[34:35], s[16:17], 0, v[30:31]
	v_lshl_add_u64 v[36:37], s[18:19], 0, v[30:31]
	v_lshl_add_u64 v[30:31], v[130:131], 0, 23
	;; [unrolled: 8-line block ×23, first 2 shown]
	v_mul_lo_u32 v0, s15, v30
	v_mul_lo_u32 v122, s14, v31
	v_mad_u64_u32 v[30:31], s[30:31], s14, v30, 0
	v_add3_u32 v31, v31, v122, v0
	v_lshlrev_b64 v[30:31], 2, v[30:31]
	s_load_dword s9, s[0:1], 0x44
	v_lshl_add_u64 v[122:123], s[16:17], 0, v[30:31]
	v_lshl_add_u64 v[124:125], s[18:19], 0, v[30:31]
	v_mov_b64_e32 v[30:31], s[14:15]
	v_mad_u64_u32 v[30:31], s[30:31], s14, v130, v[30:31]
	v_mul_lo_u32 v0, s14, v131
	v_mul_lo_u32 v131, s15, v130
	v_add3_u32 v31, v131, v31, v0
	v_lshlrev_b64 v[30:31], 2, v[30:31]
	s_add_u32 s24, s0, 64
	v_lshl_add_u64 v[126:127], s[16:17], 0, v[30:31]
	v_lshl_add_u64 v[128:129], s[18:19], 0, v[30:31]
	v_mad_u64_u32 v[30:31], s[30:31], s14, v130, 0
	s_addc_u32 s25, s1, 0
	s_waitcnt lgkmcnt(0)
	s_lshl_b32 s22, s9, 5
	v_add3_u32 v31, v31, v0, v131
	v_mbcnt_lo_u32_b32 v0, -1, 0
	s_mul_i32 s9, s15, s22
	s_mul_hi_u32 s28, s14, s22
	v_mbcnt_hi_u32_b32 v0, -1, v0
	v_add_u32_e32 v208, s3, v160
	v_lshlrev_b64 v[8:9], 2, v[6:7]
	s_add_i32 s29, s28, s9
	s_mul_i32 s28, s14, s22
	v_lshlrev_b64 v[12:13], 2, v[10:11]
	v_lshlrev_b64 v[16:17], 2, v[14:15]
	;; [unrolled: 1-line block ×6, first 2 shown]
	v_lshlrev_b32_e32 v0, 2, v0
	s_mov_b32 s23, 0
	v_cmp_gt_i64_e64 s[6:7], s[14:15], v[208:209]
	v_lshlrev_b64 v[4:5], 2, v[208:209]
	s_mov_b64 s[26:27], 31
	v_lshl_add_u64 v[6:7], s[16:17], 0, v[8:9]
	s_lshl_b64 s[28:29], s[28:29], 2
	v_lshl_add_u64 v[8:9], s[18:19], 0, v[8:9]
	v_lshl_add_u64 v[10:11], s[16:17], 0, v[12:13]
	;; [unrolled: 1-line block ×13, first 2 shown]
	v_and_b32_e32 v162, 0x100, v0
	s_mov_b64 s[30:31], s[20:21]
	v_mov_b32_e32 v163, 0
.LBB143_3:                              ; =>This Inner Loop Header: Depth=1
	s_add_u32 s34, s20, s26
	s_addc_u32 s35, 0, s27
	v_mov_b64_e32 v[30:31], s[12:13]
	v_cmp_ge_i64_e32 vcc, s[34:35], v[30:31]
	v_lshl_add_u64 v[134:135], s[20:21], 0, v[2:3]
	s_cbranch_vccz .LBB143_73
; %bb.4:                                ;   in Loop: Header=BB143_3 Depth=1
	s_load_dword s9, s[24:25], 0xc
	v_mov_b32_e32 v165, 0
	v_mov_b32_e32 v164, 0
	s_waitcnt lgkmcnt(0)
	s_and_b32 s9, s9, 0xffff
	v_mad_u32_u24 v0, v161, s9, v160
	v_and_b32_e32 v208, 63, v0
	v_cmp_gt_u32_e32 vcc, 32, v208
	s_and_saveexec_b64 s[34:35], vcc
	s_cbranch_execz .LBB143_8
; %bb.5:                                ;   in Loop: Header=BB143_3 Depth=1
	v_lshl_add_u64 v[136:137], v[134:135], 0, v[208:209]
	v_cmp_gt_i64_e32 vcc, s[12:13], v[136:137]
	v_mov_b32_e32 v164, 0
	s_and_saveexec_b64 s[36:37], vcc
	s_cbranch_execz .LBB143_7
; %bb.6:                                ;   in Loop: Header=BB143_3 Depth=1
	v_lshl_add_u64 v[30:31], v[136:137], 2, s[10:11]
	global_load_dword v164, v[30:31], off
.LBB143_7:                              ;   in Loop: Header=BB143_3 Depth=1
	s_or_b64 exec, exec, s[36:37]
.LBB143_8:                              ;   in Loop: Header=BB143_3 Depth=1
	s_or_b64 exec, exec, s[34:35]
	v_cmp_gt_i64_e32 vcc, s[12:13], v[134:135]
	s_and_b64 s[36:37], s[6:7], vcc
	v_mov_b32_e32 v0, 0
	s_and_saveexec_b64 s[34:35], s[36:37]
	s_cbranch_execz .LBB143_10
; %bb.9:                                ;   in Loop: Header=BB143_3 Depth=1
	v_lshl_add_u64 v[30:31], v[130:131], 0, v[4:5]
	global_load_dword v165, v[30:31], off
	v_lshl_add_u64 v[30:31], v[132:133], 0, v[4:5]
	global_load_dword v0, v[30:31], off
.LBB143_10:                             ;   in Loop: Header=BB143_3 Depth=1
	s_or_b64 exec, exec, s[34:35]
	v_lshl_add_u64 v[30:31], v[134:135], 0, 1
	v_cmp_gt_i64_e32 vcc, s[12:13], v[30:31]
	s_and_b64 s[36:37], s[6:7], vcc
	v_mov_b32_e32 v30, 0
	v_mov_b32_e32 v31, 0
	v_mov_b32_e32 v168, 0
	s_and_saveexec_b64 s[34:35], s[36:37]
	s_cbranch_execz .LBB143_12
; %bb.11:                               ;   in Loop: Header=BB143_3 Depth=1
	v_lshl_add_u64 v[136:137], v[126:127], 0, v[4:5]
	global_load_dword v31, v[136:137], off
	v_lshl_add_u64 v[136:137], v[128:129], 0, v[4:5]
	global_load_dword v168, v[136:137], off
.LBB143_12:                             ;   in Loop: Header=BB143_3 Depth=1
	s_or_b64 exec, exec, s[34:35]
	v_lshl_add_u64 v[136:137], v[134:135], 0, 2
	v_cmp_gt_i64_e32 vcc, s[12:13], v[136:137]
	s_and_b64 s[36:37], s[6:7], vcc
	v_mov_b32_e32 v169, 0
	s_and_saveexec_b64 s[34:35], s[36:37]
	s_cbranch_execz .LBB143_14
; %bb.13:                               ;   in Loop: Header=BB143_3 Depth=1
	v_lshl_add_u64 v[136:137], v[122:123], 0, v[4:5]
	global_load_dword v30, v[136:137], off
	v_lshl_add_u64 v[136:137], v[124:125], 0, v[4:5]
	global_load_dword v169, v[136:137], off
.LBB143_14:                             ;   in Loop: Header=BB143_3 Depth=1
	s_or_b64 exec, exec, s[34:35]
	v_lshl_add_u64 v[136:137], v[134:135], 0, 3
	v_cmp_gt_i64_e32 vcc, s[12:13], v[136:137]
	s_and_b64 s[36:37], s[6:7], vcc
	v_mov_b32_e32 v170, 0
	v_mov_b32_e32 v171, 0
	v_mov_b32_e32 v172, 0
	s_and_saveexec_b64 s[34:35], s[36:37]
	s_cbranch_execz .LBB143_16
; %bb.15:                               ;   in Loop: Header=BB143_3 Depth=1
	v_lshl_add_u64 v[136:137], v[118:119], 0, v[4:5]
	global_load_dword v171, v[136:137], off
	v_lshl_add_u64 v[136:137], v[120:121], 0, v[4:5]
	global_load_dword v172, v[136:137], off
.LBB143_16:                             ;   in Loop: Header=BB143_3 Depth=1
	s_or_b64 exec, exec, s[34:35]
	v_lshl_add_u64 v[136:137], v[134:135], 0, 4
	v_cmp_gt_i64_e32 vcc, s[12:13], v[136:137]
	s_and_b64 s[36:37], s[6:7], vcc
	v_mov_b32_e32 v173, 0
	s_and_saveexec_b64 s[34:35], s[36:37]
	s_cbranch_execz .LBB143_18
; %bb.17:                               ;   in Loop: Header=BB143_3 Depth=1
	v_lshl_add_u64 v[136:137], v[114:115], 0, v[4:5]
	global_load_dword v170, v[136:137], off
	v_lshl_add_u64 v[136:137], v[116:117], 0, v[4:5]
	global_load_dword v173, v[136:137], off
.LBB143_18:                             ;   in Loop: Header=BB143_3 Depth=1
	;; [unrolled: 28-line block ×15, first 2 shown]
	s_or_b64 exec, exec, s[34:35]
	v_lshl_add_u64 v[204:205], v[134:135], 0, 31
	v_cmp_gt_i64_e32 vcc, s[12:13], v[204:205]
	s_and_b64 s[36:37], s[6:7], vcc
	v_mov_b32_e32 v194, 0
	s_and_saveexec_b64 s[34:35], s[36:37]
	s_cbranch_execz .LBB143_72
; %bb.71:                               ;   in Loop: Header=BB143_3 Depth=1
	v_lshl_add_u64 v[204:205], v[6:7], 0, v[4:5]
	global_load_dword v194, v[204:205], off
	v_lshl_add_u64 v[204:205], v[8:9], 0, v[4:5]
	global_load_dword v203, v[204:205], off
	s_waitcnt vmcnt(0)
	v_mul_f32_e32 v194, v194, v203
.LBB143_72:                             ;   in Loop: Header=BB143_3 Depth=1
	s_or_b64 exec, exec, s[34:35]
	s_waitcnt vmcnt(0)
	ds_bpermute_b32 v203, v162, v164
	ds_bpermute_b32 v204, v162, v164 offset:4
	v_mul_f32_e32 v0, v165, v0
	v_mul_f32_e32 v31, v31, v168
	ds_bpermute_b32 v165, v162, v164 offset:8
	s_waitcnt lgkmcnt(2)
	v_fma_f32 v0, v0, v203, v163
	s_waitcnt lgkmcnt(1)
	v_fmac_f32_e32 v0, v31, v204
	ds_bpermute_b32 v31, v162, v164 offset:12
	v_mul_f32_e32 v30, v30, v169
	s_waitcnt lgkmcnt(1)
	v_fmac_f32_e32 v0, v30, v165
	ds_bpermute_b32 v30, v162, v164 offset:16
	v_mul_f32_e32 v165, v171, v172
	s_waitcnt lgkmcnt(1)
	v_fmac_f32_e32 v0, v165, v31
	ds_bpermute_b32 v31, v162, v164 offset:20
	v_mul_f32_e32 v165, v170, v173
	s_waitcnt lgkmcnt(1)
	v_fmac_f32_e32 v0, v165, v30
	ds_bpermute_b32 v30, v162, v164 offset:24
	v_mul_f32_e32 v165, v175, v176
	s_waitcnt lgkmcnt(1)
	v_fmac_f32_e32 v0, v165, v31
	ds_bpermute_b32 v31, v162, v164 offset:28
	v_mul_f32_e32 v165, v174, v177
	s_waitcnt lgkmcnt(1)
	v_fmac_f32_e32 v0, v165, v30
	ds_bpermute_b32 v30, v162, v164 offset:32
	v_mul_f32_e32 v165, v179, v180
	s_waitcnt lgkmcnt(1)
	v_fmac_f32_e32 v0, v165, v31
	ds_bpermute_b32 v31, v162, v164 offset:36
	v_mul_f32_e32 v165, v178, v181
	s_waitcnt lgkmcnt(1)
	v_fmac_f32_e32 v0, v165, v30
	ds_bpermute_b32 v30, v162, v164 offset:40
	v_mul_f32_e32 v165, v183, v184
	s_waitcnt lgkmcnt(1)
	v_fmac_f32_e32 v0, v165, v31
	ds_bpermute_b32 v31, v162, v164 offset:44
	v_mul_f32_e32 v165, v182, v185
	s_waitcnt lgkmcnt(1)
	v_fmac_f32_e32 v0, v165, v30
	ds_bpermute_b32 v30, v162, v164 offset:48
	v_mul_f32_e32 v165, v187, v188
	s_waitcnt lgkmcnt(1)
	v_fmac_f32_e32 v0, v165, v31
	ds_bpermute_b32 v31, v162, v164 offset:52
	v_mul_f32_e32 v165, v186, v189
	s_waitcnt lgkmcnt(1)
	v_fmac_f32_e32 v0, v165, v30
	v_mul_f32_e32 v30, v191, v192
	ds_bpermute_b32 v165, v162, v164 offset:56
	s_waitcnt lgkmcnt(1)
	v_fmac_f32_e32 v0, v30, v31
	ds_bpermute_b32 v30, v162, v164 offset:60
	ds_bpermute_b32 v168, v162, v164 offset:64
	v_mul_f32_e32 v31, v190, v193
	s_waitcnt lgkmcnt(2)
	v_fmac_f32_e32 v0, v31, v165
	v_mul_f32_e32 v31, v196, v197
	s_waitcnt lgkmcnt(1)
	v_fmac_f32_e32 v0, v31, v30
	;; [unrolled: 3-line block ×3, first 2 shown]
	ds_bpermute_b32 v30, v162, v164 offset:76
	ds_bpermute_b32 v31, v162, v164 offset:80
	;; [unrolled: 1-line block ×4, first 2 shown]
	v_pk_mul_f32 v[136:137], v[136:137], v[138:139]
	v_mul_f32_e32 v168, v200, v201
	s_waitcnt lgkmcnt(2)
	v_pk_mul_f32 v[30:31], v[136:137], v[30:31]
	ds_bpermute_b32 v136, v162, v164 offset:84
	ds_bpermute_b32 v137, v162, v164 offset:88
	s_waitcnt lgkmcnt(3)
	v_fmac_f32_e32 v0, v168, v165
	v_mul_f32_e32 v165, v198, v202
	s_waitcnt lgkmcnt(2)
	v_fmac_f32_e32 v0, v165, v169
	v_add_f32_e32 v0, v0, v30
	ds_bpermute_b32 v138, v162, v164 offset:92
	ds_bpermute_b32 v139, v162, v164 offset:96
	v_add_f32_e32 v0, v0, v31
	v_pk_mul_f32 v[30:31], v[140:141], v[142:143]
	s_waitcnt lgkmcnt(2)
	v_pk_mul_f32 v[30:31], v[30:31], v[136:137]
	ds_bpermute_b32 v136, v162, v164 offset:100
	v_add_f32_e32 v0, v0, v30
	ds_bpermute_b32 v137, v162, v164 offset:104
	v_add_f32_e32 v0, v0, v31
	v_pk_mul_f32 v[30:31], v[144:145], v[146:147]
	s_waitcnt lgkmcnt(2)
	v_pk_mul_f32 v[30:31], v[30:31], v[138:139]
	ds_bpermute_b32 v138, v162, v164 offset:108
	v_add_f32_e32 v0, v0, v30
	ds_bpermute_b32 v139, v162, v164 offset:112
	v_add_f32_e32 v0, v0, v31
	v_pk_mul_f32 v[30:31], v[148:149], v[150:151]
	s_waitcnt lgkmcnt(2)
	v_pk_mul_f32 v[30:31], v[30:31], v[136:137]
	ds_bpermute_b32 v136, v162, v164 offset:116
	v_add_f32_e32 v0, v0, v30
	v_add_f32_e32 v0, v0, v31
	v_pk_mul_f32 v[30:31], v[152:153], v[154:155]
	ds_bpermute_b32 v137, v162, v164 offset:120
	s_waitcnt lgkmcnt(2)
	v_pk_mul_f32 v[30:31], v[30:31], v[138:139]
	s_nop 0
	v_add_f32_e32 v0, v0, v30
	v_add_f32_e32 v138, v0, v31
	ds_bpermute_b32 v0, v162, v164 offset:124
	v_pk_mul_f32 v[30:31], v[156:157], v[158:159]
	s_waitcnt lgkmcnt(1)
	v_pk_mul_f32 v[30:31], v[30:31], v[136:137]
	s_nop 0
	v_add_f32_e32 v30, v138, v30
	v_add_f32_e32 v31, v30, v31
	s_branch .LBB143_141
.LBB143_73:                             ;   in Loop: Header=BB143_3 Depth=1
                                        ; implicit-def: $vgpr31
                                        ; implicit-def: $vgpr194
                                        ; implicit-def: $vgpr0
	s_cbranch_execz .LBB143_141
; %bb.74:                               ;   in Loop: Header=BB143_3 Depth=1
	s_load_dword s9, s[24:25], 0x0
	v_mov_b32_e32 v30, 0
	v_mov_b32_e32 v158, 0
	s_waitcnt lgkmcnt(0)
	s_cmp_lt_u32 s2, s9
	s_cselect_b32 s9, 12, 18
	s_add_u32 s34, s24, s9
	s_addc_u32 s35, s25, 0
	global_load_ushort v0, v209, s[34:35]
	s_waitcnt vmcnt(0)
	v_mad_u32_u24 v0, v161, v0, v160
	v_and_b32_e32 v208, 63, v0
	v_cmp_gt_u32_e32 vcc, 32, v208
	s_and_saveexec_b64 s[34:35], vcc
	s_cbranch_execz .LBB143_78
; %bb.75:                               ;   in Loop: Header=BB143_3 Depth=1
	v_lshl_add_u64 v[134:135], v[134:135], 0, v[208:209]
	v_cmp_gt_i64_e32 vcc, s[12:13], v[134:135]
	v_mov_b32_e32 v158, 0
	s_and_saveexec_b64 s[36:37], vcc
	s_cbranch_execz .LBB143_77
; %bb.76:                               ;   in Loop: Header=BB143_3 Depth=1
	v_lshl_add_u64 v[134:135], v[134:135], 2, s[10:11]
	global_load_dword v158, v[134:135], off
.LBB143_77:                             ;   in Loop: Header=BB143_3 Depth=1
	s_or_b64 exec, exec, s[36:37]
.LBB143_78:                             ;   in Loop: Header=BB143_3 Depth=1
	s_or_b64 exec, exec, s[34:35]
	v_mov_b32_e32 v0, 0
	s_and_saveexec_b64 s[34:35], s[6:7]
	s_cbranch_execz .LBB143_80
; %bb.79:                               ;   in Loop: Header=BB143_3 Depth=1
	v_lshl_add_u64 v[30:31], v[130:131], 0, v[4:5]
	v_lshl_add_u64 v[134:135], v[132:133], 0, v[4:5]
	global_load_dword v30, v[30:31], off
	s_nop 0
	global_load_dword v0, v[134:135], off
.LBB143_80:                             ;   in Loop: Header=BB143_3 Depth=1
	s_or_b64 exec, exec, s[34:35]
	v_mov_b32_e32 v31, 0
	v_mov_b32_e32 v159, 0
	v_mov_b32_e32 v164, 0
	s_and_saveexec_b64 s[34:35], s[6:7]
	s_cbranch_execz .LBB143_82
; %bb.81:                               ;   in Loop: Header=BB143_3 Depth=1
	v_lshl_add_u64 v[134:135], v[126:127], 0, v[4:5]
	global_load_dword v159, v[134:135], off
	v_lshl_add_u64 v[134:135], v[128:129], 0, v[4:5]
	global_load_dword v164, v[134:135], off
.LBB143_82:                             ;   in Loop: Header=BB143_3 Depth=1
	s_or_b64 exec, exec, s[34:35]
	v_mov_b32_e32 v165, 0
	s_and_saveexec_b64 s[34:35], s[6:7]
	s_cbranch_execz .LBB143_84
; %bb.83:                               ;   in Loop: Header=BB143_3 Depth=1
	v_lshl_add_u64 v[134:135], v[122:123], 0, v[4:5]
	global_load_dword v31, v[134:135], off
	v_lshl_add_u64 v[134:135], v[124:125], 0, v[4:5]
	global_load_dword v165, v[134:135], off
.LBB143_84:                             ;   in Loop: Header=BB143_3 Depth=1
	s_or_b64 exec, exec, s[34:35]
	v_mov_b32_e32 v168, 0
	v_mov_b32_e32 v169, 0
	v_mov_b32_e32 v170, 0
	s_and_saveexec_b64 s[34:35], s[6:7]
	s_cbranch_execz .LBB143_86
; %bb.85:                               ;   in Loop: Header=BB143_3 Depth=1
	v_lshl_add_u64 v[134:135], v[118:119], 0, v[4:5]
	global_load_dword v169, v[134:135], off
	v_lshl_add_u64 v[134:135], v[120:121], 0, v[4:5]
	global_load_dword v170, v[134:135], off
.LBB143_86:                             ;   in Loop: Header=BB143_3 Depth=1
	s_or_b64 exec, exec, s[34:35]
	v_mov_b32_e32 v171, 0
	s_and_saveexec_b64 s[34:35], s[6:7]
	s_cbranch_execz .LBB143_88
; %bb.87:                               ;   in Loop: Header=BB143_3 Depth=1
	v_lshl_add_u64 v[134:135], v[114:115], 0, v[4:5]
	global_load_dword v168, v[134:135], off
	v_lshl_add_u64 v[134:135], v[116:117], 0, v[4:5]
	global_load_dword v171, v[134:135], off
.LBB143_88:                             ;   in Loop: Header=BB143_3 Depth=1
	;; [unrolled: 22-line block ×4, first 2 shown]
	s_or_b64 exec, exec, s[34:35]
	v_mov_b32_e32 v180, 0
	v_mov_b32_e32 v181, 0
	;; [unrolled: 1-line block ×3, first 2 shown]
	s_and_saveexec_b64 s[34:35], s[6:7]
	s_cbranch_execz .LBB143_98
; %bb.97:                               ;   in Loop: Header=BB143_3 Depth=1
	v_lshl_add_u64 v[134:135], v[94:95], 0, v[4:5]
	global_load_dword v181, v[134:135], off
	v_lshl_add_u64 v[134:135], v[96:97], 0, v[4:5]
	global_load_dword v182, v[134:135], off
.LBB143_98:                             ;   in Loop: Header=BB143_3 Depth=1
	s_or_b64 exec, exec, s[34:35]
	v_mov_b32_e32 v183, 0
	s_and_saveexec_b64 s[34:35], s[6:7]
	s_cbranch_execz .LBB143_100
; %bb.99:                               ;   in Loop: Header=BB143_3 Depth=1
	v_lshl_add_u64 v[134:135], v[90:91], 0, v[4:5]
	global_load_dword v180, v[134:135], off
	v_lshl_add_u64 v[134:135], v[92:93], 0, v[4:5]
	global_load_dword v183, v[134:135], off
.LBB143_100:                            ;   in Loop: Header=BB143_3 Depth=1
	s_or_b64 exec, exec, s[34:35]
	v_mov_b32_e32 v184, 0
	v_mov_b32_e32 v185, 0
	v_mov_b32_e32 v186, 0
	s_and_saveexec_b64 s[34:35], s[6:7]
	s_cbranch_execz .LBB143_102
; %bb.101:                              ;   in Loop: Header=BB143_3 Depth=1
	v_lshl_add_u64 v[134:135], v[86:87], 0, v[4:5]
	global_load_dword v185, v[134:135], off
	v_lshl_add_u64 v[134:135], v[88:89], 0, v[4:5]
	global_load_dword v186, v[134:135], off
.LBB143_102:                            ;   in Loop: Header=BB143_3 Depth=1
	s_or_b64 exec, exec, s[34:35]
	v_mov_b32_e32 v187, 0
	s_and_saveexec_b64 s[34:35], s[6:7]
	s_cbranch_execz .LBB143_104
; %bb.103:                              ;   in Loop: Header=BB143_3 Depth=1
	v_lshl_add_u64 v[134:135], v[82:83], 0, v[4:5]
	global_load_dword v184, v[134:135], off
	v_lshl_add_u64 v[134:135], v[84:85], 0, v[4:5]
	global_load_dword v187, v[134:135], off
.LBB143_104:                            ;   in Loop: Header=BB143_3 Depth=1
	s_or_b64 exec, exec, s[34:35]
	v_mov_b32_e32 v188, 0
	v_mov_b32_e32 v189, 0
	v_mov_b32_e32 v190, 0
	s_and_saveexec_b64 s[34:35], s[6:7]
	s_cbranch_execz .LBB143_106
; %bb.105:                              ;   in Loop: Header=BB143_3 Depth=1
	v_lshl_add_u64 v[134:135], v[78:79], 0, v[4:5]
	global_load_dword v189, v[134:135], off
	v_lshl_add_u64 v[134:135], v[80:81], 0, v[4:5]
	global_load_dword v190, v[134:135], off
.LBB143_106:                            ;   in Loop: Header=BB143_3 Depth=1
	s_or_b64 exec, exec, s[34:35]
	v_mov_b32_e32 v191, 0
	s_and_saveexec_b64 s[34:35], s[6:7]
	s_cbranch_execz .LBB143_108
; %bb.107:                              ;   in Loop: Header=BB143_3 Depth=1
	v_lshl_add_u64 v[134:135], v[74:75], 0, v[4:5]
	global_load_dword v188, v[134:135], off
	v_lshl_add_u64 v[134:135], v[76:77], 0, v[4:5]
	global_load_dword v191, v[134:135], off
.LBB143_108:                            ;   in Loop: Header=BB143_3 Depth=1
	;; [unrolled: 22-line block ×9, first 2 shown]
	s_or_b64 exec, exec, s[34:35]
	v_mov_b32_e32 v155, 0
	v_mov_b32_e32 v154, 0
	;; [unrolled: 1-line block ×3, first 2 shown]
	s_and_saveexec_b64 s[34:35], s[6:7]
	s_cbranch_execnz .LBB143_143
; %bb.137:                              ;   in Loop: Header=BB143_3 Depth=1
	s_or_b64 exec, exec, s[34:35]
	v_mov_b32_e32 v157, 0
	s_and_saveexec_b64 s[34:35], s[6:7]
	s_cbranch_execnz .LBB143_144
.LBB143_138:                            ;   in Loop: Header=BB143_3 Depth=1
	s_or_b64 exec, exec, s[34:35]
	v_mov_b32_e32 v194, 0
	s_and_saveexec_b64 s[34:35], s[6:7]
	s_cbranch_execz .LBB143_140
.LBB143_139:                            ;   in Loop: Header=BB143_3 Depth=1
	v_lshl_add_u64 v[202:203], v[6:7], 0, v[4:5]
	global_load_dword v194, v[202:203], off
	v_lshl_add_u64 v[202:203], v[8:9], 0, v[4:5]
	global_load_dword v201, v[202:203], off
	s_waitcnt vmcnt(0)
	v_mul_f32_e32 v194, v194, v201
.LBB143_140:                            ;   in Loop: Header=BB143_3 Depth=1
	s_or_b64 exec, exec, s[34:35]
	s_waitcnt vmcnt(0)
	ds_bpermute_b32 v201, v162, v158
	ds_bpermute_b32 v202, v162, v158 offset:4
	v_mul_f32_e32 v0, v30, v0
	v_mul_f32_e32 v30, v159, v164
	ds_bpermute_b32 v159, v162, v158 offset:8
	s_waitcnt lgkmcnt(2)
	v_fmac_f32_e32 v163, v0, v201
	ds_bpermute_b32 v0, v162, v158 offset:12
	s_waitcnt lgkmcnt(2)
	v_fmac_f32_e32 v163, v30, v202
	v_mul_f32_e32 v30, v31, v165
	s_waitcnt lgkmcnt(1)
	v_fmac_f32_e32 v163, v30, v159
	ds_bpermute_b32 v30, v162, v158 offset:16
	v_mul_f32_e32 v31, v169, v170
	s_waitcnt lgkmcnt(1)
	v_fmac_f32_e32 v163, v31, v0
	ds_bpermute_b32 v0, v162, v158 offset:20
	;; [unrolled: 4-line block ×10, first 2 shown]
	v_mul_f32_e32 v31, v184, v187
	s_waitcnt lgkmcnt(1)
	v_fmac_f32_e32 v163, v31, v30
	v_mul_f32_e32 v30, v189, v190
	ds_bpermute_b32 v31, v162, v158 offset:56
	s_waitcnt lgkmcnt(1)
	v_fmac_f32_e32 v163, v30, v0
	ds_bpermute_b32 v0, v162, v158 offset:60
	ds_bpermute_b32 v159, v162, v158 offset:64
	v_mul_f32_e32 v30, v188, v191
	s_waitcnt lgkmcnt(2)
	v_fmac_f32_e32 v163, v30, v31
	v_mul_f32_e32 v30, v193, v195
	s_waitcnt lgkmcnt(1)
	v_fmac_f32_e32 v163, v30, v0
	v_mul_f32_e32 v0, v192, v197
	ds_bpermute_b32 v30, v162, v158 offset:76
	ds_bpermute_b32 v31, v162, v158 offset:80
	s_waitcnt lgkmcnt(2)
	v_fmac_f32_e32 v163, v0, v159
	ds_bpermute_b32 v0, v162, v158 offset:68
	ds_bpermute_b32 v164, v162, v158 offset:72
	v_pk_mul_f32 v[134:135], v[134:135], v[136:137]
	v_mul_f32_e32 v159, v198, v199
	s_waitcnt lgkmcnt(2)
	v_pk_mul_f32 v[30:31], v[134:135], v[30:31]
	ds_bpermute_b32 v134, v162, v158 offset:84
	ds_bpermute_b32 v135, v162, v158 offset:88
	s_waitcnt lgkmcnt(3)
	v_fmac_f32_e32 v163, v159, v0
	v_mul_f32_e32 v0, v196, v200
	s_waitcnt lgkmcnt(2)
	v_fmac_f32_e32 v163, v0, v164
	v_add_f32_e32 v0, v163, v30
	ds_bpermute_b32 v136, v162, v158 offset:92
	ds_bpermute_b32 v137, v162, v158 offset:96
	v_add_f32_e32 v0, v0, v31
	v_pk_mul_f32 v[30:31], v[138:139], v[140:141]
	s_waitcnt lgkmcnt(2)
	v_pk_mul_f32 v[30:31], v[30:31], v[134:135]
	ds_bpermute_b32 v134, v162, v158 offset:100
	v_add_f32_e32 v0, v0, v30
	ds_bpermute_b32 v135, v162, v158 offset:104
	v_add_f32_e32 v0, v0, v31
	v_pk_mul_f32 v[30:31], v[142:143], v[144:145]
	s_waitcnt lgkmcnt(2)
	v_pk_mul_f32 v[30:31], v[30:31], v[136:137]
	ds_bpermute_b32 v136, v162, v158 offset:108
	v_add_f32_e32 v0, v0, v30
	;; [unrolled: 7-line block ×3, first 2 shown]
	ds_bpermute_b32 v135, v162, v158 offset:120
	v_add_f32_e32 v0, v0, v31
	v_pk_mul_f32 v[30:31], v[150:151], v[152:153]
	s_waitcnt lgkmcnt(2)
	v_pk_mul_f32 v[30:31], v[30:31], v[136:137]
	s_nop 0
	v_add_f32_e32 v0, v0, v30
	v_add_f32_e32 v136, v0, v31
	v_pk_mul_f32 v[30:31], v[154:155], v[156:157]
	ds_bpermute_b32 v0, v162, v158 offset:124
	s_waitcnt lgkmcnt(1)
	v_pk_mul_f32 v[30:31], v[30:31], v[134:135]
	s_nop 0
	v_add_f32_e32 v30, v136, v30
	v_add_f32_e32 v31, v30, v31
.LBB143_141:                            ;   in Loop: Header=BB143_3 Depth=1
	s_add_u32 s30, s30, s22
	s_addc_u32 s31, s31, 0
	v_mov_b64_e32 v[134:135], s[12:13]
	s_add_u32 s26, s26, s22
	v_cmp_lt_i64_e32 vcc, s[30:31], v[134:135]
	s_waitcnt lgkmcnt(0)
	v_fmac_f32_e32 v31, v194, v0
	v_lshl_add_u64 v[6:7], v[6:7], 0, s[28:29]
	v_lshl_add_u64 v[8:9], v[8:9], 0, s[28:29]
	;; [unrolled: 1-line block ×65, first 2 shown]
	s_addc_u32 s27, s27, 0
	s_cbranch_vccz .LBB143_146
; %bb.142:                              ;   in Loop: Header=BB143_3 Depth=1
	v_mov_b32_e32 v163, v31
	s_branch .LBB143_3
.LBB143_143:                            ;   in Loop: Header=BB143_3 Depth=1
	v_lshl_add_u64 v[156:157], v[14:15], 0, v[4:5]
	global_load_dword v154, v[156:157], off
	v_lshl_add_u64 v[156:157], v[16:17], 0, v[4:5]
	global_load_dword v156, v[156:157], off
	s_or_b64 exec, exec, s[34:35]
	v_mov_b32_e32 v157, 0
	s_and_saveexec_b64 s[34:35], s[6:7]
	s_cbranch_execz .LBB143_138
.LBB143_144:                            ;   in Loop: Header=BB143_3 Depth=1
	v_lshl_add_u64 v[202:203], v[10:11], 0, v[4:5]
	global_load_dword v155, v[202:203], off
	v_lshl_add_u64 v[202:203], v[12:13], 0, v[4:5]
	global_load_dword v157, v[202:203], off
	s_or_b64 exec, exec, s[34:35]
	v_mov_b32_e32 v194, 0
	s_and_saveexec_b64 s[34:35], s[6:7]
	s_cbranch_execnz .LBB143_139
	s_branch .LBB143_140
.LBB143_145:
                                        ; implicit-def: $vgpr31
	s_load_dwordx2 s[6:7], s[0:1], 0x30
	s_branch .LBB143_148
.LBB143_146:
	v_mov_b32_e32 v0, v206
.LBB143_147:
	s_load_dwordx2 s[6:7], s[0:1], 0x30
	s_cbranch_execnz .LBB143_229
.LBB143_148:
	s_and_b64 vcc, exec, s[4:5]
	v_mov_b32_e32 v31, 0
	s_cbranch_vccnz .LBB143_229
; %bb.149:
	v_and_b32_e32 v1, 0x3ff, v0
	v_add_u32_e32 v130, s3, v1
	v_mov_b32_e32 v131, 0
	v_bfe_u32 v31, v0, 10, 10
	v_lshlrev_b64 v[4:5], 2, v[130:131]
	v_lshlrev_b32_e32 v130, 7, v31
	v_accvgpr_write_b32 a0, v1
	v_accvgpr_write_b32 a74, v0
	v_lshl_add_u64 v[0:1], s[20:21], 2, v[130:131]
	v_mov_b64_e32 v[2:3], s[16:17]
	v_lshl_add_u64 v[10:11], v[0:1], 0, 8
	v_mov_b64_e32 v[8:9], s[18:19]
	v_mad_u64_u32 v[50:51], s[4:5], s14, v10, v[2:3]
	v_mul_lo_u32 v11, s14, v11
	v_mul_lo_u32 v25, s15, v10
	v_lshl_add_u64 v[12:13], v[0:1], 0, 12
	v_lshl_add_u64 v[16:17], v[0:1], 0, 20
	v_mad_u64_u32 v[66:67], s[4:5], s14, v10, v[8:9]
	v_add3_u32 v51, v25, v51, v11
	v_mad_u64_u32 v[52:53], s[4:5], s14, v12, v[2:3]
	v_mul_lo_u32 v13, s14, v13
	v_mul_lo_u32 v26, s15, v12
	;; [unrolled: 1-line block ×4, first 2 shown]
	v_lshl_add_u64 v[18:19], v[0:1], 0, 24
	v_add3_u32 v67, v25, v67, v11
	v_mad_u64_u32 v[68:69], s[4:5], s14, v12, v[8:9]
	v_mad_u64_u32 v[10:11], s[4:5], s14, v16, v[8:9]
	v_add3_u32 v53, v26, v53, v13
	v_mul_lo_u32 v19, s14, v19
	v_mul_lo_u32 v29, s15, v18
	v_add3_u32 v69, v26, v69, v13
	v_add3_u32 v11, v28, v11, v17
	v_mad_u64_u32 v[12:13], s[4:5], s14, v18, v[8:9]
	v_lshl_add_u64 v[14:15], v[0:1], 0, 16
	v_accvgpr_write_b32 a31, v11
	v_add3_u32 v13, v29, v13, v19
	v_mad_u64_u32 v[54:55], s[4:5], s14, v14, v[2:3]
	v_mul_lo_u32 v15, s14, v15
	v_mul_lo_u32 v27, s15, v14
	v_mad_u64_u32 v[72:73], s[4:5], s14, v14, v[8:9]
	v_accvgpr_write_b32 a30, v10
	v_lshl_add_u64 v[10:11], v[0:1], 0, 40
	v_accvgpr_write_b32 a33, v13
	v_add3_u32 v55, v27, v55, v15
	v_add3_u32 v73, v27, v73, v15
	v_accvgpr_write_b32 a32, v12
	v_mad_u64_u32 v[12:13], s[4:5], s14, v10, v[2:3]
	v_mul_lo_u32 v11, s14, v11
	v_mul_lo_u32 v15, s15, v10
	v_lshl_add_u64 v[6:7], v[0:1], 0, 4
	v_mad_u64_u32 v[56:57], s[4:5], s14, v16, v[2:3]
	v_lshl_add_u64 v[20:21], v[0:1], 0, 28
	v_add3_u32 v13, v15, v13, v11
	v_mad_u64_u32 v[48:49], s[4:5], s14, v6, v[2:3]
	v_mul_lo_u32 v7, s14, v7
	v_mul_lo_u32 v24, s15, v6
	v_add3_u32 v57, v28, v57, v17
	v_mul_lo_u32 v21, s14, v21
	v_mul_lo_u32 v30, s15, v20
	v_lshl_add_u64 v[22:23], v[0:1], 0, 32
	v_mad_u64_u32 v[64:65], s[4:5], s14, v6, v[8:9]
	v_mad_u64_u32 v[16:17], s[4:5], s14, v20, v[8:9]
	v_accvgpr_write_b32 a35, v13
	v_add3_u32 v49, v24, v49, v7
	v_mul_lo_u32 v23, s14, v23
	v_add3_u32 v65, v24, v65, v7
	v_mul_lo_u32 v24, s15, v22
	v_add3_u32 v17, v30, v17, v21
	v_accvgpr_write_b32 a34, v12
	v_mad_u64_u32 v[12:13], s[4:5], s14, v22, v[8:9]
	v_lshl_add_u64 v[6:7], v[0:1], 0, 36
	v_accvgpr_write_b32 a37, v17
	v_add3_u32 v13, v24, v13, v23
	v_mad_u64_u32 v[58:59], s[4:5], s14, v18, v[2:3]
	v_mul_lo_u32 v7, s14, v7
	v_mul_lo_u32 v14, s15, v6
	v_accvgpr_write_b32 a36, v16
	v_accvgpr_write_b32 a39, v13
	v_mad_u64_u32 v[16:17], s[4:5], s14, v6, v[8:9]
	v_add3_u32 v59, v29, v59, v19
	v_mad_u64_u32 v[70:71], s[4:5], s14, v6, v[2:3]
	v_accvgpr_write_b32 a38, v12
	v_lshl_add_u64 v[12:13], v[0:1], 0, 44
	v_add3_u32 v17, v14, v17, v7
	v_mad_u64_u32 v[18:19], s[4:5], s14, v10, v[8:9]
	v_add3_u32 v71, v14, v71, v7
	v_accvgpr_write_b32 a41, v17
	v_mul_lo_u32 v6, s14, v13
	v_add3_u32 v19, v15, v19, v11
	v_mul_lo_u32 v7, s15, v12
	v_mad_u64_u32 v[10:11], s[4:5], s14, v12, v[8:9]
	v_accvgpr_write_b32 a40, v16
	v_mad_u64_u32 v[16:17], s[4:5], s14, v12, v[2:3]
	v_add3_u32 v11, v7, v11, v6
	v_add3_u32 v17, v7, v17, v6
	v_accvgpr_write_b32 a47, v11
	v_lshl_add_u64 v[6:7], v[0:1], 0, 48
	v_accvgpr_write_b32 a46, v10
	v_mul_lo_u32 v7, s14, v7
	v_mul_lo_u32 v10, s15, v6
	v_mad_u64_u32 v[12:13], s[4:5], s14, v6, v[2:3]
	v_add3_u32 v13, v10, v13, v7
	v_accvgpr_write_b32 a49, v13
	v_accvgpr_write_b32 a48, v12
	v_mad_u64_u32 v[12:13], s[4:5], s14, v6, v[8:9]
	v_add3_u32 v13, v10, v13, v7
	v_accvgpr_write_b32 a51, v13
	v_lshl_add_u64 v[6:7], v[0:1], 0, 52
	v_accvgpr_write_b32 a50, v12
	v_mul_lo_u32 v7, s14, v7
	v_mul_lo_u32 v10, s15, v6
	v_mad_u64_u32 v[12:13], s[4:5], s14, v6, v[2:3]
	v_add3_u32 v13, v10, v13, v7
	v_accvgpr_write_b32 a53, v13
	v_accvgpr_write_b32 a52, v12
	v_mad_u64_u32 v[12:13], s[4:5], s14, v6, v[8:9]
	;; [unrolled: 11-line block ×4, first 2 shown]
	v_add3_u32 v13, v10, v13, v7
	v_accvgpr_write_b32 a63, v13
	v_lshl_add_u64 v[6:7], v[0:1], 0, 64
	v_accvgpr_write_b32 a62, v12
	v_mul_lo_u32 v7, s14, v7
	v_mul_lo_u32 v10, s15, v6
	v_mad_u64_u32 v[12:13], s[4:5], s14, v6, v[2:3]
	v_add3_u32 v13, v10, v13, v7
	v_accvgpr_write_b32 a65, v13
	v_mad_u64_u32 v[60:61], s[4:5], s14, v20, v[2:3]
	v_mad_u64_u32 v[62:63], s[4:5], s14, v22, v[2:3]
	v_accvgpr_write_b32 a64, v12
	v_mad_u64_u32 v[12:13], s[4:5], s14, v6, v[8:9]
	v_add3_u32 v13, v10, v13, v7
	s_mov_b64 s[4:5], 0x44
	v_accvgpr_write_b32 a67, v13
	v_lshl_add_u64 v[6:7], v[0:1], 0, s[4:5]
	v_accvgpr_write_b32 a66, v12
	v_mul_lo_u32 v7, s14, v7
	v_mul_lo_u32 v10, s15, v6
	v_mad_u64_u32 v[12:13], s[4:5], s14, v6, v[2:3]
	v_add3_u32 v13, v10, v13, v7
	v_accvgpr_write_b32 a69, v13
	v_accvgpr_write_b32 a68, v12
	v_mad_u64_u32 v[12:13], s[4:5], s14, v6, v[8:9]
	v_add3_u32 v13, v10, v13, v7
	s_mov_b64 s[4:5], 0x48
	v_accvgpr_write_b32 a71, v13
	v_lshl_add_u64 v[6:7], v[0:1], 0, s[4:5]
	v_accvgpr_write_b32 a70, v12
	v_mul_lo_u32 v7, s14, v7
	v_mul_lo_u32 v10, s15, v6
	v_mad_u64_u32 v[12:13], s[4:5], s14, v6, v[2:3]
	v_add3_u32 v13, v10, v13, v7
	v_accvgpr_write_b32 a73, v13
	v_accvgpr_write_b32 a72, v12
	v_mad_u64_u32 v[12:13], s[4:5], s14, v6, v[8:9]
	s_mov_b64 s[4:5], 0x4c
	v_add3_u32 v13, v10, v13, v7
	v_lshl_add_u64 v[6:7], v[0:1], 0, s[4:5]
	v_mad_u64_u32 v[78:79], s[4:5], s14, v6, v[2:3]
	v_mad_u64_u32 v[80:81], s[4:5], s14, v6, v[8:9]
	v_mul_lo_u32 v7, s14, v7
	v_mul_lo_u32 v10, s15, v6
	s_mov_b64 s[4:5], 0x50
	v_add3_u32 v79, v10, v79, v7
	v_add3_u32 v81, v10, v81, v7
	v_lshl_add_u64 v[6:7], v[0:1], 0, s[4:5]
	v_mad_u64_u32 v[82:83], s[4:5], s14, v6, v[2:3]
	v_mad_u64_u32 v[84:85], s[4:5], s14, v6, v[8:9]
	v_mul_lo_u32 v7, s14, v7
	v_mul_lo_u32 v10, s15, v6
	s_mov_b64 s[4:5], 0x54
	v_add3_u32 v83, v10, v83, v7
	;; [unrolled: 8-line block ×11, first 2 shown]
	v_add3_u32 v121, v10, v121, v7
	v_lshl_add_u64 v[6:7], v[0:1], 0, s[4:5]
	v_mad_u64_u32 v[122:123], s[4:5], s14, v6, v[2:3]
	v_mad_u64_u32 v[124:125], s[4:5], s14, v6, v[8:9]
	s_mov_b64 s[4:5], 0x7c
	v_mul_lo_u32 v7, s14, v7
	v_mul_lo_u32 v10, s15, v6
	v_lshl_add_u64 v[0:1], v[0:1], 0, s[4:5]
	v_lshlrev_b32_e32 v130, 5, v31
	v_add3_u32 v123, v10, v123, v7
	v_add3_u32 v125, v10, v125, v7
	v_mad_u64_u32 v[126:127], s[4:5], s14, v0, v[2:3]
	v_mad_u64_u32 v[128:129], s[4:5], s14, v0, v[8:9]
	v_mul_lo_u32 v1, s14, v1
	v_mul_lo_u32 v0, s15, v0
	v_lshl_add_u64 v[6:7], v[130:131], 0, s[20:21]
	v_add3_u32 v127, v0, v127, v1
	v_add3_u32 v129, v0, v129, v1
	v_lshl_add_u64 v[0:1], v[6:7], 0, 31
	v_mul_lo_u32 v2, s15, v0
	v_mul_lo_u32 v1, s14, v1
	v_mad_u64_u32 v[136:137], s[4:5], s14, v0, 0
	v_add3_u32 v137, v137, v1, v2
	v_lshl_add_u64 v[2:3], v[6:7], 0, 30
	v_mul_lo_u32 v0, s15, v2
	v_mul_lo_u32 v1, s14, v3
	v_mad_u64_u32 v[2:3], s[4:5], s14, v2, 0
	v_lshl_add_u64 v[8:9], v[6:7], 0, 29
	v_accvgpr_write_b32 a77, v13
	v_add3_u32 v3, v3, v1, v0
	v_mul_lo_u32 v0, s15, v8
	v_mul_lo_u32 v1, s14, v9
	v_mad_u64_u32 v[8:9], s[4:5], s14, v8, 0
	v_lshl_add_u64 v[10:11], v[6:7], 0, 28
	v_accvgpr_write_b32 a76, v12
	v_add3_u32 v9, v9, v1, v0
	;; [unrolled: 6-line block ×3, first 2 shown]
	v_mul_lo_u32 v0, s15, v12
	v_mul_lo_u32 v1, s14, v13
	v_mad_u64_u32 v[12:13], s[4:5], s14, v12, 0
	v_lshl_add_u64 v[14:15], v[6:7], 0, 26
	v_accvgpr_write_b32 a45, v19
	v_accvgpr_write_b32 a42, v16
	v_add3_u32 v13, v13, v1, v0
	v_mul_lo_u32 v0, s15, v14
	v_mul_lo_u32 v1, s14, v15
	v_mad_u64_u32 v[14:15], s[4:5], s14, v14, 0
	v_lshl_add_u64 v[16:17], v[6:7], 0, 25
	v_accvgpr_write_b32 a44, v18
	v_add3_u32 v15, v15, v1, v0
	v_mul_lo_u32 v0, s15, v16
	v_mul_lo_u32 v1, s14, v17
	v_mad_u64_u32 v[16:17], s[4:5], s14, v16, 0
	v_lshl_add_u64 v[18:19], v[6:7], 0, 24
	v_add3_u32 v61, v30, v61, v21
	v_add3_u32 v17, v17, v1, v0
	v_mul_lo_u32 v0, s15, v18
	v_mul_lo_u32 v1, s14, v19
	v_mad_u64_u32 v[18:19], s[4:5], s14, v18, 0
	v_lshl_add_u64 v[20:21], v[6:7], 0, 23
	v_add3_u32 v63, v24, v63, v23
	v_add3_u32 v19, v19, v1, v0
	v_mul_lo_u32 v0, s15, v20
	v_mul_lo_u32 v1, s14, v21
	v_mad_u64_u32 v[20:21], s[4:5], s14, v20, 0
	v_lshl_add_u64 v[22:23], v[6:7], 0, 22
	v_lshlrev_b64 v[2:3], 2, v[2:3]
	v_add3_u32 v21, v21, v1, v0
	v_mul_lo_u32 v0, s15, v22
	v_mul_lo_u32 v1, s14, v23
	v_mad_u64_u32 v[22:23], s[4:5], s14, v22, 0
	v_lshl_add_u64 v[24:25], v[6:7], 0, 21
	v_lshl_add_u64 v[140:141], s[16:17], 0, v[2:3]
	v_lshl_add_u64 v[142:143], s[18:19], 0, v[2:3]
	v_lshlrev_b64 v[2:3], 2, v[8:9]
	v_add3_u32 v23, v23, v1, v0
	v_mul_lo_u32 v0, s15, v24
	v_mul_lo_u32 v1, s14, v25
	v_mad_u64_u32 v[24:25], s[4:5], s14, v24, 0
	v_lshl_add_u64 v[26:27], v[6:7], 0, 20
	v_lshl_add_u64 v[144:145], s[16:17], 0, v[2:3]
	;; [unrolled: 8-line block ×3, first 2 shown]
	v_lshl_add_u64 v[150:151], s[18:19], 0, v[2:3]
	v_lshlrev_b64 v[2:3], 2, v[12:13]
	v_accvgpr_write_b32 a1, v31
	v_add3_u32 v27, v27, v1, v0
	v_mul_lo_u32 v0, s15, v28
	v_mul_lo_u32 v1, s14, v29
	v_mad_u64_u32 v[28:29], s[4:5], s14, v28, 0
	v_lshl_add_u64 v[30:31], v[6:7], 0, 18
	v_lshl_add_u64 v[152:153], s[16:17], 0, v[2:3]
	v_lshl_add_u64 v[154:155], s[18:19], 0, v[2:3]
	v_lshlrev_b64 v[2:3], 2, v[14:15]
	v_add3_u32 v29, v29, v1, v0
	v_mul_lo_u32 v0, s15, v30
	v_mul_lo_u32 v1, s14, v31
	v_mad_u64_u32 v[30:31], s[4:5], s14, v30, 0
	v_lshl_add_u64 v[32:33], v[6:7], 0, 17
	v_lshl_add_u64 v[156:157], s[16:17], 0, v[2:3]
	v_lshl_add_u64 v[158:159], s[18:19], 0, v[2:3]
	v_lshlrev_b64 v[2:3], 2, v[16:17]
	;; [unrolled: 8-line block ×17, first 2 shown]
	v_add3_u32 v249, v249, v1, v0
	v_mul_lo_u32 v0, s15, v132
	v_mul_lo_u32 v1, s14, v133
	v_mad_u64_u32 v[252:253], s[4:5], s14, v132, 0
	v_mov_b64_e32 v[132:133], s[14:15]
	s_load_dword s3, s[0:1], 0x44
	v_lshl_add_u64 v[220:221], s[16:17], 0, v[2:3]
	v_lshl_add_u64 v[222:223], s[18:19], 0, v[2:3]
	v_lshlrev_b64 v[2:3], 2, v[224:225]
	v_add3_u32 v253, v253, v1, v0
	v_mad_u64_u32 v[0:1], s[4:5], s14, v6, v[132:133]
	v_mul_lo_u32 v44, s15, v6
	v_mul_lo_u32 v45, s14, v7
	v_mad_u64_u32 v[6:7], s[4:5], s14, v6, 0
	v_lshl_add_u64 v[224:225], s[16:17], 0, v[2:3]
	v_lshl_add_u64 v[226:227], s[18:19], 0, v[2:3]
	v_lshlrev_b64 v[2:3], 2, v[228:229]
	v_add3_u32 v7, v7, v45, v44
	v_lshl_add_u64 v[228:229], s[16:17], 0, v[2:3]
	v_lshl_add_u64 v[230:231], s[18:19], 0, v[2:3]
	v_lshlrev_b64 v[2:3], 2, v[232:233]
	v_lshlrev_b64 v[6:7], 2, v[6:7]
	v_lshl_add_u64 v[232:233], s[16:17], 0, v[2:3]
	v_lshl_add_u64 v[234:235], s[18:19], 0, v[2:3]
	v_lshlrev_b64 v[2:3], 2, v[236:237]
	s_add_u32 s22, s0, 64
	v_lshl_add_u64 v[132:133], s[16:17], 0, v[6:7]
	v_lshl_add_u64 v[134:135], s[18:19], 0, v[6:7]
	v_lshlrev_b64 v[6:7], 2, v[136:137]
	v_lshl_add_u64 v[236:237], s[16:17], 0, v[2:3]
	v_lshl_add_u64 v[238:239], s[18:19], 0, v[2:3]
	v_lshlrev_b64 v[2:3], 2, v[240:241]
	s_addc_u32 s23, s1, 0
	s_waitcnt lgkmcnt(0)
	s_lshl_b32 s4, s3, 5
	v_lshl_add_u64 v[136:137], s[16:17], 0, v[6:7]
	v_lshl_add_u64 v[138:139], s[18:19], 0, v[6:7]
	;; [unrolled: 1-line block ×4, first 2 shown]
	v_lshlrev_b64 v[2:3], 2, v[244:245]
	v_mbcnt_lo_u32_b32 v6, -1, 0
	v_add3_u32 v1, v44, v1, v45
	s_mul_i32 s3, s15, s4
	s_mul_hi_u32 s9, s14, s4
	v_lshl_add_u64 v[244:245], s[16:17], 0, v[2:3]
	v_lshl_add_u64 v[246:247], s[18:19], 0, v[2:3]
	v_lshlrev_b64 v[2:3], 2, v[248:249]
	v_mbcnt_hi_u32_b32 v6, -1, v6
	s_add_i32 s25, s9, s3
	s_mul_i32 s24, s14, s4
	v_lshl_add_u64 v[248:249], s[16:17], 0, v[2:3]
	v_lshl_add_u64 v[250:251], s[18:19], 0, v[2:3]
	v_lshlrev_b64 v[2:3], 2, v[252:253]
	v_lshlrev_b64 v[0:1], 2, v[0:1]
	v_lshlrev_b32_e32 v6, 2, v6
	v_accvgpr_write_b32 a3, v131
	s_mov_b32 s5, 0
	s_lshl_b64 s[24:25], s[24:25], 2
	s_mov_b64 s[26:27], 31
	v_lshl_add_u64 v[252:253], s[16:17], 0, v[2:3]
	v_lshl_add_u64 v[254:255], s[18:19], 0, v[2:3]
	;; [unrolled: 1-line block ×4, first 2 shown]
	v_and_b32_e32 v30, 0x100, v6
	s_mov_b64 s[16:17], s[20:21]
	v_mov_b32_e32 v33, 0
.LBB143_150:                            ; =>This Inner Loop Header: Depth=1
	s_add_u32 s18, s20, s26
	s_addc_u32 s19, 0, s27
	v_mov_b64_e32 v[6:7], s[12:13]
	v_cmp_ge_i64_e32 vcc, s[18:19], v[6:7]
	v_lshl_add_u64 v[6:7], s[20:21], 0, v[130:131]
	s_cbranch_vccz .LBB143_220
; %bb.151:                              ;   in Loop: Header=BB143_150 Depth=1
	s_load_dword s3, s[22:23], 0xc
	v_mov_b32_e32 v8, 0
	v_accvgpr_write_b32 a75, v8             ;  Reload Reuse
	v_accvgpr_read_b32 v8, a0
	v_accvgpr_read_b32 v9, a1
	s_waitcnt lgkmcnt(0)
	s_and_b32 s3, s3, 0xffff
	v_mad_u32_u24 v8, v9, s3, v8
	v_and_b32_e32 v8, 63, v8
	v_accvgpr_read_b32 v9, a3
	v_accvgpr_write_b32 a2, v8
	v_accvgpr_write_b32 a3, v9
	v_cmp_gt_u32_e32 vcc, 32, v8
	v_mov_b32_e32 v32, 0
	s_and_saveexec_b64 s[18:19], vcc
	s_cbranch_execz .LBB143_155
; %bb.152:                              ;   in Loop: Header=BB143_150 Depth=1
	v_accvgpr_read_b32 v9, a3
	v_accvgpr_read_b32 v8, a2
	v_lshl_add_u64 v[8:9], v[6:7], 0, v[8:9]
	v_cmp_gt_i64_e32 vcc, s[12:13], v[8:9]
	v_mov_b32_e32 v32, 0
	s_and_saveexec_b64 s[28:29], vcc
	s_cbranch_execz .LBB143_154
; %bb.153:                              ;   in Loop: Header=BB143_150 Depth=1
	v_lshl_add_u64 v[8:9], v[8:9], 2, s[10:11]
	global_load_dword v32, v[8:9], off
.LBB143_154:                            ;   in Loop: Header=BB143_150 Depth=1
	s_or_b64 exec, exec, s[28:29]
.LBB143_155:                            ;   in Loop: Header=BB143_150 Depth=1
	s_or_b64 exec, exec, s[18:19]
	v_cmp_gt_i64_e32 vcc, s[12:13], v[6:7]
	v_mov_b32_e32 v46, 0
	s_and_saveexec_b64 s[18:19], vcc
	s_cbranch_execz .LBB143_157
; %bb.156:                              ;   in Loop: Header=BB143_150 Depth=1
	v_lshl_add_u64 v[8:9], v[132:133], 0, v[4:5]
	global_load_dword v8, v[8:9], off
	s_waitcnt vmcnt(0)
	v_accvgpr_write_b32 a75, v8             ;  Reload Reuse
	v_lshl_add_u64 v[8:9], v[134:135], 0, v[4:5]
	global_load_dword v46, v[8:9], off
.LBB143_157:                            ;   in Loop: Header=BB143_150 Depth=1
	s_or_b64 exec, exec, s[18:19]
	v_lshl_add_u64 v[8:9], v[6:7], 0, 1
	v_cmp_gt_i64_e32 vcc, s[12:13], v[8:9]
	v_mov_b32_e32 v8, 0
	v_mov_b32_e32 v74, 0
	;; [unrolled: 1-line block ×3, first 2 shown]
	v_accvgpr_write_b32 a78, v8             ;  Reload Reuse
	s_and_saveexec_b64 s[18:19], vcc
	s_cbranch_execz .LBB143_159
; %bb.158:                              ;   in Loop: Header=BB143_150 Depth=1
	v_lshl_add_u64 v[8:9], v[2:3], 0, v[4:5]
	global_load_dword v75, v[8:9], off
	v_lshl_add_u64 v[8:9], v[0:1], 0, v[4:5]
	global_load_dword v8, v[8:9], off
	s_waitcnt vmcnt(0)
	v_accvgpr_write_b32 a78, v8             ;  Reload Reuse
.LBB143_159:                            ;   in Loop: Header=BB143_150 Depth=1
	s_or_b64 exec, exec, s[18:19]
	v_lshl_add_u64 v[8:9], v[6:7], 0, 2
	v_cmp_gt_i64_e32 vcc, s[12:13], v[8:9]
	v_mov_b32_e32 v8, 0
	v_accvgpr_write_b32 a79, v8             ;  Reload Reuse
	s_and_saveexec_b64 s[18:19], vcc
	s_cbranch_execz .LBB143_161
; %bb.160:                              ;   in Loop: Header=BB143_150 Depth=1
	v_lshl_add_u64 v[8:9], v[252:253], 0, v[4:5]
	global_load_dword v74, v[8:9], off
	v_lshl_add_u64 v[8:9], v[254:255], 0, v[4:5]
	global_load_dword v8, v[8:9], off
	s_waitcnt vmcnt(0)
	v_accvgpr_write_b32 a79, v8             ;  Reload Reuse
.LBB143_161:                            ;   in Loop: Header=BB143_150 Depth=1
	s_or_b64 exec, exec, s[18:19]
	v_lshl_add_u64 v[8:9], v[6:7], 0, 3
	v_cmp_gt_i64_e32 vcc, s[12:13], v[8:9]
	v_mov_b32_e32 v8, 0
	v_accvgpr_write_b32 a80, v8             ;  Reload Reuse
	v_mov_b32_e32 v8, 0
	v_mov_b32_e32 v47, 0
	v_accvgpr_write_b32 a81, v8             ;  Reload Reuse
	s_and_saveexec_b64 s[18:19], vcc
	s_cbranch_execz .LBB143_163
; %bb.162:                              ;   in Loop: Header=BB143_150 Depth=1
	v_lshl_add_u64 v[8:9], v[248:249], 0, v[4:5]
	global_load_dword v8, v[8:9], off
	s_waitcnt vmcnt(0)
	v_accvgpr_write_b32 a80, v8             ;  Reload Reuse
	v_lshl_add_u64 v[8:9], v[250:251], 0, v[4:5]
	global_load_dword v8, v[8:9], off
	s_waitcnt vmcnt(0)
	v_accvgpr_write_b32 a81, v8             ;  Reload Reuse
.LBB143_163:                            ;   in Loop: Header=BB143_150 Depth=1
	s_or_b64 exec, exec, s[18:19]
	v_lshl_add_u64 v[8:9], v[6:7], 0, 4
	v_cmp_gt_i64_e32 vcc, s[12:13], v[8:9]
	v_mov_b32_e32 v8, 0
	v_accvgpr_write_b32 a82, v8             ;  Reload Reuse
	s_and_saveexec_b64 s[18:19], vcc
	s_cbranch_execz .LBB143_165
; %bb.164:                              ;   in Loop: Header=BB143_150 Depth=1
	v_lshl_add_u64 v[8:9], v[244:245], 0, v[4:5]
	global_load_dword v47, v[8:9], off
	v_lshl_add_u64 v[8:9], v[246:247], 0, v[4:5]
	global_load_dword v8, v[8:9], off
	s_waitcnt vmcnt(0)
	v_accvgpr_write_b32 a82, v8             ;  Reload Reuse
.LBB143_165:                            ;   in Loop: Header=BB143_150 Depth=1
	s_or_b64 exec, exec, s[18:19]
	v_lshl_add_u64 v[8:9], v[6:7], 0, 5
	v_cmp_gt_i64_e32 vcc, s[12:13], v[8:9]
	v_mov_b32_e32 v8, 0
	v_accvgpr_write_b32 a83, v8             ;  Reload Reuse
	v_mov_b32_e32 v8, 0
	v_accvgpr_write_b32 a84, v8             ;  Reload Reuse
	v_mov_b32_e32 v8, 0
	v_accvgpr_write_b32 a85, v8             ;  Reload Reuse
	s_and_saveexec_b64 s[18:19], vcc
	s_cbranch_execz .LBB143_167
; %bb.166:                              ;   in Loop: Header=BB143_150 Depth=1
	v_lshl_add_u64 v[8:9], v[240:241], 0, v[4:5]
	global_load_dword v8, v[8:9], off
	s_waitcnt vmcnt(0)
	v_accvgpr_write_b32 a84, v8             ;  Reload Reuse
	v_lshl_add_u64 v[8:9], v[242:243], 0, v[4:5]
	global_load_dword v8, v[8:9], off
	s_waitcnt vmcnt(0)
	v_accvgpr_write_b32 a85, v8             ;  Reload Reuse
.LBB143_167:                            ;   in Loop: Header=BB143_150 Depth=1
	s_or_b64 exec, exec, s[18:19]
	v_lshl_add_u64 v[8:9], v[6:7], 0, 6
	v_cmp_gt_i64_e32 vcc, s[12:13], v[8:9]
	v_mov_b32_e32 v8, 0
	v_accvgpr_write_b32 a86, v8             ;  Reload Reuse
	s_and_saveexec_b64 s[18:19], vcc
	s_cbranch_execz .LBB143_169
; %bb.168:                              ;   in Loop: Header=BB143_150 Depth=1
	v_lshl_add_u64 v[8:9], v[236:237], 0, v[4:5]
	global_load_dword v8, v[8:9], off
	s_waitcnt vmcnt(0)
	v_accvgpr_write_b32 a83, v8             ;  Reload Reuse
	v_lshl_add_u64 v[8:9], v[238:239], 0, v[4:5]
	global_load_dword v8, v[8:9], off
	s_waitcnt vmcnt(0)
	v_accvgpr_write_b32 a86, v8             ;  Reload Reuse
.LBB143_169:                            ;   in Loop: Header=BB143_150 Depth=1
	s_or_b64 exec, exec, s[18:19]
	v_lshl_add_u64 v[8:9], v[6:7], 0, 7
	v_cmp_gt_i64_e32 vcc, s[12:13], v[8:9]
	v_mov_b32_e32 v8, 0
	v_accvgpr_write_b32 a87, v8             ;  Reload Reuse
	v_mov_b32_e32 v8, 0
	v_accvgpr_write_b32 a88, v8             ;  Reload Reuse
	v_mov_b32_e32 v8, 0
	v_accvgpr_write_b32 a89, v8             ;  Reload Reuse
	s_and_saveexec_b64 s[18:19], vcc
	s_cbranch_execz .LBB143_171
; %bb.170:                              ;   in Loop: Header=BB143_150 Depth=1
	v_lshl_add_u64 v[8:9], v[232:233], 0, v[4:5]
	global_load_dword v8, v[8:9], off
	s_waitcnt vmcnt(0)
	v_accvgpr_write_b32 a88, v8             ;  Reload Reuse
	v_lshl_add_u64 v[8:9], v[234:235], 0, v[4:5]
	global_load_dword v8, v[8:9], off
	s_waitcnt vmcnt(0)
	v_accvgpr_write_b32 a89, v8             ;  Reload Reuse
.LBB143_171:                            ;   in Loop: Header=BB143_150 Depth=1
	s_or_b64 exec, exec, s[18:19]
	v_lshl_add_u64 v[8:9], v[6:7], 0, 8
	v_cmp_gt_i64_e32 vcc, s[12:13], v[8:9]
	v_mov_b32_e32 v8, 0
	v_accvgpr_write_b32 a90, v8             ;  Reload Reuse
	s_and_saveexec_b64 s[18:19], vcc
	s_cbranch_execz .LBB143_173
; %bb.172:                              ;   in Loop: Header=BB143_150 Depth=1
	v_lshl_add_u64 v[8:9], v[228:229], 0, v[4:5]
	global_load_dword v8, v[8:9], off
	s_waitcnt vmcnt(0)
	v_accvgpr_write_b32 a87, v8             ;  Reload Reuse
	v_lshl_add_u64 v[8:9], v[230:231], 0, v[4:5]
	global_load_dword v8, v[8:9], off
	s_waitcnt vmcnt(0)
	v_accvgpr_write_b32 a90, v8             ;  Reload Reuse
.LBB143_173:                            ;   in Loop: Header=BB143_150 Depth=1
	;; [unrolled: 38-line block ×3, first 2 shown]
	s_or_b64 exec, exec, s[18:19]
	v_lshl_add_u64 v[8:9], v[6:7], 0, 11
	v_cmp_gt_i64_e32 vcc, s[12:13], v[8:9]
	v_mov_b32_e32 v8, 0
	v_accvgpr_write_b32 a95, v8             ;  Reload Reuse
	v_mov_b32_e32 v8, 0
	v_accvgpr_write_b32 a96, v8             ;  Reload Reuse
	;; [unrolled: 2-line block ×3, first 2 shown]
	s_and_saveexec_b64 s[18:19], vcc
	s_cbranch_execz .LBB143_179
; %bb.178:                              ;   in Loop: Header=BB143_150 Depth=1
	v_lshl_add_u64 v[8:9], v[216:217], 0, v[4:5]
	global_load_dword v8, v[8:9], off
	s_waitcnt vmcnt(0)
	v_accvgpr_write_b32 a96, v8             ;  Reload Reuse
	v_lshl_add_u64 v[8:9], v[218:219], 0, v[4:5]
	global_load_dword v8, v[8:9], off
	s_waitcnt vmcnt(0)
	v_accvgpr_write_b32 a97, v8             ;  Reload Reuse
.LBB143_179:                            ;   in Loop: Header=BB143_150 Depth=1
	s_or_b64 exec, exec, s[18:19]
	v_lshl_add_u64 v[8:9], v[6:7], 0, 12
	v_cmp_gt_i64_e32 vcc, s[12:13], v[8:9]
	v_mov_b32_e32 v34, 0
	s_and_saveexec_b64 s[18:19], vcc
	s_cbranch_execz .LBB143_181
; %bb.180:                              ;   in Loop: Header=BB143_150 Depth=1
	v_lshl_add_u64 v[8:9], v[212:213], 0, v[4:5]
	global_load_dword v8, v[8:9], off
	s_waitcnt vmcnt(0)
	v_accvgpr_write_b32 a95, v8             ;  Reload Reuse
	v_lshl_add_u64 v[8:9], v[214:215], 0, v[4:5]
	global_load_dword v34, v[8:9], off
.LBB143_181:                            ;   in Loop: Header=BB143_150 Depth=1
	s_or_b64 exec, exec, s[18:19]
	v_lshl_add_u64 v[8:9], v[6:7], 0, 13
	v_cmp_gt_i64_e32 vcc, s[12:13], v[8:9]
	v_mov_b32_e32 v8, 0
	v_accvgpr_write_b32 a98, v8             ;  Reload Reuse
	v_mov_b32_e32 v35, 0
	v_mov_b32_e32 v36, 0
	s_and_saveexec_b64 s[18:19], vcc
	s_cbranch_execz .LBB143_183
; %bb.182:                              ;   in Loop: Header=BB143_150 Depth=1
	v_lshl_add_u64 v[8:9], v[208:209], 0, v[4:5]
	global_load_dword v35, v[8:9], off
	v_lshl_add_u64 v[8:9], v[210:211], 0, v[4:5]
	global_load_dword v36, v[8:9], off
.LBB143_183:                            ;   in Loop: Header=BB143_150 Depth=1
	s_or_b64 exec, exec, s[18:19]
	v_lshl_add_u64 v[8:9], v[6:7], 0, 14
	v_cmp_gt_i64_e32 vcc, s[12:13], v[8:9]
	v_mov_b32_e32 v37, 0
	s_and_saveexec_b64 s[18:19], vcc
	s_cbranch_execz .LBB143_185
; %bb.184:                              ;   in Loop: Header=BB143_150 Depth=1
	v_lshl_add_u64 v[8:9], v[204:205], 0, v[4:5]
	global_load_dword v8, v[8:9], off
	s_waitcnt vmcnt(0)
	v_accvgpr_write_b32 a98, v8             ;  Reload Reuse
	v_lshl_add_u64 v[8:9], v[206:207], 0, v[4:5]
	global_load_dword v37, v[8:9], off
.LBB143_185:                            ;   in Loop: Header=BB143_150 Depth=1
	s_or_b64 exec, exec, s[18:19]
	v_lshl_add_u64 v[8:9], v[6:7], 0, 15
	v_cmp_gt_i64_e32 vcc, s[12:13], v[8:9]
	v_mov_b32_e32 v8, 0
	v_accvgpr_write_b32 a99, v8             ;  Reload Reuse
	v_mov_b32_e32 v28, 0
	v_mov_b32_e32 v76, 0
	s_and_saveexec_b64 s[18:19], vcc
	s_cbranch_execz .LBB143_187
; %bb.186:                              ;   in Loop: Header=BB143_150 Depth=1
	v_lshl_add_u64 v[8:9], v[200:201], 0, v[4:5]
	global_load_dword v28, v[8:9], off
	v_lshl_add_u64 v[8:9], v[202:203], 0, v[4:5]
	global_load_dword v76, v[8:9], off
.LBB143_187:                            ;   in Loop: Header=BB143_150 Depth=1
	s_or_b64 exec, exec, s[18:19]
	v_lshl_add_u64 v[8:9], v[6:7], 0, 16
	v_cmp_gt_i64_e32 vcc, s[12:13], v[8:9]
	v_mov_b32_e32 v77, 0
	s_and_saveexec_b64 s[18:19], vcc
	s_cbranch_execz .LBB143_189
; %bb.188:                              ;   in Loop: Header=BB143_150 Depth=1
	v_lshl_add_u64 v[8:9], v[196:197], 0, v[4:5]
	global_load_dword v8, v[8:9], off
	s_waitcnt vmcnt(0)
	v_accvgpr_write_b32 a99, v8             ;  Reload Reuse
	v_lshl_add_u64 v[8:9], v[198:199], 0, v[4:5]
	global_load_dword v77, v[8:9], off
.LBB143_189:                            ;   in Loop: Header=BB143_150 Depth=1
	s_or_b64 exec, exec, s[18:19]
	v_lshl_add_u64 v[8:9], v[6:7], 0, 17
	v_cmp_gt_i64_e32 vcc, s[12:13], v[8:9]
	v_mov_b32_e32 v8, 0
	v_accvgpr_write_b32 a100, v8            ;  Reload Reuse
	v_mov_b32_e32 v38, 0
	v_mov_b32_e32 v31, 0
	s_and_saveexec_b64 s[18:19], vcc
	s_cbranch_execz .LBB143_191
; %bb.190:                              ;   in Loop: Header=BB143_150 Depth=1
	v_lshl_add_u64 v[8:9], v[192:193], 0, v[4:5]
	global_load_dword v38, v[8:9], off
	v_lshl_add_u64 v[8:9], v[194:195], 0, v[4:5]
	global_load_dword v31, v[8:9], off
.LBB143_191:                            ;   in Loop: Header=BB143_150 Depth=1
	s_or_b64 exec, exec, s[18:19]
	v_lshl_add_u64 v[8:9], v[6:7], 0, 18
	v_cmp_gt_i64_e32 vcc, s[12:13], v[8:9]
	v_mov_b32_e32 v39, 0
	s_and_saveexec_b64 s[18:19], vcc
	s_cbranch_execz .LBB143_193
; %bb.192:                              ;   in Loop: Header=BB143_150 Depth=1
	v_lshl_add_u64 v[8:9], v[188:189], 0, v[4:5]
	global_load_dword v8, v[8:9], off
	s_waitcnt vmcnt(0)
	v_accvgpr_write_b32 a100, v8            ;  Reload Reuse
	v_lshl_add_u64 v[8:9], v[190:191], 0, v[4:5]
	global_load_dword v39, v[8:9], off
.LBB143_193:                            ;   in Loop: Header=BB143_150 Depth=1
	s_or_b64 exec, exec, s[18:19]
	v_lshl_add_u64 v[8:9], v[6:7], 0, 19
	v_cmp_gt_i64_e32 vcc, s[12:13], v[8:9]
	v_mov_b32_e32 v8, 0
	v_mov_b32_e32 v40, 0
	v_mov_b32_e32 v41, 0
	s_and_saveexec_b64 s[18:19], vcc
	s_cbranch_execz .LBB143_195
; %bb.194:                              ;   in Loop: Header=BB143_150 Depth=1
	v_lshl_add_u64 v[10:11], v[184:185], 0, v[4:5]
	global_load_dword v40, v[10:11], off
	v_lshl_add_u64 v[10:11], v[186:187], 0, v[4:5]
	global_load_dword v41, v[10:11], off
.LBB143_195:                            ;   in Loop: Header=BB143_150 Depth=1
	s_or_b64 exec, exec, s[18:19]
	v_lshl_add_u64 v[10:11], v[6:7], 0, 20
	v_cmp_gt_i64_e32 vcc, s[12:13], v[10:11]
	v_mov_b32_e32 v14, 0
	s_and_saveexec_b64 s[18:19], vcc
	s_cbranch_execz .LBB143_197
; %bb.196:                              ;   in Loop: Header=BB143_150 Depth=1
	v_lshl_add_u64 v[8:9], v[180:181], 0, v[4:5]
	v_lshl_add_u64 v[10:11], v[182:183], 0, v[4:5]
	global_load_dword v8, v[8:9], off
	s_nop 0
	global_load_dword v14, v[10:11], off
.LBB143_197:                            ;   in Loop: Header=BB143_150 Depth=1
	s_or_b64 exec, exec, s[18:19]
	v_lshl_add_u64 v[10:11], v[6:7], 0, 21
	v_cmp_gt_i64_e32 vcc, s[12:13], v[10:11]
	v_mov_b32_e32 v10, 0
	v_mov_b32_e32 v9, 0
	v_mov_b32_e32 v15, 0
	s_and_saveexec_b64 s[18:19], vcc
	s_cbranch_execz .LBB143_199
; %bb.198:                              ;   in Loop: Header=BB143_150 Depth=1
	v_lshl_add_u64 v[12:13], v[176:177], 0, v[4:5]
	global_load_dword v9, v[12:13], off
	v_lshl_add_u64 v[12:13], v[178:179], 0, v[4:5]
	global_load_dword v15, v[12:13], off
.LBB143_199:                            ;   in Loop: Header=BB143_150 Depth=1
	s_or_b64 exec, exec, s[18:19]
	v_lshl_add_u64 v[12:13], v[6:7], 0, 22
	v_cmp_gt_i64_e32 vcc, s[12:13], v[12:13]
	v_mov_b32_e32 v18, 0
	s_and_saveexec_b64 s[18:19], vcc
	s_cbranch_execz .LBB143_201
; %bb.200:                              ;   in Loop: Header=BB143_150 Depth=1
	v_lshl_add_u64 v[10:11], v[172:173], 0, v[4:5]
	v_lshl_add_u64 v[12:13], v[174:175], 0, v[4:5]
	global_load_dword v10, v[10:11], off
	s_nop 0
	global_load_dword v18, v[12:13], off
.LBB143_201:                            ;   in Loop: Header=BB143_150 Depth=1
	;; [unrolled: 27-line block ×6, first 2 shown]
	s_or_b64 exec, exec, s[18:19]
	v_lshl_add_u64 v[44:45], v[6:7], 0, 31
	v_cmp_gt_i64_e32 vcc, s[12:13], v[44:45]
	v_mov_b32_e32 v29, 0
	s_and_saveexec_b64 s[18:19], vcc
	s_cbranch_execz .LBB143_219
; %bb.218:                              ;   in Loop: Header=BB143_150 Depth=1
	v_lshl_add_u64 v[44:45], v[136:137], 0, v[4:5]
	global_load_dword v29, v[44:45], off
	v_lshl_add_u64 v[44:45], v[138:139], 0, v[4:5]
	global_load_dword v44, v[44:45], off
	s_waitcnt vmcnt(0)
	v_mul_f32_e32 v29, v29, v44
.LBB143_219:                            ;   in Loop: Header=BB143_150 Depth=1
	s_or_b64 exec, exec, s[18:19]
	s_waitcnt vmcnt(0)
	ds_bpermute_b32 v44, v30, v32
	v_accvgpr_read_b32 v45, a75             ;  Reload Reuse
	v_mul_f32_e32 v45, v45, v46
	v_accvgpr_read_b32 v46, a78             ;  Reload Reuse
	v_mul_f32_e32 v46, v75, v46
	s_waitcnt lgkmcnt(0)
	v_fma_f32 v44, v45, v44, v33
	ds_bpermute_b32 v45, v30, v32 offset:4
	v_mul_f32_e32 v31, v38, v31
	v_pk_mul_f32 v[8:9], v[8:9], v[14:15]
	v_pk_mul_f32 v[10:11], v[10:11], v[18:19]
	s_waitcnt lgkmcnt(0)
	v_fmac_f32_e32 v44, v46, v45
	ds_bpermute_b32 v45, v30, v32 offset:8
	v_accvgpr_read_b32 v46, a79             ;  Reload Reuse
	v_mul_f32_e32 v46, v74, v46
	v_accvgpr_read_b32 v74, a81             ;  Reload Reuse
	s_waitcnt lgkmcnt(0)
	v_fmac_f32_e32 v44, v46, v45
	ds_bpermute_b32 v45, v30, v32 offset:12
	v_accvgpr_read_b32 v46, a80             ;  Reload Reuse
	v_mul_f32_e32 v46, v46, v74
	s_waitcnt lgkmcnt(0)
	v_fmac_f32_e32 v44, v46, v45
	ds_bpermute_b32 v45, v30, v32 offset:16
	v_accvgpr_read_b32 v46, a82             ;  Reload Reuse
	v_mul_f32_e32 v46, v47, v46
	v_accvgpr_read_b32 v47, a85             ;  Reload Reuse
	s_waitcnt lgkmcnt(0)
	v_fmac_f32_e32 v44, v46, v45
	ds_bpermute_b32 v45, v30, v32 offset:20
	v_accvgpr_read_b32 v46, a84             ;  Reload Reuse
	v_mul_f32_e32 v46, v46, v47
	v_accvgpr_read_b32 v47, a86             ;  Reload Reuse
	;; [unrolled: 6-line block ×7, first 2 shown]
	s_waitcnt lgkmcnt(0)
	v_fmac_f32_e32 v44, v46, v45
	ds_bpermute_b32 v45, v30, v32 offset:44
	v_accvgpr_read_b32 v46, a96             ;  Reload Reuse
	v_mul_f32_e32 v46, v46, v47
	s_waitcnt lgkmcnt(0)
	v_fmac_f32_e32 v44, v46, v45
	ds_bpermute_b32 v45, v30, v32 offset:48
	v_accvgpr_read_b32 v46, a95             ;  Reload Reuse
	v_mul_f32_e32 v46, v46, v34
	v_mul_f32_e32 v34, v35, v36
	s_waitcnt lgkmcnt(0)
	v_fmac_f32_e32 v44, v46, v45
	ds_bpermute_b32 v45, v30, v32 offset:52
	s_waitcnt lgkmcnt(0)
	v_fmac_f32_e32 v44, v34, v45
	ds_bpermute_b32 v34, v30, v32 offset:56
	v_accvgpr_read_b32 v45, a98             ;  Reload Reuse
	v_mul_f32_e32 v35, v45, v37
	s_waitcnt lgkmcnt(0)
	v_fmac_f32_e32 v44, v35, v34
	ds_bpermute_b32 v34, v30, v32 offset:60
	v_mul_f32_e32 v35, v28, v76
	s_waitcnt lgkmcnt(0)
	v_fmac_f32_e32 v44, v35, v34
	ds_bpermute_b32 v34, v30, v32 offset:64
	v_accvgpr_read_b32 v35, a99             ;  Reload Reuse
	v_mul_f32_e32 v28, v35, v77
	ds_bpermute_b32 v35, v30, v32 offset:84
	s_waitcnt lgkmcnt(1)
	v_fmac_f32_e32 v44, v28, v34
	ds_bpermute_b32 v28, v30, v32 offset:68
	ds_bpermute_b32 v34, v30, v32 offset:80
	s_waitcnt lgkmcnt(1)
	v_fmac_f32_e32 v44, v31, v28
	ds_bpermute_b32 v28, v30, v32 offset:72
	v_accvgpr_read_b32 v31, a100            ;  Reload Reuse
	v_mul_f32_e32 v31, v31, v39
	s_waitcnt lgkmcnt(1)
	v_pk_mul_f32 v[8:9], v[8:9], v[34:35]
	s_waitcnt lgkmcnt(0)
	v_fmac_f32_e32 v44, v31, v28
	ds_bpermute_b32 v28, v30, v32 offset:76
	v_mul_f32_e32 v31, v40, v41
	s_waitcnt lgkmcnt(0)
	v_fmac_f32_e32 v44, v31, v28
	v_add_f32_e32 v8, v44, v8
	v_add_f32_e32 v14, v8, v9
	ds_bpermute_b32 v8, v30, v32 offset:88
	ds_bpermute_b32 v9, v30, v32 offset:92
	v_mul_f32_e32 v28, v42, v43
	s_waitcnt lgkmcnt(0)
	v_pk_mul_f32 v[8:9], v[10:11], v[8:9]
	s_nop 0
	v_add_f32_e32 v8, v14, v8
	v_add_f32_e32 v14, v8, v9
	ds_bpermute_b32 v8, v30, v32 offset:96
	ds_bpermute_b32 v9, v30, v32 offset:100
	v_pk_mul_f32 v[10:11], v[12:13], v[22:23]
	s_waitcnt lgkmcnt(0)
	v_pk_mul_f32 v[8:9], v[10:11], v[8:9]
	s_nop 0
	v_add_f32_e32 v8, v14, v8
	v_add_f32_e32 v12, v8, v9
	ds_bpermute_b32 v8, v30, v32 offset:104
	ds_bpermute_b32 v9, v30, v32 offset:108
	v_pk_mul_f32 v[10:11], v[16:17], v[24:25]
	s_waitcnt lgkmcnt(0)
	v_pk_mul_f32 v[8:9], v[10:11], v[8:9]
	s_nop 0
	v_add_f32_e32 v8, v12, v8
	v_add_f32_e32 v12, v8, v9
	ds_bpermute_b32 v8, v30, v32 offset:112
	ds_bpermute_b32 v9, v30, v32 offset:116
	v_pk_mul_f32 v[10:11], v[20:21], v[26:27]
	s_waitcnt lgkmcnt(0)
	v_pk_mul_f32 v[8:9], v[10:11], v[8:9]
	s_nop 0
	v_add_f32_e32 v8, v12, v8
	v_add_f32_e32 v10, v8, v9
	ds_bpermute_b32 v8, v30, v32 offset:120
	ds_bpermute_b32 v9, v30, v32 offset:124
	s_waitcnt lgkmcnt(0)
	v_pk_mul_f32 v[8:9], v[28:29], v[8:9]
	s_nop 0
	v_add_f32_e32 v8, v10, v8
	v_add_f32_e32 v31, v8, v9
	s_branch .LBB143_226
.LBB143_220:                            ;   in Loop: Header=BB143_150 Depth=1
                                        ; implicit-def: $vgpr31
	s_cbranch_execz .LBB143_226
; %bb.221:                              ;   in Loop: Header=BB143_150 Depth=1
	s_load_dword s3, s[22:23], 0x0
	v_accvgpr_read_b32 v11, a3
	v_accvgpr_read_b32 v9, a0
	;; [unrolled: 1-line block ×3, first 2 shown]
	v_mov_b32_e32 v31, 0
	s_waitcnt lgkmcnt(0)
	s_cmp_lt_u32 s2, s3
	s_cselect_b32 s3, 12, 18
	s_add_u32 s18, s22, s3
	s_addc_u32 s19, s23, 0
	global_load_ushort v8, v11, s[18:19]
	s_waitcnt vmcnt(0)
	v_mad_u32_u24 v8, v10, v8, v9
	v_and_b32_e32 v10, 63, v8
	v_accvgpr_write_b32 a2, v10
	v_accvgpr_write_b32 a3, v11
	v_cmp_gt_u32_e32 vcc, 32, v10
	s_and_saveexec_b64 s[18:19], vcc
	s_cbranch_execz .LBB143_225
; %bb.222:                              ;   in Loop: Header=BB143_150 Depth=1
	v_accvgpr_read_b32 v9, a3
	v_accvgpr_read_b32 v8, a2
	v_lshl_add_u64 v[6:7], v[6:7], 0, v[8:9]
	v_cmp_gt_i64_e32 vcc, s[12:13], v[6:7]
	v_mov_b32_e32 v31, 0
	s_and_saveexec_b64 s[28:29], vcc
	s_cbranch_execz .LBB143_224
; %bb.223:                              ;   in Loop: Header=BB143_150 Depth=1
	v_lshl_add_u64 v[6:7], v[6:7], 2, s[10:11]
	global_load_dword v31, v[6:7], off
.LBB143_224:                            ;   in Loop: Header=BB143_150 Depth=1
	s_or_b64 exec, exec, s[28:29]
.LBB143_225:                            ;   in Loop: Header=BB143_150 Depth=1
	s_or_b64 exec, exec, s[18:19]
	v_lshl_add_u64 v[6:7], v[132:133], 0, v[4:5]
	global_load_dword v32, v[6:7], off
	v_lshl_add_u64 v[6:7], v[134:135], 0, v[4:5]
	global_load_dword v36, v[6:7], off
	;; [unrolled: 2-line block ×11, first 2 shown]
	v_accvgpr_read_b32 v6, a30
	v_accvgpr_read_b32 v7, a31
	v_lshl_add_u64 v[6:7], v[6:7], 0, v[4:5]
	global_load_dword v46, v[6:7], off
	v_lshl_add_u64 v[6:7], v[58:59], 0, v[4:5]
	global_load_dword v47, v[6:7], off
	v_accvgpr_read_b32 v6, a32
	v_accvgpr_read_b32 v7, a33
	v_lshl_add_u64 v[6:7], v[6:7], 0, v[4:5]
	v_accvgpr_write_b32 a4, v48
	v_accvgpr_write_b32 a5, v49
	global_load_dword v48, v[6:7], off
	v_lshl_add_u64 v[6:7], v[60:61], 0, v[4:5]
	global_load_dword v49, v[6:7], off
	v_accvgpr_read_b32 v6, a36
	v_accvgpr_read_b32 v7, a37
	v_lshl_add_u64 v[6:7], v[6:7], 0, v[4:5]
	v_accvgpr_write_b32 a6, v50
	v_accvgpr_write_b32 a7, v51
	;; [unrolled: 8-line block ×4, first 2 shown]
	global_load_dword v54, v[6:7], off
	v_accvgpr_read_b32 v6, a34
	v_accvgpr_read_b32 v7, a35
	v_lshl_add_u64 v[6:7], v[6:7], 0, v[4:5]
	global_load_dword v55, v[6:7], off
	v_accvgpr_read_b32 v6, a44
	v_accvgpr_read_b32 v7, a45
	v_lshl_add_u64 v[6:7], v[6:7], 0, v[4:5]
	v_accvgpr_write_b32 a12, v56
	v_accvgpr_write_b32 a13, v57
	global_load_dword v56, v[6:7], off
	v_accvgpr_read_b32 v6, a42
	v_accvgpr_read_b32 v7, a43
	v_lshl_add_u64 v[6:7], v[6:7], 0, v[4:5]
	global_load_dword v57, v[6:7], off
	v_accvgpr_read_b32 v6, a46
	v_accvgpr_read_b32 v7, a47
	v_lshl_add_u64 v[6:7], v[6:7], 0, v[4:5]
	v_accvgpr_write_b32 a14, v58
	v_accvgpr_write_b32 a15, v59
	;; [unrolled: 10-line block ×9, first 2 shown]
	global_load_dword v72, v[6:7], off
	v_lshl_add_u64 v[6:7], v[78:79], 0, v[4:5]
	global_load_dword v73, v[6:7], off
	v_lshl_add_u64 v[6:7], v[80:81], 0, v[4:5]
	;; [unrolled: 2-line block ×23, first 2 shown]
	v_lshl_add_u64 v[34:35], v[126:127], 0, v[4:5]
	global_load_dword v6, v[6:7], off
	v_lshl_add_u64 v[8:9], v[124:125], 0, v[4:5]
	global_load_dword v7, v[34:35], off
	;; [unrolled: 2-line block ×3, first 2 shown]
	s_waitcnt vmcnt(61)
	v_mul_f32_e32 v32, v32, v36
	global_load_dword v9, v[34:35], off
	ds_bpermute_b32 v34, v30, v31
	ds_bpermute_b32 v35, v30, v31 offset:84
	s_waitcnt lgkmcnt(1)
	v_fmac_f32_e32 v33, v32, v34
	ds_bpermute_b32 v32, v30, v31 offset:4
	s_waitcnt vmcnt(60)
	v_mul_f32_e32 v34, v37, v38
	s_waitcnt lgkmcnt(0)
	v_fmac_f32_e32 v33, v34, v32
	ds_bpermute_b32 v32, v30, v31 offset:8
	s_waitcnt vmcnt(58)
	v_mul_f32_e32 v34, v39, v40
	;; [unrolled: 5-line block ×6, first 2 shown]
	s_waitcnt vmcnt(20)
	v_pk_mul_f32 v[26:27], v[26:27], v[28:29]
	s_waitcnt lgkmcnt(0)
	v_fmac_f32_e32 v33, v34, v32
	ds_bpermute_b32 v32, v30, v31 offset:28
	v_mul_f32_e32 v34, v49, v50
	v_accvgpr_read_b32 v49, a5
	v_accvgpr_read_b32 v48, a4
	s_waitcnt vmcnt(16)
	v_pk_mul_f32 v[22:23], v[22:23], v[24:25]
	s_waitcnt lgkmcnt(0)
	v_fmac_f32_e32 v33, v34, v32
	ds_bpermute_b32 v32, v30, v31 offset:32
	v_mul_f32_e32 v34, v51, v52
	v_accvgpr_read_b32 v51, a7
	v_accvgpr_read_b32 v50, a6
	s_waitcnt lgkmcnt(0)
	v_fmac_f32_e32 v33, v34, v32
	ds_bpermute_b32 v32, v30, v31 offset:36
	v_mul_f32_e32 v34, v53, v54
	s_waitcnt vmcnt(12)
	v_pk_mul_f32 v[18:19], v[18:19], v[20:21]
	v_accvgpr_read_b32 v53, a9
	v_accvgpr_read_b32 v52, a8
	s_waitcnt lgkmcnt(0)
	v_fmac_f32_e32 v33, v34, v32
	ds_bpermute_b32 v32, v30, v31 offset:40
	v_mul_f32_e32 v34, v55, v56
	s_waitcnt vmcnt(8)
	v_pk_mul_f32 v[14:15], v[14:15], v[16:17]
	v_accvgpr_read_b32 v55, a11
	v_accvgpr_read_b32 v54, a10
	s_waitcnt lgkmcnt(0)
	v_fmac_f32_e32 v33, v34, v32
	ds_bpermute_b32 v32, v30, v31 offset:44
	v_mul_f32_e32 v34, v57, v58
	v_accvgpr_read_b32 v57, a13
	v_accvgpr_read_b32 v56, a12
	s_waitcnt vmcnt(4)
	v_pk_mul_f32 v[10:11], v[10:11], v[12:13]
	s_waitcnt lgkmcnt(0)
	v_fmac_f32_e32 v33, v34, v32
	ds_bpermute_b32 v32, v30, v31 offset:48
	v_mul_f32_e32 v34, v59, v60
	v_accvgpr_read_b32 v59, a15
	v_accvgpr_read_b32 v58, a14
	s_waitcnt lgkmcnt(0)
	v_fmac_f32_e32 v33, v34, v32
	ds_bpermute_b32 v32, v30, v31 offset:52
	v_mul_f32_e32 v34, v61, v62
	s_waitcnt vmcnt(0)
	v_pk_mul_f32 v[6:7], v[6:7], v[8:9]
	v_accvgpr_read_b32 v61, a17
	v_accvgpr_read_b32 v60, a16
	s_waitcnt lgkmcnt(0)
	v_fmac_f32_e32 v33, v34, v32
	ds_bpermute_b32 v32, v30, v31 offset:56
	v_mul_f32_e32 v34, v63, v64
	v_accvgpr_read_b32 v63, a19
	v_accvgpr_read_b32 v62, a18
	s_waitcnt lgkmcnt(0)
	v_fmac_f32_e32 v33, v34, v32
	ds_bpermute_b32 v32, v30, v31 offset:60
	v_mul_f32_e32 v34, v65, v66
	;; [unrolled: 6-line block ×6, first 2 shown]
	v_accvgpr_read_b32 v73, a29
	v_accvgpr_read_b32 v72, a28
	s_waitcnt lgkmcnt(0)
	v_fmac_f32_e32 v33, v34, v32
	ds_bpermute_b32 v34, v30, v31 offset:80
	s_waitcnt lgkmcnt(0)
	v_pk_mul_f32 v[26:27], v[26:27], v[34:35]
	s_nop 0
	v_add_f32_e32 v26, v33, v26
	v_add_f32_e32 v28, v26, v27
	ds_bpermute_b32 v26, v30, v31 offset:88
	ds_bpermute_b32 v27, v30, v31 offset:92
	s_waitcnt lgkmcnt(0)
	v_pk_mul_f32 v[22:23], v[22:23], v[26:27]
	s_nop 0
	v_add_f32_e32 v22, v28, v22
	v_add_f32_e32 v24, v22, v23
	ds_bpermute_b32 v22, v30, v31 offset:96
	;; [unrolled: 7-line block ×5, first 2 shown]
	ds_bpermute_b32 v11, v30, v31 offset:124
	s_waitcnt lgkmcnt(0)
	v_pk_mul_f32 v[6:7], v[6:7], v[10:11]
	s_nop 0
	v_add_f32_e32 v6, v12, v6
	v_add_f32_e32 v31, v6, v7
.LBB143_226:                            ;   in Loop: Header=BB143_150 Depth=1
	s_add_u32 s16, s16, s4
	s_addc_u32 s17, s17, 0
	v_mov_b64_e32 v[6:7], s[12:13]
	v_cmp_ge_i64_e32 vcc, s[16:17], v[6:7]
	v_accvgpr_read_b32 v6, a34
	v_accvgpr_read_b32 v7, a35
	v_lshl_add_u64 v[6:7], v[6:7], 0, s[24:25]
	v_accvgpr_write_b32 a35, v7
	v_accvgpr_write_b32 a34, v6
	v_accvgpr_read_b32 v6, a42
	v_accvgpr_read_b32 v7, a43
	v_lshl_add_u64 v[6:7], v[6:7], 0, s[24:25]
	v_accvgpr_write_b32 a43, v7
	v_accvgpr_write_b32 a42, v6
	;; [unrolled: 5-line block ×22, first 2 shown]
	v_accvgpr_read_b32 v6, a76
	v_accvgpr_read_b32 v7, a77
	s_add_u32 s26, s26, s4
	v_lshl_add_u64 v[130:131], v[130:131], 0, s[4:5]
	v_lshl_add_u64 v[48:49], v[48:49], 0, s[24:25]
	;; [unrolled: 1-line block ×105, first 2 shown]
	s_addc_u32 s27, s27, 0
	s_cbranch_vccnz .LBB143_228
; %bb.227:                              ;   in Loop: Header=BB143_150 Depth=1
	v_accvgpr_write_b32 a77, v7
	v_accvgpr_write_b32 a76, v6
	v_mov_b32_e32 v33, v31
	s_branch .LBB143_150
.LBB143_228:
	v_accvgpr_read_b32 v0, a74
.LBB143_229:
	s_mov_b32 s3, 0
	s_lshl_b64 s[2:3], s[2:3], 6
	v_and_b32_e32 v1, 0x3ff, v0
	v_or_b32_e32 v6, s2, v1
	v_mov_b32_e32 v7, s3
	s_waitcnt lgkmcnt(0)
	s_cmp_lg_u64 s[6:7], 0
	v_cmp_gt_i64_e32 vcc, s[14:15], v[6:7]
	s_cselect_b64 s[2:3], -1, 0
	s_and_b64 s[2:3], vcc, s[2:3]
	s_and_saveexec_b64 s[4:5], s[2:3]
	s_cbranch_execz .LBB143_231
; %bb.230:
	s_load_dword s0, s[0:1], 0x4c
	v_bfe_u32 v2, v0, 10, 10
	v_mov_b32_e32 v3, 0
	v_mov_b32_e32 v4, s8
	s_waitcnt lgkmcnt(0)
	s_lshr_b32 s0, s0, 16
	v_mad_u64_u32 v[2:3], s[0:1], s0, v4, v[2:3]
	v_mul_lo_u32 v4, v3, s14
	v_mul_lo_u32 v5, v2, s15
	v_mad_u64_u32 v[2:3], s[0:1], v2, s14, 0
	v_add3_u32 v3, v3, v5, v4
	v_lshl_add_u64 v[2:3], v[2:3], 2, s[6:7]
	v_lshl_add_u64 v[0:1], v[6:7], 2, v[2:3]
	global_store_dword v[0:1], v31, off
.LBB143_231:
	s_endpgm
	.section	.rodata,"a",@progbits
	.p2align	6, 0x0
	.amdhsa_kernel _ZN2at6native12_GLOBAL__N_135GammaBetaBackwardCUDAKernelTemplateIffLj64ELj1ELj32ELb1ELb0ELb1EEEvllPKT_S5_PKT0_S8_PS3_S9_
		.amdhsa_group_segment_fixed_size 0
		.amdhsa_private_segment_fixed_size 0
		.amdhsa_kernarg_size 320
		.amdhsa_user_sgpr_count 2
		.amdhsa_user_sgpr_dispatch_ptr 0
		.amdhsa_user_sgpr_queue_ptr 0
		.amdhsa_user_sgpr_kernarg_segment_ptr 1
		.amdhsa_user_sgpr_dispatch_id 0
		.amdhsa_user_sgpr_kernarg_preload_length 0
		.amdhsa_user_sgpr_kernarg_preload_offset 0
		.amdhsa_user_sgpr_private_segment_size 0
		.amdhsa_uses_dynamic_stack 0
		.amdhsa_enable_private_segment 0
		.amdhsa_system_sgpr_workgroup_id_x 1
		.amdhsa_system_sgpr_workgroup_id_y 1
		.amdhsa_system_sgpr_workgroup_id_z 0
		.amdhsa_system_sgpr_workgroup_info 0
		.amdhsa_system_vgpr_workitem_id 1
		.amdhsa_next_free_vgpr 357
		.amdhsa_next_free_sgpr 38
		.amdhsa_accum_offset 256
		.amdhsa_reserve_vcc 1
		.amdhsa_float_round_mode_32 0
		.amdhsa_float_round_mode_16_64 0
		.amdhsa_float_denorm_mode_32 3
		.amdhsa_float_denorm_mode_16_64 3
		.amdhsa_dx10_clamp 1
		.amdhsa_ieee_mode 1
		.amdhsa_fp16_overflow 0
		.amdhsa_tg_split 0
		.amdhsa_exception_fp_ieee_invalid_op 0
		.amdhsa_exception_fp_denorm_src 0
		.amdhsa_exception_fp_ieee_div_zero 0
		.amdhsa_exception_fp_ieee_overflow 0
		.amdhsa_exception_fp_ieee_underflow 0
		.amdhsa_exception_fp_ieee_inexact 0
		.amdhsa_exception_int_div_zero 0
	.end_amdhsa_kernel
	.section	.text._ZN2at6native12_GLOBAL__N_135GammaBetaBackwardCUDAKernelTemplateIffLj64ELj1ELj32ELb1ELb0ELb1EEEvllPKT_S5_PKT0_S8_PS3_S9_,"axG",@progbits,_ZN2at6native12_GLOBAL__N_135GammaBetaBackwardCUDAKernelTemplateIffLj64ELj1ELj32ELb1ELb0ELb1EEEvllPKT_S5_PKT0_S8_PS3_S9_,comdat
.Lfunc_end143:
	.size	_ZN2at6native12_GLOBAL__N_135GammaBetaBackwardCUDAKernelTemplateIffLj64ELj1ELj32ELb1ELb0ELb1EEEvllPKT_S5_PKT0_S8_PS3_S9_, .Lfunc_end143-_ZN2at6native12_GLOBAL__N_135GammaBetaBackwardCUDAKernelTemplateIffLj64ELj1ELj32ELb1ELb0ELb1EEEvllPKT_S5_PKT0_S8_PS3_S9_
                                        ; -- End function
	.section	.AMDGPU.csdata,"",@progbits
; Kernel info:
; codeLenInByte = 21040
; NumSgprs: 44
; NumVgprs: 256
; NumAgprs: 101
; TotalNumVgprs: 357
; ScratchSize: 0
; MemoryBound: 0
; FloatMode: 240
; IeeeMode: 1
; LDSByteSize: 0 bytes/workgroup (compile time only)
; SGPRBlocks: 5
; VGPRBlocks: 44
; NumSGPRsForWavesPerEU: 44
; NumVGPRsForWavesPerEU: 357
; AccumOffset: 256
; Occupancy: 1
; WaveLimiterHint : 0
; COMPUTE_PGM_RSRC2:SCRATCH_EN: 0
; COMPUTE_PGM_RSRC2:USER_SGPR: 2
; COMPUTE_PGM_RSRC2:TRAP_HANDLER: 0
; COMPUTE_PGM_RSRC2:TGID_X_EN: 1
; COMPUTE_PGM_RSRC2:TGID_Y_EN: 1
; COMPUTE_PGM_RSRC2:TGID_Z_EN: 0
; COMPUTE_PGM_RSRC2:TIDIG_COMP_CNT: 1
; COMPUTE_PGM_RSRC3_GFX90A:ACCUM_OFFSET: 63
; COMPUTE_PGM_RSRC3_GFX90A:TG_SPLIT: 0
	.section	.text._ZN2at6native12_GLOBAL__N_135GammaBetaBackwardCUDAKernelTemplateIffLj64ELj1ELj8ELb1ELb1ELb1EEEvllPKT_S5_PKT0_S8_PS3_S9_,"axG",@progbits,_ZN2at6native12_GLOBAL__N_135GammaBetaBackwardCUDAKernelTemplateIffLj64ELj1ELj8ELb1ELb1ELb1EEEvllPKT_S5_PKT0_S8_PS3_S9_,comdat
	.globl	_ZN2at6native12_GLOBAL__N_135GammaBetaBackwardCUDAKernelTemplateIffLj64ELj1ELj8ELb1ELb1ELb1EEEvllPKT_S5_PKT0_S8_PS3_S9_ ; -- Begin function _ZN2at6native12_GLOBAL__N_135GammaBetaBackwardCUDAKernelTemplateIffLj64ELj1ELj8ELb1ELb1ELb1EEEvllPKT_S5_PKT0_S8_PS3_S9_
	.p2align	8
	.type	_ZN2at6native12_GLOBAL__N_135GammaBetaBackwardCUDAKernelTemplateIffLj64ELj1ELj8ELb1ELb1ELb1EEEvllPKT_S5_PKT0_S8_PS3_S9_,@function
_ZN2at6native12_GLOBAL__N_135GammaBetaBackwardCUDAKernelTemplateIffLj64ELj1ELj8ELb1ELb1ELb1EEEvllPKT_S5_PKT0_S8_PS3_S9_: ; @_ZN2at6native12_GLOBAL__N_135GammaBetaBackwardCUDAKernelTemplateIffLj64ELj1ELj8ELb1ELb1ELb1EEEvllPKT_S5_PKT0_S8_PS3_S9_
; %bb.0:
	s_load_dwordx4 s[8:11], s[0:1], 0x0
	s_load_dwordx2 s[16:17], s[0:1], 0x30
	s_lshl_b32 s18, s3, 3
	s_mov_b32 s19, 0
	s_mov_b32 s6, s3
	s_waitcnt lgkmcnt(0)
	v_mov_b64_e32 v[2:3], s[8:9]
	v_cmp_ge_i64_e32 vcc, s[18:19], v[2:3]
	v_mov_b32_e32 v5, 0
	v_bfe_u32 v2, v0, 10, 10
	s_cbranch_vccnz .LBB144_7
; %bb.1:
	s_load_dword s3, s[0:1], 0x4c
	s_load_dword s7, s[0:1], 0x44
	s_load_dwordx4 s[12:15], s[0:1], 0x10
	s_load_dwordx2 s[22:23], s[0:1], 0x28
	v_and_b32_e32 v1, 0x3ff, v0
	s_waitcnt lgkmcnt(0)
	s_and_b32 s3, s3, 0xffff
	v_mad_u32_u24 v3, v2, s3, v1
	v_lshlrev_b32_e32 v4, 3, v2
	v_mov_b32_e32 v5, 0
	v_lshl_or_b32 v10, s2, 6, v1
	v_mbcnt_lo_u32_b32 v1, -1, 0
	v_and_b32_e32 v6, 63, v3
	v_mov_b32_e32 v7, v5
	v_mbcnt_hi_u32_b32 v1, -1, v1
	s_lshl_b32 s20, s7, 3
	v_lshl_add_u64 v[12:13], v[4:5], 0, s[18:19]
	v_cmp_gt_u32_e64 s[4:5], 8, v6
	v_mov_b32_e32 v11, v5
	v_lshlrev_b32_e32 v1, 2, v1
	v_lshl_add_u64 v[6:7], v[12:13], 0, v[6:7]
	v_mul_lo_u32 v4, s11, v12
	v_mul_lo_u32 v20, s10, v13
	v_mad_u64_u32 v[12:13], s[24:25], s10, v12, 0
	s_mul_i32 s3, s11, s20
	s_mul_hi_u32 s7, s10, s20
	v_and_b32_e32 v1, 0x100, v1
	s_mov_b32 s21, s19
	v_add3_u32 v13, v13, v20, v4
	v_lshlrev_b64 v[10:11], 2, v[10:11]
	s_add_i32 s25, s7, s3
	s_mul_i32 s24, s10, s20
	v_or_b32_e32 v3, 4, v1
	v_or_b32_e32 v14, 8, v1
	;; [unrolled: 1-line block ×7, first 2 shown]
	v_lshl_add_u64 v[8:9], v[6:7], 2, s[22:23]
	s_lshl_b64 s[22:23], s[20:21], 2
	v_lshl_add_u64 v[10:11], v[12:13], 2, v[10:11]
	s_lshl_b64 s[24:25], s[24:25], 2
	s_lshl_b64 s[26:27], s[10:11], 2
	v_mov_b64_e32 v[12:13], s[8:9]
	s_branch .LBB144_4
.LBB144_2:                              ;   in Loop: Header=BB144_4 Depth=1
	s_or_b64 exec, exec, s[30:31]
.LBB144_3:                              ;   in Loop: Header=BB144_4 Depth=1
	s_or_b64 exec, exec, s[28:29]
	v_lshl_add_u64 v[20:21], s[12:13], 0, v[10:11]
	global_load_dword v22, v[20:21], off
	v_lshl_add_u64 v[24:25], s[14:15], 0, v[10:11]
	v_lshl_add_u64 v[20:21], v[20:21], 0, s[26:27]
	global_load_dword v26, v[24:25], off
	global_load_dword v23, v[20:21], off
	v_lshl_add_u64 v[24:25], v[24:25], 0, s[26:27]
	v_lshl_add_u64 v[20:21], v[20:21], 0, s[26:27]
	global_load_dword v27, v[24:25], off
	;; [unrolled: 4-line block ×7, first 2 shown]
	v_lshl_add_u64 v[20:21], v[24:25], 0, s[26:27]
	global_load_dword v38, v[24:25], off
	global_load_dword v39, v[20:21], off
	s_waitcnt vmcnt(16)
	ds_bpermute_b32 v20, v1, v4
	ds_bpermute_b32 v21, v3, v4
	;; [unrolled: 1-line block ×8, first 2 shown]
	s_add_u32 s18, s18, s20
	s_addc_u32 s19, s19, 0
	v_cmp_lt_i64_e32 vcc, s[18:19], v[12:13]
	v_lshl_add_u64 v[8:9], v[8:9], 0, s[22:23]
	v_lshl_add_u64 v[6:7], v[6:7], 0, s[20:21]
	;; [unrolled: 1-line block ×3, first 2 shown]
	s_and_b64 vcc, exec, vcc
	s_waitcnt vmcnt(12)
	v_pk_mul_f32 v[22:23], v[22:23], v[26:27]
	s_waitcnt lgkmcnt(6)
	v_pk_mul_f32 v[20:21], v[22:23], v[20:21]
	s_nop 0
	v_add_f32_e32 v20, v5, v20
	v_add_f32_e32 v20, v20, v21
	s_waitcnt vmcnt(8)
	v_pk_mul_f32 v[4:5], v[28:29], v[30:31]
	s_waitcnt lgkmcnt(4)
	v_pk_mul_f32 v[4:5], v[4:5], v[24:25]
	s_nop 0
	v_add_f32_e32 v4, v20, v4
	v_add_f32_e32 v22, v4, v5
	s_waitcnt vmcnt(4)
	v_pk_mul_f32 v[20:21], v[32:33], v[34:35]
	s_waitcnt lgkmcnt(2)
	v_pk_mul_f32 v[4:5], v[20:21], v[40:41]
	s_waitcnt vmcnt(0)
	v_pk_mul_f32 v[20:21], v[36:37], v[38:39]
	v_add_f32_e32 v4, v22, v4
	v_add_f32_e32 v22, v4, v5
	s_waitcnt lgkmcnt(0)
	v_pk_mul_f32 v[4:5], v[20:21], v[42:43]
	s_nop 0
	v_add_f32_e32 v4, v22, v4
	v_add_f32_e32 v5, v4, v5
	s_cbranch_vccz .LBB144_7
.LBB144_4:                              ; =>This Inner Loop Header: Depth=1
	v_mov_b32_e32 v4, 0
	s_and_saveexec_b64 s[28:29], s[4:5]
	s_cbranch_execz .LBB144_3
; %bb.5:                                ;   in Loop: Header=BB144_4 Depth=1
	v_cmp_gt_i64_e32 vcc, s[8:9], v[6:7]
	v_mov_b32_e32 v4, 0
	s_and_saveexec_b64 s[30:31], vcc
	s_cbranch_execz .LBB144_2
; %bb.6:                                ;   in Loop: Header=BB144_4 Depth=1
	global_load_dword v4, v[8:9], off
	s_branch .LBB144_2
.LBB144_7:
	s_cmp_eq_u64 s[16:17], 0
	s_cbranch_scc1 .LBB144_9
; %bb.8:
	s_load_dword s0, s[0:1], 0x4c
	v_mov_b32_e32 v3, 0
	v_mov_b32_e32 v1, s6
	s_mov_b32 s3, 0
	v_and_b32_e32 v0, 0x3ff, v0
	s_waitcnt lgkmcnt(0)
	s_lshr_b32 s0, s0, 16
	v_mad_u64_u32 v[6:7], s[0:1], s0, v1, v[2:3]
	v_mul_lo_u32 v1, v7, s10
	v_mul_lo_u32 v2, v6, s11
	v_mad_u64_u32 v[6:7], s[0:1], v6, s10, 0
	s_lshl_b64 s[0:1], s[2:3], 8
	s_add_u32 s0, s0, s16
	v_add3_u32 v7, v7, v2, v1
	s_addc_u32 s1, s1, s17
	v_lshl_add_u64 v[6:7], v[6:7], 2, s[0:1]
	v_lshlrev_b32_e32 v2, 2, v0
	v_lshl_add_u64 v[0:1], v[6:7], 0, v[2:3]
	global_store_dword v[0:1], v5, off
.LBB144_9:
	s_endpgm
	.section	.rodata,"a",@progbits
	.p2align	6, 0x0
	.amdhsa_kernel _ZN2at6native12_GLOBAL__N_135GammaBetaBackwardCUDAKernelTemplateIffLj64ELj1ELj8ELb1ELb1ELb1EEEvllPKT_S5_PKT0_S8_PS3_S9_
		.amdhsa_group_segment_fixed_size 0
		.amdhsa_private_segment_fixed_size 0
		.amdhsa_kernarg_size 320
		.amdhsa_user_sgpr_count 2
		.amdhsa_user_sgpr_dispatch_ptr 0
		.amdhsa_user_sgpr_queue_ptr 0
		.amdhsa_user_sgpr_kernarg_segment_ptr 1
		.amdhsa_user_sgpr_dispatch_id 0
		.amdhsa_user_sgpr_kernarg_preload_length 0
		.amdhsa_user_sgpr_kernarg_preload_offset 0
		.amdhsa_user_sgpr_private_segment_size 0
		.amdhsa_uses_dynamic_stack 0
		.amdhsa_enable_private_segment 0
		.amdhsa_system_sgpr_workgroup_id_x 1
		.amdhsa_system_sgpr_workgroup_id_y 1
		.amdhsa_system_sgpr_workgroup_id_z 0
		.amdhsa_system_sgpr_workgroup_info 0
		.amdhsa_system_vgpr_workitem_id 1
		.amdhsa_next_free_vgpr 44
		.amdhsa_next_free_sgpr 32
		.amdhsa_accum_offset 44
		.amdhsa_reserve_vcc 1
		.amdhsa_float_round_mode_32 0
		.amdhsa_float_round_mode_16_64 0
		.amdhsa_float_denorm_mode_32 3
		.amdhsa_float_denorm_mode_16_64 3
		.amdhsa_dx10_clamp 1
		.amdhsa_ieee_mode 1
		.amdhsa_fp16_overflow 0
		.amdhsa_tg_split 0
		.amdhsa_exception_fp_ieee_invalid_op 0
		.amdhsa_exception_fp_denorm_src 0
		.amdhsa_exception_fp_ieee_div_zero 0
		.amdhsa_exception_fp_ieee_overflow 0
		.amdhsa_exception_fp_ieee_underflow 0
		.amdhsa_exception_fp_ieee_inexact 0
		.amdhsa_exception_int_div_zero 0
	.end_amdhsa_kernel
	.section	.text._ZN2at6native12_GLOBAL__N_135GammaBetaBackwardCUDAKernelTemplateIffLj64ELj1ELj8ELb1ELb1ELb1EEEvllPKT_S5_PKT0_S8_PS3_S9_,"axG",@progbits,_ZN2at6native12_GLOBAL__N_135GammaBetaBackwardCUDAKernelTemplateIffLj64ELj1ELj8ELb1ELb1ELb1EEEvllPKT_S5_PKT0_S8_PS3_S9_,comdat
.Lfunc_end144:
	.size	_ZN2at6native12_GLOBAL__N_135GammaBetaBackwardCUDAKernelTemplateIffLj64ELj1ELj8ELb1ELb1ELb1EEEvllPKT_S5_PKT0_S8_PS3_S9_, .Lfunc_end144-_ZN2at6native12_GLOBAL__N_135GammaBetaBackwardCUDAKernelTemplateIffLj64ELj1ELj8ELb1ELb1ELb1EEEvllPKT_S5_PKT0_S8_PS3_S9_
                                        ; -- End function
	.section	.AMDGPU.csdata,"",@progbits
; Kernel info:
; codeLenInByte = 1008
; NumSgprs: 38
; NumVgprs: 44
; NumAgprs: 0
; TotalNumVgprs: 44
; ScratchSize: 0
; MemoryBound: 0
; FloatMode: 240
; IeeeMode: 1
; LDSByteSize: 0 bytes/workgroup (compile time only)
; SGPRBlocks: 4
; VGPRBlocks: 5
; NumSGPRsForWavesPerEU: 38
; NumVGPRsForWavesPerEU: 44
; AccumOffset: 44
; Occupancy: 8
; WaveLimiterHint : 0
; COMPUTE_PGM_RSRC2:SCRATCH_EN: 0
; COMPUTE_PGM_RSRC2:USER_SGPR: 2
; COMPUTE_PGM_RSRC2:TRAP_HANDLER: 0
; COMPUTE_PGM_RSRC2:TGID_X_EN: 1
; COMPUTE_PGM_RSRC2:TGID_Y_EN: 1
; COMPUTE_PGM_RSRC2:TGID_Z_EN: 0
; COMPUTE_PGM_RSRC2:TIDIG_COMP_CNT: 1
; COMPUTE_PGM_RSRC3_GFX90A:ACCUM_OFFSET: 10
; COMPUTE_PGM_RSRC3_GFX90A:TG_SPLIT: 0
	.section	.text._ZN2at6native12_GLOBAL__N_135GammaBetaBackwardCUDAKernelTemplateIffLj64ELj1ELj8ELb1ELb0ELb1EEEvllPKT_S5_PKT0_S8_PS3_S9_,"axG",@progbits,_ZN2at6native12_GLOBAL__N_135GammaBetaBackwardCUDAKernelTemplateIffLj64ELj1ELj8ELb1ELb0ELb1EEEvllPKT_S5_PKT0_S8_PS3_S9_,comdat
	.globl	_ZN2at6native12_GLOBAL__N_135GammaBetaBackwardCUDAKernelTemplateIffLj64ELj1ELj8ELb1ELb0ELb1EEEvllPKT_S5_PKT0_S8_PS3_S9_ ; -- Begin function _ZN2at6native12_GLOBAL__N_135GammaBetaBackwardCUDAKernelTemplateIffLj64ELj1ELj8ELb1ELb0ELb1EEEvllPKT_S5_PKT0_S8_PS3_S9_
	.p2align	8
	.type	_ZN2at6native12_GLOBAL__N_135GammaBetaBackwardCUDAKernelTemplateIffLj64ELj1ELj8ELb1ELb0ELb1EEEvllPKT_S5_PKT0_S8_PS3_S9_,@function
_ZN2at6native12_GLOBAL__N_135GammaBetaBackwardCUDAKernelTemplateIffLj64ELj1ELj8ELb1ELb0ELb1EEEvllPKT_S5_PKT0_S8_PS3_S9_: ; @_ZN2at6native12_GLOBAL__N_135GammaBetaBackwardCUDAKernelTemplateIffLj64ELj1ELj8ELb1ELb0ELb1EEEvllPKT_S5_PKT0_S8_PS3_S9_
; %bb.0:
	s_load_dwordx8 s[12:19], s[0:1], 0x0
	s_load_dwordx2 s[10:11], s[0:1], 0x28
	s_mov_b32 s8, s3
	s_lshl_b32 s3, s2, 6
	s_or_b32 s28, s3, 63
	s_mov_b32 s29, 0
	s_waitcnt lgkmcnt(0)
	v_mov_b64_e32 v[2:3], s[14:15]
	v_cmp_ge_i64_e32 vcc, s[28:29], v[2:3]
	s_lshl_b32 s28, s8, 3
	v_mov_b64_e32 v[2:3], s[12:13]
	v_cmp_lt_i64_e64 s[4:5], s[28:29], v[2:3]
	s_nop 1
	v_cndmask_b32_e64 v1, 0, 1, s[4:5]
	v_cmp_ne_u32_e64 s[4:5], 1, v1
	s_cbranch_vccz .LBB145_49
; %bb.1:
	s_and_b64 vcc, exec, s[4:5]
	v_mov_b32_e32 v4, 0
	s_cbranch_vccnz .LBB145_50
; %bb.2:
	v_mov_b32_e32 v3, 0
	v_bfe_u32 v64, v0, 10, 10
	s_load_dword s9, s[0:1], 0x44
	v_lshlrev_b32_e32 v26, 3, v64
	v_mov_b32_e32 v27, v3
	v_and_b32_e32 v1, 0x3ff, v0
	v_lshl_add_u64 v[4:5], v[26:27], 0, s[28:29]
	v_add_u32_e32 v2, s3, v1
	v_lshl_add_u64 v[6:7], v[4:5], 0, 7
	s_add_u32 s30, s0, 64
	v_cmp_gt_i64_e64 s[6:7], s[14:15], v[2:3]
	v_lshlrev_b64 v[28:29], 2, v[2:3]
	v_mul_lo_u32 v2, s15, v6
	v_mul_lo_u32 v8, s14, v7
	v_mad_u64_u32 v[6:7], s[22:23], s14, v6, 0
	s_addc_u32 s31, s1, 0
	s_waitcnt lgkmcnt(0)
	s_lshl_b32 s34, s9, 3
	v_add3_u32 v7, v7, v8, v2
	v_lshlrev_b64 v[6:7], 2, v[6:7]
	s_mul_i32 s9, s15, s34
	s_mul_hi_u32 s21, s14, s34
	v_lshl_add_u64 v[30:31], s[16:17], 0, v[6:7]
	s_add_i32 s23, s21, s9
	s_mul_i32 s22, s14, s34
	v_lshl_add_u64 v[32:33], s[18:19], 0, v[6:7]
	v_lshl_add_u64 v[6:7], v[4:5], 0, 6
	s_lshl_b64 s[38:39], s[22:23], 2
	v_mul_lo_u32 v2, s15, v6
	v_mul_lo_u32 v8, s14, v7
	v_mad_u64_u32 v[6:7], s[22:23], s14, v6, 0
	v_add3_u32 v7, v7, v8, v2
	v_lshlrev_b64 v[6:7], 2, v[6:7]
	v_lshl_add_u64 v[34:35], s[16:17], 0, v[6:7]
	v_lshl_add_u64 v[36:37], s[18:19], 0, v[6:7]
	v_lshl_add_u64 v[6:7], v[4:5], 0, 5
	v_mul_lo_u32 v2, s15, v6
	v_mul_lo_u32 v8, s14, v7
	v_mad_u64_u32 v[6:7], s[22:23], s14, v6, 0
	v_add3_u32 v7, v7, v8, v2
	v_lshlrev_b64 v[6:7], 2, v[6:7]
	v_lshl_add_u64 v[38:39], s[16:17], 0, v[6:7]
	v_lshl_add_u64 v[40:41], s[18:19], 0, v[6:7]
	v_lshl_add_u64 v[6:7], v[4:5], 0, 4
	;; [unrolled: 8-line block ×4, first 2 shown]
	v_mul_lo_u32 v2, s15, v6
	v_mul_lo_u32 v8, s14, v7
	v_mad_u64_u32 v[6:7], s[22:23], s14, v6, 0
	v_add3_u32 v7, v7, v8, v2
	v_lshlrev_b64 v[6:7], 2, v[6:7]
	v_lshl_add_u64 v[50:51], s[16:17], 0, v[6:7]
	v_lshl_add_u64 v[52:53], s[18:19], 0, v[6:7]
	v_mov_b64_e32 v[6:7], s[14:15]
	v_mad_u64_u32 v[6:7], s[22:23], s14, v4, v[6:7]
	v_mul_lo_u32 v2, s14, v5
	v_mul_lo_u32 v8, s15, v4
	v_mad_u64_u32 v[4:5], s[22:23], s14, v4, 0
	v_add3_u32 v7, v8, v7, v2
	v_add3_u32 v5, v5, v2, v8
	v_mbcnt_lo_u32_b32 v2, -1, 0
	v_mbcnt_hi_u32_b32 v2, -1, v2
	s_mov_b32 s20, 0
	v_lshlrev_b64 v[6:7], 2, v[6:7]
	v_lshlrev_b64 v[4:5], 2, v[4:5]
	v_lshlrev_b32_e32 v2, 2, v2
	s_mov_b32 s35, s20
	s_mov_b64 s[36:37], 7
	v_lshl_add_u64 v[54:55], s[16:17], 0, v[6:7]
	v_lshl_add_u64 v[56:57], s[18:19], 0, v[6:7]
	;; [unrolled: 1-line block ×4, first 2 shown]
	v_and_b32_e32 v65, 0x100, v2
	s_mov_b64 s[40:41], s[28:29]
	v_mov_b32_e32 v66, 0
.LBB145_3:                              ; =>This Inner Loop Header: Depth=1
	s_add_u32 s22, s28, s36
	s_addc_u32 s23, 0, s37
	v_mov_b64_e32 v[4:5], s[12:13]
	v_cmp_ge_i64_e32 vcc, s[22:23], v[4:5]
	v_lshl_add_u64 v[62:63], s[28:29], 0, v[26:27]
	s_cbranch_vccz .LBB145_25
; %bb.4:                                ;   in Loop: Header=BB145_3 Depth=1
	s_load_dword s9, s[30:31], 0xc
	v_mov_b32_e32 v67, 0
	s_waitcnt lgkmcnt(0)
	s_and_b32 s9, s9, 0xffff
	v_mad_u32_u24 v2, v64, s9, v1
	v_and_b32_e32 v2, 63, v2
	v_cmp_gt_u32_e32 vcc, 8, v2
	s_and_saveexec_b64 s[22:23], vcc
	s_cbranch_execz .LBB145_8
; %bb.5:                                ;   in Loop: Header=BB145_3 Depth=1
	v_lshl_add_u64 v[4:5], v[62:63], 0, v[2:3]
	v_cmp_gt_i64_e32 vcc, s[12:13], v[4:5]
	v_mov_b32_e32 v67, 0
	s_and_saveexec_b64 s[24:25], vcc
	s_cbranch_execz .LBB145_7
; %bb.6:                                ;   in Loop: Header=BB145_3 Depth=1
	v_lshl_add_u64 v[4:5], v[4:5], 2, s[10:11]
	global_load_dword v67, v[4:5], off
.LBB145_7:                              ;   in Loop: Header=BB145_3 Depth=1
	s_or_b64 exec, exec, s[24:25]
.LBB145_8:                              ;   in Loop: Header=BB145_3 Depth=1
	s_or_b64 exec, exec, s[22:23]
	s_mov_b32 s21, s20
	s_mov_b32 s22, s20
	;; [unrolled: 1-line block ×7, first 2 shown]
	v_mov_b64_e32 v[10:11], s[20:21]
	v_mov_b64_e32 v[16:17], s[26:27]
	v_cmp_gt_i64_e32 vcc, s[12:13], v[62:63]
	v_mov_b64_e32 v[12:13], s[22:23]
	v_mov_b64_e32 v[14:15], s[24:25]
	;; [unrolled: 1-line block ×3, first 2 shown]
	s_and_b64 s[42:43], s[6:7], vcc
	v_mov_b64_e32 v[22:23], v[14:15]
	v_mov_b64_e32 v[20:21], v[12:13]
	;; [unrolled: 1-line block ×3, first 2 shown]
	s_and_saveexec_b64 s[22:23], s[42:43]
	s_cbranch_execz .LBB145_10
; %bb.9:                                ;   in Loop: Header=BB145_3 Depth=1
	v_lshl_add_u64 v[4:5], v[58:59], 0, v[28:29]
	global_load_dword v2, v[4:5], off
	v_lshl_add_u64 v[4:5], v[60:61], 0, v[28:29]
	global_load_dword v10, v[4:5], off
	v_mov_b32_e32 v8, v3
	v_mov_b32_e32 v9, v3
	;; [unrolled: 1-line block ×6, first 2 shown]
	s_waitcnt vmcnt(1)
	v_mov_b64_e32 v[24:25], v[8:9]
	v_mov_b32_e32 v11, v3
	v_mov_b32_e32 v12, v3
	;; [unrolled: 1-line block ×7, first 2 shown]
	v_mov_b64_e32 v[22:23], v[6:7]
	v_mov_b64_e32 v[20:21], v[4:5]
	;; [unrolled: 1-line block ×3, first 2 shown]
.LBB145_10:                             ;   in Loop: Header=BB145_3 Depth=1
	s_or_b64 exec, exec, s[22:23]
	v_lshl_add_u64 v[4:5], v[62:63], 0, 1
	v_cmp_gt_i64_e32 vcc, s[12:13], v[4:5]
	s_and_b64 s[24:25], s[6:7], vcc
	s_and_saveexec_b64 s[22:23], s[24:25]
	s_cbranch_execz .LBB145_12
; %bb.11:                               ;   in Loop: Header=BB145_3 Depth=1
	v_lshl_add_u64 v[4:5], v[54:55], 0, v[28:29]
	global_load_dword v19, v[4:5], off
	v_lshl_add_u64 v[4:5], v[56:57], 0, v[28:29]
	global_load_dword v11, v[4:5], off
.LBB145_12:                             ;   in Loop: Header=BB145_3 Depth=1
	s_or_b64 exec, exec, s[22:23]
	v_lshl_add_u64 v[4:5], v[62:63], 0, 2
	v_cmp_gt_i64_e32 vcc, s[12:13], v[4:5]
	s_and_b64 s[24:25], s[6:7], vcc
	s_and_saveexec_b64 s[22:23], s[24:25]
	s_cbranch_execz .LBB145_14
; %bb.13:                               ;   in Loop: Header=BB145_3 Depth=1
	v_lshl_add_u64 v[4:5], v[50:51], 0, v[28:29]
	global_load_dword v20, v[4:5], off
	v_lshl_add_u64 v[4:5], v[52:53], 0, v[28:29]
	global_load_dword v12, v[4:5], off
.LBB145_14:                             ;   in Loop: Header=BB145_3 Depth=1
	;; [unrolled: 12-line block ×7, first 2 shown]
	s_or_b64 exec, exec, s[22:23]
	s_waitcnt vmcnt(0)
	ds_bpermute_b32 v4, v65, v67 offset:4
	ds_bpermute_b32 v5, v65, v67 offset:8
	ds_bpermute_b32 v2, v65, v67
	v_mul_f32_e32 v8, v10, v18
	v_pk_mul_f32 v[10:11], v[10:11], v[18:19]
	v_pk_mul_f32 v[12:13], v[12:13], v[20:21]
	v_mov_b32_e32 v10, v11
	v_mov_b32_e32 v11, v12
	s_waitcnt lgkmcnt(1)
	v_pk_mul_f32 v[4:5], v[10:11], v[4:5]
	ds_bpermute_b32 v10, v65, v67 offset:12
	ds_bpermute_b32 v11, v65, v67 offset:16
	s_waitcnt lgkmcnt(2)
	v_fma_f32 v2, v8, v2, v66
	v_pk_mul_f32 v[8:9], v[14:15], v[22:23]
	v_add_f32_e32 v2, v2, v4
	v_add_f32_e32 v2, v2, v5
	v_mov_b32_e32 v4, v13
	v_mov_b32_e32 v5, v8
	s_waitcnt lgkmcnt(0)
	v_pk_mul_f32 v[4:5], v[4:5], v[10:11]
	ds_bpermute_b32 v10, v65, v67 offset:20
	ds_bpermute_b32 v11, v65, v67 offset:24
	v_pk_mul_f32 v[6:7], v[16:17], v[24:25]
	v_add_f32_e32 v2, v2, v4
	v_add_f32_e32 v7, v2, v5
	ds_bpermute_b32 v2, v65, v67 offset:28
	v_mov_b32_e32 v4, v9
	v_mov_b32_e32 v5, v6
	s_waitcnt lgkmcnt(1)
	v_pk_mul_f32 v[4:5], v[4:5], v[10:11]
	s_nop 0
	v_add_f32_e32 v4, v7, v4
	v_add_f32_e32 v4, v4, v5
	s_branch .LBB145_40
.LBB145_25:                             ;   in Loop: Header=BB145_3 Depth=1
                                        ; implicit-def: $vgpr4
                                        ; implicit-def: $vgpr10_vgpr11_vgpr12_vgpr13_vgpr14_vgpr15_vgpr16_vgpr17
                                        ; implicit-def: $vgpr18_vgpr19_vgpr20_vgpr21_vgpr22_vgpr23_vgpr24_vgpr25
                                        ; implicit-def: $vgpr2
	s_cbranch_execz .LBB145_40
; %bb.26:                               ;   in Loop: Header=BB145_3 Depth=1
	s_load_dword s9, s[30:31], 0x0
	v_mov_b32_e32 v67, 0
	s_waitcnt lgkmcnt(0)
	s_cmp_lt_u32 s2, s9
	s_cselect_b32 s9, 12, 18
	s_add_u32 s22, s30, s9
	s_addc_u32 s23, s31, 0
	global_load_ushort v2, v3, s[22:23]
	s_waitcnt vmcnt(0)
	v_mad_u32_u24 v2, v64, v2, v1
	v_and_b32_e32 v2, 63, v2
	v_cmp_gt_u32_e32 vcc, 8, v2
	s_and_saveexec_b64 s[22:23], vcc
	s_cbranch_execz .LBB145_30
; %bb.27:                               ;   in Loop: Header=BB145_3 Depth=1
	v_lshl_add_u64 v[4:5], v[62:63], 0, v[2:3]
	v_cmp_gt_i64_e32 vcc, s[12:13], v[4:5]
	v_mov_b32_e32 v67, 0
	s_and_saveexec_b64 s[24:25], vcc
	s_cbranch_execz .LBB145_29
; %bb.28:                               ;   in Loop: Header=BB145_3 Depth=1
	v_lshl_add_u64 v[4:5], v[4:5], 2, s[10:11]
	global_load_dword v67, v[4:5], off
.LBB145_29:                             ;   in Loop: Header=BB145_3 Depth=1
	s_or_b64 exec, exec, s[24:25]
.LBB145_30:                             ;   in Loop: Header=BB145_3 Depth=1
	s_or_b64 exec, exec, s[22:23]
	s_mov_b32 s21, s20
	s_mov_b32 s22, s20
	;; [unrolled: 1-line block ×7, first 2 shown]
	v_mov_b64_e32 v[10:11], s[20:21]
	v_mov_b64_e32 v[16:17], s[26:27]
	;; [unrolled: 1-line block ×8, first 2 shown]
	s_and_saveexec_b64 s[22:23], s[6:7]
	s_cbranch_execnz .LBB145_42
; %bb.31:                               ;   in Loop: Header=BB145_3 Depth=1
	s_or_b64 exec, exec, s[22:23]
	s_and_saveexec_b64 s[22:23], s[6:7]
	s_cbranch_execnz .LBB145_43
.LBB145_32:                             ;   in Loop: Header=BB145_3 Depth=1
	s_or_b64 exec, exec, s[22:23]
	s_and_saveexec_b64 s[22:23], s[6:7]
	s_cbranch_execnz .LBB145_44
.LBB145_33:                             ;   in Loop: Header=BB145_3 Depth=1
	s_or_b64 exec, exec, s[22:23]
	s_and_saveexec_b64 s[22:23], s[6:7]
	s_cbranch_execnz .LBB145_45
.LBB145_34:                             ;   in Loop: Header=BB145_3 Depth=1
	s_or_b64 exec, exec, s[22:23]
	s_and_saveexec_b64 s[22:23], s[6:7]
	s_cbranch_execnz .LBB145_46
.LBB145_35:                             ;   in Loop: Header=BB145_3 Depth=1
	s_or_b64 exec, exec, s[22:23]
	s_and_saveexec_b64 s[22:23], s[6:7]
	s_cbranch_execnz .LBB145_47
.LBB145_36:                             ;   in Loop: Header=BB145_3 Depth=1
	s_or_b64 exec, exec, s[22:23]
	s_and_saveexec_b64 s[22:23], s[6:7]
	s_cbranch_execnz .LBB145_48
.LBB145_37:                             ;   in Loop: Header=BB145_3 Depth=1
	s_or_b64 exec, exec, s[22:23]
	s_and_saveexec_b64 s[22:23], s[6:7]
	s_cbranch_execz .LBB145_39
.LBB145_38:                             ;   in Loop: Header=BB145_3 Depth=1
	v_lshl_add_u64 v[4:5], v[30:31], 0, v[28:29]
	global_load_dword v25, v[4:5], off
	v_lshl_add_u64 v[4:5], v[32:33], 0, v[28:29]
	global_load_dword v17, v[4:5], off
.LBB145_39:                             ;   in Loop: Header=BB145_3 Depth=1
	s_or_b64 exec, exec, s[22:23]
	s_waitcnt vmcnt(0)
	ds_bpermute_b32 v4, v65, v67 offset:4
	ds_bpermute_b32 v5, v65, v67 offset:8
	ds_bpermute_b32 v2, v65, v67
	v_mul_f32_e32 v8, v10, v18
	v_pk_mul_f32 v[10:11], v[10:11], v[18:19]
	v_pk_mul_f32 v[12:13], v[12:13], v[20:21]
	v_mov_b32_e32 v10, v11
	v_mov_b32_e32 v11, v12
	s_waitcnt lgkmcnt(1)
	v_pk_mul_f32 v[4:5], v[10:11], v[4:5]
	ds_bpermute_b32 v10, v65, v67 offset:12
	ds_bpermute_b32 v11, v65, v67 offset:16
	s_waitcnt lgkmcnt(2)
	v_fmac_f32_e32 v66, v8, v2
	v_pk_mul_f32 v[8:9], v[14:15], v[22:23]
	v_add_f32_e32 v2, v66, v4
	v_add_f32_e32 v2, v2, v5
	v_mov_b32_e32 v4, v13
	v_mov_b32_e32 v5, v8
	s_waitcnt lgkmcnt(0)
	v_pk_mul_f32 v[4:5], v[4:5], v[10:11]
	ds_bpermute_b32 v10, v65, v67 offset:20
	ds_bpermute_b32 v11, v65, v67 offset:24
	v_pk_mul_f32 v[6:7], v[16:17], v[24:25]
	v_add_f32_e32 v2, v2, v4
	v_add_f32_e32 v7, v2, v5
	v_mov_b32_e32 v4, v9
	v_mov_b32_e32 v5, v6
	s_waitcnt lgkmcnt(0)
	v_pk_mul_f32 v[4:5], v[4:5], v[10:11]
	ds_bpermute_b32 v2, v65, v67 offset:28
	v_add_f32_e32 v4, v7, v4
	v_add_f32_e32 v4, v4, v5
.LBB145_40:                             ;   in Loop: Header=BB145_3 Depth=1
	s_add_u32 s40, s40, s34
	s_addc_u32 s41, s41, 0
	v_mov_b64_e32 v[6:7], s[12:13]
	v_mul_f32_e32 v5, v25, v17
	s_add_u32 s36, s36, s34
	v_cmp_lt_i64_e32 vcc, s[40:41], v[6:7]
	s_waitcnt lgkmcnt(0)
	v_fmac_f32_e32 v4, v5, v2
	v_lshl_add_u64 v[30:31], v[30:31], 0, s[38:39]
	v_lshl_add_u64 v[32:33], v[32:33], 0, s[38:39]
	;; [unrolled: 1-line block ×17, first 2 shown]
	s_addc_u32 s37, s37, 0
	s_cbranch_vccz .LBB145_50
; %bb.41:                               ;   in Loop: Header=BB145_3 Depth=1
	v_mov_b32_e32 v66, v4
	s_branch .LBB145_3
.LBB145_42:                             ;   in Loop: Header=BB145_3 Depth=1
	v_lshl_add_u64 v[4:5], v[58:59], 0, v[28:29]
	global_load_dword v2, v[4:5], off
	v_lshl_add_u64 v[4:5], v[60:61], 0, v[28:29]
	global_load_dword v10, v[4:5], off
	v_mov_b32_e32 v8, v3
	v_mov_b32_e32 v9, v3
	v_mov_b32_e32 v4, v3
	v_mov_b32_e32 v5, v3
	v_mov_b32_e32 v6, v3
	v_mov_b32_e32 v7, v3
	s_waitcnt vmcnt(1)
	v_mov_b64_e32 v[24:25], v[8:9]
	v_mov_b32_e32 v11, v3
	v_mov_b32_e32 v12, v3
	;; [unrolled: 1-line block ×7, first 2 shown]
	v_mov_b64_e32 v[22:23], v[6:7]
	v_mov_b64_e32 v[20:21], v[4:5]
	;; [unrolled: 1-line block ×3, first 2 shown]
	s_or_b64 exec, exec, s[22:23]
	s_and_saveexec_b64 s[22:23], s[6:7]
	s_cbranch_execz .LBB145_32
.LBB145_43:                             ;   in Loop: Header=BB145_3 Depth=1
	v_lshl_add_u64 v[4:5], v[54:55], 0, v[28:29]
	global_load_dword v19, v[4:5], off
	v_lshl_add_u64 v[4:5], v[56:57], 0, v[28:29]
	global_load_dword v11, v[4:5], off
	s_or_b64 exec, exec, s[22:23]
	s_and_saveexec_b64 s[22:23], s[6:7]
	s_cbranch_execz .LBB145_33
.LBB145_44:                             ;   in Loop: Header=BB145_3 Depth=1
	v_lshl_add_u64 v[4:5], v[50:51], 0, v[28:29]
	global_load_dword v20, v[4:5], off
	v_lshl_add_u64 v[4:5], v[52:53], 0, v[28:29]
	global_load_dword v12, v[4:5], off
	s_or_b64 exec, exec, s[22:23]
	s_and_saveexec_b64 s[22:23], s[6:7]
	s_cbranch_execz .LBB145_34
.LBB145_45:                             ;   in Loop: Header=BB145_3 Depth=1
	v_lshl_add_u64 v[4:5], v[46:47], 0, v[28:29]
	global_load_dword v21, v[4:5], off
	v_lshl_add_u64 v[4:5], v[48:49], 0, v[28:29]
	global_load_dword v13, v[4:5], off
	s_or_b64 exec, exec, s[22:23]
	s_and_saveexec_b64 s[22:23], s[6:7]
	s_cbranch_execz .LBB145_35
.LBB145_46:                             ;   in Loop: Header=BB145_3 Depth=1
	v_lshl_add_u64 v[4:5], v[42:43], 0, v[28:29]
	global_load_dword v22, v[4:5], off
	v_lshl_add_u64 v[4:5], v[44:45], 0, v[28:29]
	global_load_dword v14, v[4:5], off
	s_or_b64 exec, exec, s[22:23]
	s_and_saveexec_b64 s[22:23], s[6:7]
	s_cbranch_execz .LBB145_36
.LBB145_47:                             ;   in Loop: Header=BB145_3 Depth=1
	v_lshl_add_u64 v[4:5], v[38:39], 0, v[28:29]
	global_load_dword v23, v[4:5], off
	v_lshl_add_u64 v[4:5], v[40:41], 0, v[28:29]
	global_load_dword v15, v[4:5], off
	s_or_b64 exec, exec, s[22:23]
	s_and_saveexec_b64 s[22:23], s[6:7]
	s_cbranch_execz .LBB145_37
.LBB145_48:                             ;   in Loop: Header=BB145_3 Depth=1
	v_lshl_add_u64 v[4:5], v[34:35], 0, v[28:29]
	global_load_dword v24, v[4:5], off
	v_lshl_add_u64 v[4:5], v[36:37], 0, v[28:29]
	global_load_dword v16, v[4:5], off
	s_or_b64 exec, exec, s[22:23]
	s_and_saveexec_b64 s[22:23], s[6:7]
	s_cbranch_execnz .LBB145_38
	s_branch .LBB145_39
.LBB145_49:
                                        ; implicit-def: $vgpr4
	s_load_dwordx2 s[6:7], s[0:1], 0x30
	s_branch .LBB145_51
.LBB145_50:
	s_load_dwordx2 s[6:7], s[0:1], 0x30
	s_cbranch_execnz .LBB145_83
.LBB145_51:
	s_and_b64 vcc, exec, s[4:5]
	v_mov_b32_e32 v4, 0
	s_cbranch_vccnz .LBB145_83
; %bb.52:
	v_and_b32_e32 v1, 0x3ff, v0
	v_add_u32_e32 v2, s3, v1
	v_mov_b32_e32 v3, 0
	v_bfe_u32 v92, v0, 10, 10
	v_lshlrev_b64 v[28:29], 2, v[2:3]
	v_lshlrev_b32_e32 v2, 5, v92
	v_lshl_add_u64 v[4:5], s[28:29], 2, v[2:3]
	v_lshl_add_u64 v[6:7], v[4:5], 0, 4
	v_mov_b64_e32 v[8:9], s[16:17]
	v_lshl_add_u64 v[10:11], v[4:5], 0, 8
	v_lshl_add_u64 v[12:13], v[4:5], 0, 12
	;; [unrolled: 1-line block ×6, first 2 shown]
	v_mad_u64_u32 v[30:31], s[4:5], s14, v6, v[8:9]
	v_mad_u64_u32 v[32:33], s[4:5], s14, v10, v[8:9]
	;; [unrolled: 1-line block ×7, first 2 shown]
	v_mov_b64_e32 v[8:9], s[18:19]
	v_lshlrev_b32_e32 v26, 3, v92
	v_mov_b32_e32 v27, v3
	v_mul_lo_u32 v2, s14, v7
	v_mul_lo_u32 v7, s15, v6
	v_mad_u64_u32 v[44:45], s[4:5], s14, v6, v[8:9]
	v_add3_u32 v31, v7, v31, v2
	v_mul_lo_u32 v5, s14, v5
	v_mul_lo_u32 v25, s15, v4
	v_add3_u32 v45, v7, v45, v2
	v_lshl_add_u64 v[6:7], v[26:27], 0, s[28:29]
	v_mad_u64_u32 v[56:57], s[4:5], s14, v4, v[8:9]
	v_add3_u32 v43, v25, v43, v5
	v_add3_u32 v57, v25, v57, v5
	v_lshl_add_u64 v[4:5], v[6:7], 0, 7
	v_mad_u64_u32 v[46:47], s[4:5], s14, v10, v[8:9]
	v_mad_u64_u32 v[48:49], s[4:5], s14, v12, v[8:9]
	;; [unrolled: 1-line block ×5, first 2 shown]
	v_mul_lo_u32 v8, s15, v4
	v_mul_lo_u32 v9, s14, v5
	v_mad_u64_u32 v[4:5], s[4:5], s14, v4, 0
	v_mul_lo_u32 v11, s14, v11
	v_mul_lo_u32 v20, s15, v10
	v_add3_u32 v5, v5, v9, v8
	v_lshl_add_u64 v[8:9], v[6:7], 0, 6
	v_add3_u32 v33, v20, v33, v11
	v_add3_u32 v47, v20, v47, v11
	v_mul_lo_u32 v10, s15, v8
	v_mul_lo_u32 v11, s14, v9
	v_mad_u64_u32 v[8:9], s[4:5], s14, v8, 0
	v_mul_lo_u32 v13, s14, v13
	v_mul_lo_u32 v21, s15, v12
	v_add3_u32 v9, v9, v11, v10
	v_lshl_add_u64 v[10:11], v[6:7], 0, 5
	v_add3_u32 v35, v21, v35, v13
	v_add3_u32 v49, v21, v49, v13
	;; [unrolled: 9-line block ×4, first 2 shown]
	v_mul_lo_u32 v16, s15, v14
	v_mul_lo_u32 v17, s14, v15
	v_mad_u64_u32 v[14:15], s[4:5], s14, v14, 0
	v_mul_lo_u32 v19, s14, v19
	v_mul_lo_u32 v24, s15, v18
	v_add3_u32 v15, v15, v17, v16
	v_lshl_add_u64 v[16:17], v[6:7], 0, 2
	s_load_dword s3, s[0:1], 0x44
	v_add3_u32 v41, v24, v41, v19
	v_add3_u32 v55, v24, v55, v19
	v_mul_lo_u32 v18, s15, v16
	v_mul_lo_u32 v19, s14, v17
	v_mad_u64_u32 v[16:17], s[4:5], s14, v16, 0
	v_lshlrev_b64 v[4:5], 2, v[4:5]
	v_add3_u32 v17, v17, v19, v18
	v_mov_b64_e32 v[18:19], s[14:15]
	v_lshl_add_u64 v[62:63], s[16:17], 0, v[4:5]
	v_lshl_add_u64 v[64:65], s[18:19], 0, v[4:5]
	v_lshlrev_b64 v[4:5], 2, v[8:9]
	v_mul_lo_u32 v2, s15, v6
	v_mad_u64_u32 v[18:19], s[4:5], s14, v6, v[18:19]
	v_mul_lo_u32 v20, s14, v7
	v_mad_u64_u32 v[6:7], s[4:5], s14, v6, 0
	v_lshl_add_u64 v[66:67], s[16:17], 0, v[4:5]
	v_lshl_add_u64 v[68:69], s[18:19], 0, v[4:5]
	v_lshlrev_b64 v[4:5], 2, v[10:11]
	s_add_u32 s4, s0, 64
	v_lshl_add_u64 v[70:71], s[16:17], 0, v[4:5]
	v_lshl_add_u64 v[72:73], s[18:19], 0, v[4:5]
	v_lshlrev_b64 v[4:5], 2, v[12:13]
	v_add3_u32 v7, v7, v20, v2
	v_add3_u32 v19, v2, v19, v20
	s_addc_u32 s5, s1, 0
	s_waitcnt lgkmcnt(0)
	s_lshl_b32 s30, s3, 3
	v_lshl_add_u64 v[74:75], s[16:17], 0, v[4:5]
	v_lshl_add_u64 v[76:77], s[18:19], 0, v[4:5]
	v_lshlrev_b64 v[4:5], 2, v[14:15]
	v_mbcnt_lo_u32_b32 v2, -1, 0
	s_mul_i32 s3, s15, s30
	s_mul_hi_u32 s9, s14, s30
	v_lshl_add_u64 v[78:79], s[16:17], 0, v[4:5]
	v_lshl_add_u64 v[80:81], s[18:19], 0, v[4:5]
	v_lshlrev_b64 v[4:5], 2, v[16:17]
	v_mbcnt_hi_u32_b32 v2, -1, v2
	s_mov_b32 s20, 0
	s_add_i32 s23, s9, s3
	s_mul_i32 s22, s14, s30
	v_lshlrev_b64 v[6:7], 2, v[6:7]
	v_lshl_add_u64 v[82:83], s[16:17], 0, v[4:5]
	v_lshl_add_u64 v[84:85], s[18:19], 0, v[4:5]
	v_lshlrev_b64 v[4:5], 2, v[18:19]
	v_lshlrev_b32_e32 v2, 2, v2
	s_mov_b32 s31, s20
	s_lshl_b64 s[34:35], s[22:23], 2
	v_lshl_add_u64 v[58:59], s[16:17], 0, v[6:7]
	v_lshl_add_u64 v[60:61], s[18:19], 0, v[6:7]
	s_mov_b64 s[36:37], 7
	v_lshl_add_u64 v[86:87], s[16:17], 0, v[4:5]
	v_lshl_add_u64 v[88:89], s[18:19], 0, v[4:5]
	v_and_b32_e32 v93, 0x100, v2
	s_mov_b64 s[16:17], s[28:29]
	v_mov_b32_e32 v94, 0
.LBB145_53:                             ; =>This Inner Loop Header: Depth=1
	s_add_u32 s18, s28, s36
	s_addc_u32 s19, 0, s37
	v_mov_b64_e32 v[4:5], s[12:13]
	v_cmp_ge_i64_e32 vcc, s[18:19], v[4:5]
	v_lshl_add_u64 v[90:91], s[28:29], 0, v[26:27]
	s_cbranch_vccz .LBB145_75
; %bb.54:                               ;   in Loop: Header=BB145_53 Depth=1
	s_load_dword s3, s[4:5], 0xc
	v_mov_b32_e32 v95, 0
	s_waitcnt lgkmcnt(0)
	s_and_b32 s3, s3, 0xffff
	v_mad_u32_u24 v2, v92, s3, v1
	v_and_b32_e32 v2, 63, v2
	v_cmp_gt_u32_e32 vcc, 8, v2
	s_and_saveexec_b64 s[18:19], vcc
	s_cbranch_execz .LBB145_58
; %bb.55:                               ;   in Loop: Header=BB145_53 Depth=1
	v_lshl_add_u64 v[4:5], v[90:91], 0, v[2:3]
	v_cmp_gt_i64_e32 vcc, s[12:13], v[4:5]
	v_mov_b32_e32 v95, 0
	s_and_saveexec_b64 s[22:23], vcc
	s_cbranch_execz .LBB145_57
; %bb.56:                               ;   in Loop: Header=BB145_53 Depth=1
	v_lshl_add_u64 v[4:5], v[4:5], 2, s[10:11]
	global_load_dword v95, v[4:5], off
.LBB145_57:                             ;   in Loop: Header=BB145_53 Depth=1
	s_or_b64 exec, exec, s[22:23]
.LBB145_58:                             ;   in Loop: Header=BB145_53 Depth=1
	s_or_b64 exec, exec, s[18:19]
	s_mov_b32 s21, s20
	s_mov_b32 s22, s20
	;; [unrolled: 1-line block ×7, first 2 shown]
	v_mov_b64_e32 v[10:11], s[20:21]
	v_mov_b64_e32 v[16:17], s[26:27]
	;; [unrolled: 1-line block ×5, first 2 shown]
	v_cmp_gt_i64_e32 vcc, s[12:13], v[90:91]
	v_mov_b64_e32 v[22:23], v[14:15]
	v_mov_b64_e32 v[20:21], v[12:13]
	v_mov_b64_e32 v[18:19], v[10:11]
	s_and_saveexec_b64 s[18:19], vcc
	s_cbranch_execz .LBB145_60
; %bb.59:                               ;   in Loop: Header=BB145_53 Depth=1
	v_lshl_add_u64 v[4:5], v[58:59], 0, v[28:29]
	global_load_dword v2, v[4:5], off
	v_lshl_add_u64 v[4:5], v[60:61], 0, v[28:29]
	global_load_dword v10, v[4:5], off
	v_mov_b32_e32 v8, v3
	v_mov_b32_e32 v9, v3
	;; [unrolled: 1-line block ×6, first 2 shown]
	s_waitcnt vmcnt(1)
	v_mov_b64_e32 v[24:25], v[8:9]
	v_mov_b32_e32 v11, v3
	v_mov_b32_e32 v12, v3
	;; [unrolled: 1-line block ×7, first 2 shown]
	v_mov_b64_e32 v[22:23], v[6:7]
	v_mov_b64_e32 v[20:21], v[4:5]
	;; [unrolled: 1-line block ×3, first 2 shown]
.LBB145_60:                             ;   in Loop: Header=BB145_53 Depth=1
	s_or_b64 exec, exec, s[18:19]
	v_lshl_add_u64 v[4:5], v[90:91], 0, 1
	v_cmp_gt_i64_e32 vcc, s[12:13], v[4:5]
	s_and_saveexec_b64 s[18:19], vcc
	s_cbranch_execz .LBB145_62
; %bb.61:                               ;   in Loop: Header=BB145_53 Depth=1
	v_lshl_add_u64 v[4:5], v[86:87], 0, v[28:29]
	global_load_dword v19, v[4:5], off
	v_lshl_add_u64 v[4:5], v[88:89], 0, v[28:29]
	global_load_dword v11, v[4:5], off
.LBB145_62:                             ;   in Loop: Header=BB145_53 Depth=1
	s_or_b64 exec, exec, s[18:19]
	v_lshl_add_u64 v[4:5], v[90:91], 0, 2
	v_cmp_gt_i64_e32 vcc, s[12:13], v[4:5]
	s_and_saveexec_b64 s[18:19], vcc
	s_cbranch_execz .LBB145_64
; %bb.63:                               ;   in Loop: Header=BB145_53 Depth=1
	v_lshl_add_u64 v[4:5], v[82:83], 0, v[28:29]
	global_load_dword v20, v[4:5], off
	v_lshl_add_u64 v[4:5], v[84:85], 0, v[28:29]
	global_load_dword v12, v[4:5], off
.LBB145_64:                             ;   in Loop: Header=BB145_53 Depth=1
	;; [unrolled: 11-line block ×7, first 2 shown]
	s_or_b64 exec, exec, s[18:19]
	s_waitcnt vmcnt(0)
	ds_bpermute_b32 v4, v93, v95
	ds_bpermute_b32 v5, v93, v95 offset:4
	v_pk_mul_f32 v[8:9], v[14:15], v[22:23]
	ds_bpermute_b32 v14, v93, v95 offset:8
	ds_bpermute_b32 v15, v93, v95 offset:12
	v_pk_mul_f32 v[10:11], v[10:11], v[18:19]
	v_pk_mul_f32 v[12:13], v[12:13], v[20:21]
	s_waitcnt lgkmcnt(2)
	v_pk_mul_f32 v[4:5], v[10:11], v[4:5]
	ds_bpermute_b32 v10, v93, v95 offset:16
	ds_bpermute_b32 v11, v93, v95 offset:20
	v_add_f32_e32 v2, v94, v4
	v_add_f32_e32 v2, v2, v5
	s_waitcnt lgkmcnt(2)
	v_pk_mul_f32 v[4:5], v[12:13], v[14:15]
	ds_bpermute_b32 v12, v93, v95 offset:24
	ds_bpermute_b32 v13, v93, v95 offset:28
	v_add_f32_e32 v2, v2, v4
	v_add_f32_e32 v2, v2, v5
	s_waitcnt lgkmcnt(2)
	v_pk_mul_f32 v[4:5], v[8:9], v[10:11]
	v_pk_mul_f32 v[6:7], v[16:17], v[24:25]
	v_add_f32_e32 v2, v2, v4
	v_add_f32_e32 v2, v2, v5
	s_waitcnt lgkmcnt(0)
	v_pk_mul_f32 v[4:5], v[6:7], v[12:13]
	s_nop 0
	v_add_f32_e32 v2, v2, v4
	v_add_f32_e32 v4, v2, v5
	s_branch .LBB145_81
.LBB145_75:                             ;   in Loop: Header=BB145_53 Depth=1
                                        ; implicit-def: $vgpr4
	s_cbranch_execz .LBB145_81
; %bb.76:                               ;   in Loop: Header=BB145_53 Depth=1
	s_load_dword s3, s[4:5], 0x0
	v_mov_b32_e32 v6, 0
	s_waitcnt lgkmcnt(0)
	s_cmp_lt_u32 s2, s3
	s_cselect_b32 s3, 12, 18
	s_add_u32 s18, s4, s3
	s_addc_u32 s19, s5, 0
	global_load_ushort v2, v3, s[18:19]
	s_waitcnt vmcnt(0)
	v_mad_u32_u24 v2, v92, v2, v1
	v_and_b32_e32 v2, 63, v2
	v_cmp_gt_u32_e32 vcc, 8, v2
	s_and_saveexec_b64 s[18:19], vcc
	s_cbranch_execz .LBB145_80
; %bb.77:                               ;   in Loop: Header=BB145_53 Depth=1
	v_lshl_add_u64 v[4:5], v[90:91], 0, v[2:3]
	v_cmp_gt_i64_e32 vcc, s[12:13], v[4:5]
	v_mov_b32_e32 v6, 0
	s_and_saveexec_b64 s[22:23], vcc
	s_cbranch_execz .LBB145_79
; %bb.78:                               ;   in Loop: Header=BB145_53 Depth=1
	v_lshl_add_u64 v[4:5], v[4:5], 2, s[10:11]
	global_load_dword v6, v[4:5], off
.LBB145_79:                             ;   in Loop: Header=BB145_53 Depth=1
	s_or_b64 exec, exec, s[22:23]
.LBB145_80:                             ;   in Loop: Header=BB145_53 Depth=1
	s_or_b64 exec, exec, s[18:19]
	v_lshl_add_u64 v[4:5], v[58:59], 0, v[28:29]
	v_lshl_add_u64 v[10:11], v[30:31], 0, v[28:29]
	global_load_dword v4, v[4:5], off
	v_lshl_add_u64 v[8:9], v[60:61], 0, v[28:29]
	global_load_dword v5, v[10:11], off
	;; [unrolled: 2-line block ×15, first 2 shown]
	s_waitcnt vmcnt(15)
	ds_bpermute_b32 v24, v93, v6 offset:8
	global_load_dword v21, v[22:23], off
	ds_bpermute_b32 v22, v93, v6
	ds_bpermute_b32 v23, v93, v6 offset:4
	ds_bpermute_b32 v25, v93, v6 offset:12
	;; [unrolled: 1-line block ×6, first 2 shown]
	s_waitcnt vmcnt(12)
	v_pk_mul_f32 v[4:5], v[4:5], v[8:9]
	s_waitcnt lgkmcnt(5)
	v_pk_mul_f32 v[4:5], v[4:5], v[22:23]
	s_waitcnt vmcnt(8)
	v_pk_mul_f32 v[6:7], v[10:11], v[12:13]
	v_add_f32_e32 v2, v94, v4
	s_waitcnt lgkmcnt(4)
	v_pk_mul_f32 v[6:7], v[6:7], v[24:25]
	v_add_f32_e32 v2, v2, v5
	v_add_f32_e32 v2, v2, v6
	;; [unrolled: 1-line block ×3, first 2 shown]
	s_waitcnt vmcnt(4)
	v_pk_mul_f32 v[8:9], v[14:15], v[16:17]
	s_waitcnt lgkmcnt(2)
	v_pk_mul_f32 v[8:9], v[8:9], v[90:91]
	s_waitcnt vmcnt(0)
	v_pk_mul_f32 v[10:11], v[18:19], v[20:21]
	v_add_f32_e32 v2, v2, v8
	v_add_f32_e32 v2, v2, v9
	s_waitcnt lgkmcnt(0)
	v_pk_mul_f32 v[4:5], v[10:11], v[96:97]
	s_nop 0
	v_add_f32_e32 v2, v2, v4
	v_add_f32_e32 v4, v2, v5
.LBB145_81:                             ;   in Loop: Header=BB145_53 Depth=1
	s_add_u32 s16, s16, s30
	s_addc_u32 s17, s17, 0
	v_mov_b64_e32 v[6:7], s[12:13]
	s_add_u32 s36, s36, s30
	v_cmp_ge_i64_e32 vcc, s[16:17], v[6:7]
	v_lshl_add_u64 v[26:27], v[26:27], 0, s[30:31]
	v_lshl_add_u64 v[30:31], v[30:31], 0, s[34:35]
	;; [unrolled: 1-line block ×31, first 2 shown]
	s_addc_u32 s37, s37, 0
	s_cbranch_vccnz .LBB145_83
; %bb.82:                               ;   in Loop: Header=BB145_53 Depth=1
	v_mov_b32_e32 v94, v4
	s_branch .LBB145_53
.LBB145_83:
	s_mov_b32 s3, 0
	s_lshl_b64 s[2:3], s[2:3], 6
	v_and_b32_e32 v1, 0x3ff, v0
	v_or_b32_e32 v2, s2, v1
	v_mov_b32_e32 v3, s3
	s_waitcnt lgkmcnt(0)
	s_cmp_lg_u64 s[6:7], 0
	v_cmp_gt_i64_e32 vcc, s[14:15], v[2:3]
	s_cselect_b64 s[2:3], -1, 0
	s_and_b64 s[2:3], vcc, s[2:3]
	s_and_saveexec_b64 s[4:5], s[2:3]
	s_cbranch_execz .LBB145_85
; %bb.84:
	s_load_dword s0, s[0:1], 0x4c
	v_bfe_u32 v0, v0, 10, 10
	v_mov_b32_e32 v1, 0
	v_mov_b32_e32 v5, s8
	s_waitcnt lgkmcnt(0)
	s_lshr_b32 s0, s0, 16
	v_mad_u64_u32 v[0:1], s[0:1], s0, v5, v[0:1]
	v_mul_lo_u32 v5, v1, s14
	v_mul_lo_u32 v6, v0, s15
	v_mad_u64_u32 v[0:1], s[0:1], v0, s14, 0
	v_add3_u32 v1, v1, v6, v5
	v_lshl_add_u64 v[0:1], v[0:1], 2, s[6:7]
	v_lshl_add_u64 v[0:1], v[2:3], 2, v[0:1]
	global_store_dword v[0:1], v4, off
.LBB145_85:
	s_endpgm
	.section	.rodata,"a",@progbits
	.p2align	6, 0x0
	.amdhsa_kernel _ZN2at6native12_GLOBAL__N_135GammaBetaBackwardCUDAKernelTemplateIffLj64ELj1ELj8ELb1ELb0ELb1EEEvllPKT_S5_PKT0_S8_PS3_S9_
		.amdhsa_group_segment_fixed_size 0
		.amdhsa_private_segment_fixed_size 0
		.amdhsa_kernarg_size 320
		.amdhsa_user_sgpr_count 2
		.amdhsa_user_sgpr_dispatch_ptr 0
		.amdhsa_user_sgpr_queue_ptr 0
		.amdhsa_user_sgpr_kernarg_segment_ptr 1
		.amdhsa_user_sgpr_dispatch_id 0
		.amdhsa_user_sgpr_kernarg_preload_length 0
		.amdhsa_user_sgpr_kernarg_preload_offset 0
		.amdhsa_user_sgpr_private_segment_size 0
		.amdhsa_uses_dynamic_stack 0
		.amdhsa_enable_private_segment 0
		.amdhsa_system_sgpr_workgroup_id_x 1
		.amdhsa_system_sgpr_workgroup_id_y 1
		.amdhsa_system_sgpr_workgroup_id_z 0
		.amdhsa_system_sgpr_workgroup_info 0
		.amdhsa_system_vgpr_workitem_id 1
		.amdhsa_next_free_vgpr 98
		.amdhsa_next_free_sgpr 44
		.amdhsa_accum_offset 100
		.amdhsa_reserve_vcc 1
		.amdhsa_float_round_mode_32 0
		.amdhsa_float_round_mode_16_64 0
		.amdhsa_float_denorm_mode_32 3
		.amdhsa_float_denorm_mode_16_64 3
		.amdhsa_dx10_clamp 1
		.amdhsa_ieee_mode 1
		.amdhsa_fp16_overflow 0
		.amdhsa_tg_split 0
		.amdhsa_exception_fp_ieee_invalid_op 0
		.amdhsa_exception_fp_denorm_src 0
		.amdhsa_exception_fp_ieee_div_zero 0
		.amdhsa_exception_fp_ieee_overflow 0
		.amdhsa_exception_fp_ieee_underflow 0
		.amdhsa_exception_fp_ieee_inexact 0
		.amdhsa_exception_int_div_zero 0
	.end_amdhsa_kernel
	.section	.text._ZN2at6native12_GLOBAL__N_135GammaBetaBackwardCUDAKernelTemplateIffLj64ELj1ELj8ELb1ELb0ELb1EEEvllPKT_S5_PKT0_S8_PS3_S9_,"axG",@progbits,_ZN2at6native12_GLOBAL__N_135GammaBetaBackwardCUDAKernelTemplateIffLj64ELj1ELj8ELb1ELb0ELb1EEEvllPKT_S5_PKT0_S8_PS3_S9_,comdat
.Lfunc_end145:
	.size	_ZN2at6native12_GLOBAL__N_135GammaBetaBackwardCUDAKernelTemplateIffLj64ELj1ELj8ELb1ELb0ELb1EEEvllPKT_S5_PKT0_S8_PS3_S9_, .Lfunc_end145-_ZN2at6native12_GLOBAL__N_135GammaBetaBackwardCUDAKernelTemplateIffLj64ELj1ELj8ELb1ELb0ELb1EEEvllPKT_S5_PKT0_S8_PS3_S9_
                                        ; -- End function
	.section	.AMDGPU.csdata,"",@progbits
; Kernel info:
; codeLenInByte = 5704
; NumSgprs: 50
; NumVgprs: 98
; NumAgprs: 0
; TotalNumVgprs: 98
; ScratchSize: 0
; MemoryBound: 0
; FloatMode: 240
; IeeeMode: 1
; LDSByteSize: 0 bytes/workgroup (compile time only)
; SGPRBlocks: 6
; VGPRBlocks: 12
; NumSGPRsForWavesPerEU: 50
; NumVGPRsForWavesPerEU: 98
; AccumOffset: 100
; Occupancy: 4
; WaveLimiterHint : 0
; COMPUTE_PGM_RSRC2:SCRATCH_EN: 0
; COMPUTE_PGM_RSRC2:USER_SGPR: 2
; COMPUTE_PGM_RSRC2:TRAP_HANDLER: 0
; COMPUTE_PGM_RSRC2:TGID_X_EN: 1
; COMPUTE_PGM_RSRC2:TGID_Y_EN: 1
; COMPUTE_PGM_RSRC2:TGID_Z_EN: 0
; COMPUTE_PGM_RSRC2:TIDIG_COMP_CNT: 1
; COMPUTE_PGM_RSRC3_GFX90A:ACCUM_OFFSET: 24
; COMPUTE_PGM_RSRC3_GFX90A:TG_SPLIT: 0
	.section	.text._ZN2at6native12_GLOBAL__N_135GammaBetaBackwardCUDAKernelTemplateIffLj64ELj8ELj64ELb0ELb1ELb1EEEvllPKT_S5_PKT0_S8_PS3_S9_,"axG",@progbits,_ZN2at6native12_GLOBAL__N_135GammaBetaBackwardCUDAKernelTemplateIffLj64ELj8ELj64ELb0ELb1ELb1EEEvllPKT_S5_PKT0_S8_PS3_S9_,comdat
	.globl	_ZN2at6native12_GLOBAL__N_135GammaBetaBackwardCUDAKernelTemplateIffLj64ELj8ELj64ELb0ELb1ELb1EEEvllPKT_S5_PKT0_S8_PS3_S9_ ; -- Begin function _ZN2at6native12_GLOBAL__N_135GammaBetaBackwardCUDAKernelTemplateIffLj64ELj8ELj64ELb0ELb1ELb1EEEvllPKT_S5_PKT0_S8_PS3_S9_
	.p2align	8
	.type	_ZN2at6native12_GLOBAL__N_135GammaBetaBackwardCUDAKernelTemplateIffLj64ELj8ELj64ELb0ELb1ELb1EEEvllPKT_S5_PKT0_S8_PS3_S9_,@function
_ZN2at6native12_GLOBAL__N_135GammaBetaBackwardCUDAKernelTemplateIffLj64ELj8ELj64ELb0ELb1ELb1EEEvllPKT_S5_PKT0_S8_PS3_S9_: ; @_ZN2at6native12_GLOBAL__N_135GammaBetaBackwardCUDAKernelTemplateIffLj64ELj8ELj64ELb0ELb1ELb1EEEvllPKT_S5_PKT0_S8_PS3_S9_
; %bb.0:
	s_load_dwordx4 s[4:7], s[0:1], 0x0
	s_lshl_b32 s14, s3, 6
	s_mov_b32 s15, 0
	v_bfe_u32 v12, v0, 10, 10
	s_waitcnt lgkmcnt(0)
	v_mov_b64_e32 v[2:3], s[4:5]
	v_cmp_lt_i64_e32 vcc, s[14:15], v[2:3]
	s_cbranch_vccnz .LBB146_2
; %bb.1:
	s_mov_b64 s[8:9], 0
	v_bfe_u32 v2, v0, 10, 10
	s_branch .LBB146_3
.LBB146_2:
	s_mov_b64 s[8:9], -1
                                        ; implicit-def: $vgpr2
.LBB146_3:
	s_load_dwordx2 s[12:13], s[0:1], 0x30
	v_and_b32_e32 v10, 0x3ff, v0
	s_andn2_b64 vcc, exec, s[8:9]
	v_mov_b32_e32 v1, s15
	v_mbcnt_lo_u32_b32 v11, -1, 0
	s_cbranch_vccnz .LBB146_11
; %bb.4:
	s_load_dword s3, s[0:1], 0x4c
	s_load_dword s16, s[0:1], 0x44
	s_load_dwordx2 s[18:19], s[0:1], 0x28
	s_load_dwordx4 s[8:11], s[0:1], 0x10
	v_lshlrev_b32_e32 v0, 3, v12
	s_waitcnt lgkmcnt(0)
	s_and_b32 s0, s3, 0xffff
	v_mad_u32_u24 v1, v12, s0, v10
	v_and_b32_e32 v2, 63, v1
	v_mov_b32_e32 v1, 0
	v_mov_b32_e32 v3, v1
	v_lshl_add_u64 v[8:9], v[0:1], 0, s[14:15]
	v_cmp_gt_u32_e64 s[0:1], 8, v2
	v_mbcnt_hi_u32_b32 v4, -1, v11
	s_lshl_b32 s16, s16, 6
	v_lshl_add_u64 v[2:3], v[8:9], 0, v[2:3]
	v_mul_lo_u32 v0, s7, v8
	v_mul_lo_u32 v21, s6, v9
	v_mad_u64_u32 v[8:9], s[20:21], s6, v8, 0
	v_lshl_add_u32 v6, s2, 6, v10
	v_mov_b32_e32 v7, v1
	v_lshlrev_b32_e32 v4, 2, v4
	s_mul_i32 s3, s7, s16
	s_mul_hi_u32 s20, s6, s16
	s_mov_b32 s17, 0
	v_and_b32_e32 v13, 0x100, v4
	v_add3_u32 v9, v9, v21, v0
	v_lshlrev_b64 v[6:7], 2, v[6:7]
	s_add_i32 s21, s20, s3
	s_mul_i32 s20, s6, s16
	v_or_b32_e32 v14, 4, v13
	v_or_b32_e32 v15, 8, v13
	;; [unrolled: 1-line block ×7, first 2 shown]
	v_lshl_add_u64 v[4:5], v[2:3], 2, s[18:19]
	s_lshl_b64 s[18:19], s[16:17], 2
	v_lshl_add_u64 v[6:7], v[8:9], 2, v[6:7]
	s_lshl_b64 s[20:21], s[20:21], 2
	s_lshl_b64 s[6:7], s[6:7], 2
	v_mov_b64_e32 v[8:9], s[4:5]
	s_branch .LBB146_7
.LBB146_5:                              ;   in Loop: Header=BB146_7 Depth=1
	s_or_b64 exec, exec, s[24:25]
.LBB146_6:                              ;   in Loop: Header=BB146_7 Depth=1
	s_or_b64 exec, exec, s[22:23]
	v_lshl_add_u64 v[22:23], s[8:9], 0, v[6:7]
	global_load_dword v24, v[22:23], off
	v_lshl_add_u64 v[26:27], s[10:11], 0, v[6:7]
	v_lshl_add_u64 v[22:23], v[22:23], 0, s[6:7]
	global_load_dword v28, v[26:27], off
	global_load_dword v25, v[22:23], off
	v_lshl_add_u64 v[26:27], v[26:27], 0, s[6:7]
	v_lshl_add_u64 v[22:23], v[22:23], 0, s[6:7]
	global_load_dword v29, v[26:27], off
	;; [unrolled: 4-line block ×7, first 2 shown]
	v_lshl_add_u64 v[22:23], v[26:27], 0, s[6:7]
	global_load_dword v40, v[26:27], off
	global_load_dword v41, v[22:23], off
	s_waitcnt vmcnt(16)
	ds_bpermute_b32 v22, v13, v0
	ds_bpermute_b32 v23, v14, v0
	;; [unrolled: 1-line block ×8, first 2 shown]
	s_add_u32 s14, s14, s16
	s_addc_u32 s15, s15, 0
	v_cmp_lt_i64_e32 vcc, s[14:15], v[8:9]
	v_lshl_add_u64 v[4:5], v[4:5], 0, s[18:19]
	v_lshl_add_u64 v[2:3], v[2:3], 0, s[16:17]
	;; [unrolled: 1-line block ×3, first 2 shown]
	s_and_b64 vcc, exec, vcc
	s_waitcnt vmcnt(12)
	v_pk_mul_f32 v[24:25], v[24:25], v[28:29]
	s_waitcnt lgkmcnt(6)
	v_pk_mul_f32 v[22:23], v[24:25], v[22:23]
	s_nop 0
	v_add_f32_e32 v21, v1, v22
	v_add_f32_e32 v21, v21, v23
	s_waitcnt vmcnt(8)
	v_pk_mul_f32 v[0:1], v[30:31], v[32:33]
	s_waitcnt lgkmcnt(4)
	v_pk_mul_f32 v[0:1], v[0:1], v[26:27]
	s_waitcnt vmcnt(4)
	v_pk_mul_f32 v[22:23], v[34:35], v[36:37]
	v_add_f32_e32 v0, v21, v0
	v_add_f32_e32 v21, v0, v1
	s_waitcnt lgkmcnt(2)
	v_pk_mul_f32 v[0:1], v[22:23], v[42:43]
	s_waitcnt vmcnt(0)
	v_pk_mul_f32 v[22:23], v[38:39], v[40:41]
	v_add_f32_e32 v0, v21, v0
	v_add_f32_e32 v21, v0, v1
	s_waitcnt lgkmcnt(0)
	v_pk_mul_f32 v[0:1], v[22:23], v[44:45]
	s_nop 0
	v_add_f32_e32 v0, v21, v0
	v_add_f32_e32 v1, v0, v1
	s_cbranch_vccz .LBB146_10
.LBB146_7:                              ; =>This Inner Loop Header: Depth=1
	v_mov_b32_e32 v0, 0
	s_and_saveexec_b64 s[22:23], s[0:1]
	s_cbranch_execz .LBB146_6
; %bb.8:                                ;   in Loop: Header=BB146_7 Depth=1
	v_cmp_gt_i64_e32 vcc, s[4:5], v[2:3]
	v_mov_b32_e32 v0, 0
	s_and_saveexec_b64 s[24:25], vcc
	s_cbranch_execz .LBB146_5
; %bb.9:                                ;   in Loop: Header=BB146_7 Depth=1
	global_load_dword v0, v[4:5], off
	s_branch .LBB146_5
.LBB146_10:
	v_mov_b32_e32 v2, v12
.LBB146_11:
	s_movk_i32 s0, 0x41
	v_mad_u32_u24 v0, v2, s0, v10
	v_lshl_add_u32 v0, v0, 2, 0
	ds_write_b32 v0, v1
	v_mov_b32_e32 v1, 0
	ds_write_b32 v0, v1 offset:2080
	v_lshrrev_b32_e32 v0, 6, v10
	v_add_u32_e32 v3, v0, v2
	s_mov_b32 s3, 0
	v_cmp_gt_u32_e32 vcc, 64, v3
	s_waitcnt lgkmcnt(0)
	s_barrier
	s_and_saveexec_b64 s[0:1], vcc
	s_cbranch_execz .LBB146_18
; %bb.12:
	v_mbcnt_hi_u32_b32 v6, -1, v11
	v_and_b32_e32 v4, 63, v10
	v_and_b32_e32 v5, 64, v6
	s_cmp_lg_u64 s[12:13], 0
	v_cmp_gt_u32_e32 vcc, 8, v4
	v_add_u32_e32 v7, 64, v5
	v_cmp_eq_u32_e64 s[0:1], 0, v10
	s_cselect_b64 s[6:7], -1, 0
	v_mul_u32_u24_e32 v8, 0x104, v4
	v_xor_b32_e32 v4, 4, v6
	s_and_b64 s[6:7], s[0:1], s[6:7]
	v_cmp_lt_i32_e64 s[0:1], v4, v7
	v_xor_b32_e32 v5, 2, v6
	v_xor_b32_e32 v9, 1, v6
	v_cndmask_b32_e64 v4, v6, v4, s[0:1]
	v_cmp_lt_i32_e64 s[0:1], v5, v7
	s_mov_b64 s[4:5], 0
	v_lshlrev_b32_e32 v4, 2, v4
	v_cndmask_b32_e64 v5, v6, v5, s[0:1]
	v_cmp_lt_i32_e64 s[0:1], v9, v7
	v_lshlrev_b32_e32 v7, 2, v3
	v_add3_u32 v7, v8, v7, 0
	v_cndmask_b32_e64 v6, v6, v9, s[0:1]
	s_lshl_b64 s[0:1], s[2:3], 8
	v_add_u32_e32 v8, -8, v3
	v_mov_b32_e32 v3, v1
	s_add_u32 s0, s12, s0
	v_lshl_add_u64 v[0:1], v[0:1], 0, v[2:3]
	s_addc_u32 s1, s13, s1
	v_lshlrev_b32_e32 v5, 2, v5
	v_lshlrev_b32_e32 v6, 2, v6
	v_lshl_add_u64 v[0:1], v[0:1], 2, s[0:1]
                                        ; implicit-def: $vgpr2
	s_branch .LBB146_14
.LBB146_13:                             ;   in Loop: Header=BB146_14 Depth=1
	s_or_b64 exec, exec, s[0:1]
	v_add_u32_e32 v8, 8, v8
	v_cmp_lt_u32_e64 s[0:1], 55, v8
	v_add_u32_e32 v7, 32, v7
	s_or_b64 s[4:5], s[0:1], s[4:5]
	v_lshl_add_u64 v[0:1], v[0:1], 0, 32
	s_andn2_b64 exec, exec, s[4:5]
	s_cbranch_execz .LBB146_18
.LBB146_14:                             ; =>This Inner Loop Header: Depth=1
	s_and_saveexec_b64 s[0:1], vcc
	s_cbranch_execz .LBB146_16
; %bb.15:                               ;   in Loop: Header=BB146_14 Depth=1
	ds_read_b32 v2, v7
.LBB146_16:                             ;   in Loop: Header=BB146_14 Depth=1
	s_or_b64 exec, exec, s[0:1]
	s_waitcnt lgkmcnt(0)
	ds_bpermute_b32 v3, v4, v2
	s_waitcnt lgkmcnt(0)
	v_add_f32_e32 v2, v2, v3
	ds_bpermute_b32 v3, v5, v2
	s_waitcnt lgkmcnt(0)
	v_add_f32_e32 v2, v2, v3
	;; [unrolled: 3-line block ×3, first 2 shown]
	s_and_saveexec_b64 s[0:1], s[6:7]
	s_cbranch_execz .LBB146_13
; %bb.17:                               ;   in Loop: Header=BB146_14 Depth=1
	global_store_dword v[0:1], v2, off
	s_branch .LBB146_13
.LBB146_18:
	s_endpgm
	.section	.rodata,"a",@progbits
	.p2align	6, 0x0
	.amdhsa_kernel _ZN2at6native12_GLOBAL__N_135GammaBetaBackwardCUDAKernelTemplateIffLj64ELj8ELj64ELb0ELb1ELb1EEEvllPKT_S5_PKT0_S8_PS3_S9_
		.amdhsa_group_segment_fixed_size 0
		.amdhsa_private_segment_fixed_size 0
		.amdhsa_kernarg_size 320
		.amdhsa_user_sgpr_count 2
		.amdhsa_user_sgpr_dispatch_ptr 0
		.amdhsa_user_sgpr_queue_ptr 0
		.amdhsa_user_sgpr_kernarg_segment_ptr 1
		.amdhsa_user_sgpr_dispatch_id 0
		.amdhsa_user_sgpr_kernarg_preload_length 0
		.amdhsa_user_sgpr_kernarg_preload_offset 0
		.amdhsa_user_sgpr_private_segment_size 0
		.amdhsa_uses_dynamic_stack 0
		.amdhsa_enable_private_segment 0
		.amdhsa_system_sgpr_workgroup_id_x 1
		.amdhsa_system_sgpr_workgroup_id_y 1
		.amdhsa_system_sgpr_workgroup_id_z 0
		.amdhsa_system_sgpr_workgroup_info 0
		.amdhsa_system_vgpr_workitem_id 1
		.amdhsa_next_free_vgpr 46
		.amdhsa_next_free_sgpr 26
		.amdhsa_accum_offset 48
		.amdhsa_reserve_vcc 1
		.amdhsa_float_round_mode_32 0
		.amdhsa_float_round_mode_16_64 0
		.amdhsa_float_denorm_mode_32 3
		.amdhsa_float_denorm_mode_16_64 3
		.amdhsa_dx10_clamp 1
		.amdhsa_ieee_mode 1
		.amdhsa_fp16_overflow 0
		.amdhsa_tg_split 0
		.amdhsa_exception_fp_ieee_invalid_op 0
		.amdhsa_exception_fp_denorm_src 0
		.amdhsa_exception_fp_ieee_div_zero 0
		.amdhsa_exception_fp_ieee_overflow 0
		.amdhsa_exception_fp_ieee_underflow 0
		.amdhsa_exception_fp_ieee_inexact 0
		.amdhsa_exception_int_div_zero 0
	.end_amdhsa_kernel
	.section	.text._ZN2at6native12_GLOBAL__N_135GammaBetaBackwardCUDAKernelTemplateIffLj64ELj8ELj64ELb0ELb1ELb1EEEvllPKT_S5_PKT0_S8_PS3_S9_,"axG",@progbits,_ZN2at6native12_GLOBAL__N_135GammaBetaBackwardCUDAKernelTemplateIffLj64ELj8ELj64ELb0ELb1ELb1EEEvllPKT_S5_PKT0_S8_PS3_S9_,comdat
.Lfunc_end146:
	.size	_ZN2at6native12_GLOBAL__N_135GammaBetaBackwardCUDAKernelTemplateIffLj64ELj8ELj64ELb0ELb1ELb1EEEvllPKT_S5_PKT0_S8_PS3_S9_, .Lfunc_end146-_ZN2at6native12_GLOBAL__N_135GammaBetaBackwardCUDAKernelTemplateIffLj64ELj8ELj64ELb0ELb1ELb1EEEvllPKT_S5_PKT0_S8_PS3_S9_
                                        ; -- End function
	.section	.AMDGPU.csdata,"",@progbits
; Kernel info:
; codeLenInByte = 1292
; NumSgprs: 32
; NumVgprs: 46
; NumAgprs: 0
; TotalNumVgprs: 46
; ScratchSize: 0
; MemoryBound: 0
; FloatMode: 240
; IeeeMode: 1
; LDSByteSize: 0 bytes/workgroup (compile time only)
; SGPRBlocks: 3
; VGPRBlocks: 5
; NumSGPRsForWavesPerEU: 32
; NumVGPRsForWavesPerEU: 46
; AccumOffset: 48
; Occupancy: 8
; WaveLimiterHint : 0
; COMPUTE_PGM_RSRC2:SCRATCH_EN: 0
; COMPUTE_PGM_RSRC2:USER_SGPR: 2
; COMPUTE_PGM_RSRC2:TRAP_HANDLER: 0
; COMPUTE_PGM_RSRC2:TGID_X_EN: 1
; COMPUTE_PGM_RSRC2:TGID_Y_EN: 1
; COMPUTE_PGM_RSRC2:TGID_Z_EN: 0
; COMPUTE_PGM_RSRC2:TIDIG_COMP_CNT: 1
; COMPUTE_PGM_RSRC3_GFX90A:ACCUM_OFFSET: 11
; COMPUTE_PGM_RSRC3_GFX90A:TG_SPLIT: 0
	.section	.text._ZN2at6native12_GLOBAL__N_135GammaBetaBackwardCUDAKernelTemplateIffLj64ELj8ELj64ELb0ELb0ELb1EEEvllPKT_S5_PKT0_S8_PS3_S9_,"axG",@progbits,_ZN2at6native12_GLOBAL__N_135GammaBetaBackwardCUDAKernelTemplateIffLj64ELj8ELj64ELb0ELb0ELb1EEEvllPKT_S5_PKT0_S8_PS3_S9_,comdat
	.globl	_ZN2at6native12_GLOBAL__N_135GammaBetaBackwardCUDAKernelTemplateIffLj64ELj8ELj64ELb0ELb0ELb1EEEvllPKT_S5_PKT0_S8_PS3_S9_ ; -- Begin function _ZN2at6native12_GLOBAL__N_135GammaBetaBackwardCUDAKernelTemplateIffLj64ELj8ELj64ELb0ELb0ELb1EEEvllPKT_S5_PKT0_S8_PS3_S9_
	.p2align	8
	.type	_ZN2at6native12_GLOBAL__N_135GammaBetaBackwardCUDAKernelTemplateIffLj64ELj8ELj64ELb0ELb0ELb1EEEvllPKT_S5_PKT0_S8_PS3_S9_,@function
_ZN2at6native12_GLOBAL__N_135GammaBetaBackwardCUDAKernelTemplateIffLj64ELj8ELj64ELb0ELb0ELb1EEEvllPKT_S5_PKT0_S8_PS3_S9_: ; @_ZN2at6native12_GLOBAL__N_135GammaBetaBackwardCUDAKernelTemplateIffLj64ELj8ELj64ELb0ELb0ELb1EEEvllPKT_S5_PKT0_S8_PS3_S9_
; %bb.0:
	s_load_dwordx8 s[8:15], s[0:1], 0x0
	s_load_dwordx2 s[24:25], s[0:1], 0x28
	s_lshl_b32 s33, s2, 6
	s_or_b32 s26, s33, 63
	s_mov_b32 s27, 0
	s_waitcnt lgkmcnt(0)
	v_mov_b64_e32 v[2:3], s[10:11]
	v_cmp_ge_i64_e32 vcc, s[26:27], v[2:3]
	s_lshl_b32 s26, s3, 6
	v_mov_b64_e32 v[2:3], s[8:9]
	v_cmp_lt_i64_e64 s[4:5], s[26:27], v[2:3]
	s_nop 1
	v_cndmask_b32_e64 v1, 0, 1, s[4:5]
	v_cmp_ne_u32_e64 s[4:5], 1, v1
	s_cbranch_vccz .LBB147_49
; %bb.1:
	s_and_b64 vcc, exec, s[4:5]
	v_mov_b32_e32 v4, 0
	s_cbranch_vccnz .LBB147_50
; %bb.2:
	v_mov_b32_e32 v3, 0
	v_bfe_u32 v64, v0, 10, 10
	s_load_dword s3, s[0:1], 0x44
	v_lshlrev_b32_e32 v26, 3, v64
	v_mov_b32_e32 v27, v3
	v_and_b32_e32 v1, 0x3ff, v0
	v_lshl_add_u64 v[4:5], v[26:27], 0, s[26:27]
	v_add_u32_e32 v2, s33, v1
	v_lshl_add_u64 v[6:7], v[4:5], 0, 7
	s_add_u32 s28, s0, 64
	v_cmp_gt_i64_e64 s[6:7], s[10:11], v[2:3]
	v_lshlrev_b64 v[28:29], 2, v[2:3]
	v_mul_lo_u32 v2, s11, v6
	v_mul_lo_u32 v8, s10, v7
	v_mad_u64_u32 v[6:7], s[18:19], s10, v6, 0
	s_addc_u32 s29, s1, 0
	s_waitcnt lgkmcnt(0)
	s_lshl_b32 s3, s3, 6
	v_add3_u32 v7, v7, v8, v2
	v_lshlrev_b64 v[6:7], 2, v[6:7]
	s_mul_i32 s17, s11, s3
	s_mul_hi_u32 s18, s10, s3
	v_lshl_add_u64 v[30:31], s[12:13], 0, v[6:7]
	s_add_i32 s19, s18, s17
	s_mul_i32 s18, s10, s3
	v_lshl_add_u64 v[32:33], s[14:15], 0, v[6:7]
	v_lshl_add_u64 v[6:7], v[4:5], 0, 6
	s_lshl_b64 s[30:31], s[18:19], 2
	v_mul_lo_u32 v2, s11, v6
	v_mul_lo_u32 v8, s10, v7
	v_mad_u64_u32 v[6:7], s[18:19], s10, v6, 0
	v_add3_u32 v7, v7, v8, v2
	v_lshlrev_b64 v[6:7], 2, v[6:7]
	v_lshl_add_u64 v[34:35], s[12:13], 0, v[6:7]
	v_lshl_add_u64 v[36:37], s[14:15], 0, v[6:7]
	v_lshl_add_u64 v[6:7], v[4:5], 0, 5
	v_mul_lo_u32 v2, s11, v6
	v_mul_lo_u32 v8, s10, v7
	v_mad_u64_u32 v[6:7], s[18:19], s10, v6, 0
	v_add3_u32 v7, v7, v8, v2
	v_lshlrev_b64 v[6:7], 2, v[6:7]
	v_lshl_add_u64 v[38:39], s[12:13], 0, v[6:7]
	v_lshl_add_u64 v[40:41], s[14:15], 0, v[6:7]
	v_lshl_add_u64 v[6:7], v[4:5], 0, 4
	v_mul_lo_u32 v2, s11, v6
	v_mul_lo_u32 v8, s10, v7
	v_mad_u64_u32 v[6:7], s[18:19], s10, v6, 0
	v_add3_u32 v7, v7, v8, v2
	v_lshlrev_b64 v[6:7], 2, v[6:7]
	v_lshl_add_u64 v[42:43], s[12:13], 0, v[6:7]
	v_lshl_add_u64 v[44:45], s[14:15], 0, v[6:7]
	v_lshl_add_u64 v[6:7], v[4:5], 0, 3
	v_mul_lo_u32 v2, s11, v6
	v_mul_lo_u32 v8, s10, v7
	v_mad_u64_u32 v[6:7], s[18:19], s10, v6, 0
	v_add3_u32 v7, v7, v8, v2
	v_lshlrev_b64 v[6:7], 2, v[6:7]
	v_lshl_add_u64 v[46:47], s[12:13], 0, v[6:7]
	v_lshl_add_u64 v[48:49], s[14:15], 0, v[6:7]
	v_lshl_add_u64 v[6:7], v[4:5], 0, 2
	v_mul_lo_u32 v2, s11, v6
	v_mul_lo_u32 v8, s10, v7
	v_mad_u64_u32 v[6:7], s[18:19], s10, v6, 0
	v_add3_u32 v7, v7, v8, v2
	v_lshlrev_b64 v[6:7], 2, v[6:7]
	v_lshl_add_u64 v[50:51], s[12:13], 0, v[6:7]
	v_lshl_add_u64 v[52:53], s[14:15], 0, v[6:7]
	v_mov_b64_e32 v[6:7], s[10:11]
	v_mad_u64_u32 v[6:7], s[18:19], s10, v4, v[6:7]
	v_mul_lo_u32 v2, s10, v5
	v_mul_lo_u32 v8, s11, v4
	v_mad_u64_u32 v[4:5], s[18:19], s10, v4, 0
	v_add3_u32 v7, v8, v7, v2
	v_add3_u32 v5, v5, v2, v8
	v_mbcnt_lo_u32_b32 v2, -1, 0
	v_mbcnt_hi_u32_b32 v2, -1, v2
	v_lshlrev_b64 v[6:7], 2, v[6:7]
	s_add_u32 s34, s26, 63
	v_lshlrev_b64 v[4:5], 2, v[4:5]
	s_movk_i32 s36, 0xffc1
	s_movk_i32 s38, 0xffc2
	s_movk_i32 s40, 0xffc3
	s_movk_i32 s42, 0xffc4
	s_movk_i32 s44, 0xffc5
	s_movk_i32 s46, 0xffc6
	s_movk_i32 s48, 0xffc7
	s_movk_i32 s50, 0xffc8
	v_lshlrev_b32_e32 v2, 2, v2
	s_mov_b32 s16, 0
	v_lshl_add_u64 v[54:55], s[12:13], 0, v[6:7]
	v_lshl_add_u64 v[56:57], s[14:15], 0, v[6:7]
	s_addc_u32 s35, 0, 0
	v_lshl_add_u64 v[58:59], s[12:13], 0, v[4:5]
	v_lshl_add_u64 v[60:61], s[14:15], 0, v[4:5]
	s_mov_b32 s37, -1
	s_mov_b32 s39, -1
	;; [unrolled: 1-line block ×8, first 2 shown]
	v_and_b32_e32 v65, 0x100, v2
	s_mov_b64 s[52:53], s[26:27]
	v_mov_b32_e32 v66, 0
.LBB147_3:                              ; =>This Inner Loop Header: Depth=1
	v_mov_b64_e32 v[4:5], s[8:9]
	v_cmp_ge_i64_e32 vcc, s[34:35], v[4:5]
	v_lshl_add_u64 v[62:63], v[26:27], 0, s[34:35]
	s_cbranch_vccz .LBB147_25
; %bb.4:                                ;   in Loop: Header=BB147_3 Depth=1
	s_load_dword s17, s[28:29], 0xc
	v_mov_b32_e32 v67, 0
	s_waitcnt lgkmcnt(0)
	s_and_b32 s17, s17, 0xffff
	v_mad_u32_u24 v2, v64, s17, v1
	v_and_b32_e32 v2, 63, v2
	v_cmp_gt_u32_e32 vcc, 8, v2
	s_and_saveexec_b64 s[18:19], vcc
	s_cbranch_execz .LBB147_8
; %bb.5:                                ;   in Loop: Header=BB147_3 Depth=1
	v_lshl_add_u64 v[4:5], v[62:63], 0, v[2:3]
	v_lshl_add_u64 v[4:5], v[4:5], 0, s[36:37]
	v_cmp_gt_i64_e32 vcc, s[8:9], v[4:5]
	v_mov_b32_e32 v67, 0
	s_and_saveexec_b64 s[20:21], vcc
	s_cbranch_execz .LBB147_7
; %bb.6:                                ;   in Loop: Header=BB147_3 Depth=1
	v_lshl_add_u64 v[4:5], v[4:5], 2, s[24:25]
	global_load_dword v67, v[4:5], off
.LBB147_7:                              ;   in Loop: Header=BB147_3 Depth=1
	s_or_b64 exec, exec, s[20:21]
.LBB147_8:                              ;   in Loop: Header=BB147_3 Depth=1
	s_or_b64 exec, exec, s[18:19]
	s_mov_b32 s17, s16
	s_mov_b32 s18, s16
	;; [unrolled: 1-line block ×7, first 2 shown]
	v_mov_b64_e32 v[10:11], s[16:17]
	v_lshl_add_u64 v[4:5], v[62:63], 0, s[36:37]
	v_mov_b64_e32 v[16:17], s[22:23]
	v_cmp_gt_i64_e32 vcc, s[8:9], v[4:5]
	v_mov_b64_e32 v[12:13], s[18:19]
	v_mov_b64_e32 v[14:15], s[20:21]
	;; [unrolled: 1-line block ×3, first 2 shown]
	s_and_b64 s[54:55], s[6:7], vcc
	v_mov_b64_e32 v[22:23], v[14:15]
	v_mov_b64_e32 v[20:21], v[12:13]
	;; [unrolled: 1-line block ×3, first 2 shown]
	s_and_saveexec_b64 s[18:19], s[54:55]
	s_cbranch_execz .LBB147_10
; %bb.9:                                ;   in Loop: Header=BB147_3 Depth=1
	v_lshl_add_u64 v[4:5], v[58:59], 0, v[28:29]
	global_load_dword v2, v[4:5], off
	v_lshl_add_u64 v[4:5], v[60:61], 0, v[28:29]
	global_load_dword v10, v[4:5], off
	v_mov_b32_e32 v8, v3
	v_mov_b32_e32 v9, v3
	v_mov_b32_e32 v4, v3
	v_mov_b32_e32 v5, v3
	v_mov_b32_e32 v6, v3
	v_mov_b32_e32 v7, v3
	s_waitcnt vmcnt(1)
	v_mov_b64_e32 v[24:25], v[8:9]
	v_mov_b32_e32 v11, v3
	v_mov_b32_e32 v12, v3
	;; [unrolled: 1-line block ×7, first 2 shown]
	v_mov_b64_e32 v[22:23], v[6:7]
	v_mov_b64_e32 v[20:21], v[4:5]
	;; [unrolled: 1-line block ×3, first 2 shown]
.LBB147_10:                             ;   in Loop: Header=BB147_3 Depth=1
	s_or_b64 exec, exec, s[18:19]
	v_lshl_add_u64 v[4:5], v[62:63], 0, s[38:39]
	v_cmp_gt_i64_e32 vcc, s[8:9], v[4:5]
	s_and_b64 s[20:21], s[6:7], vcc
	s_and_saveexec_b64 s[18:19], s[20:21]
	s_cbranch_execz .LBB147_12
; %bb.11:                               ;   in Loop: Header=BB147_3 Depth=1
	v_lshl_add_u64 v[4:5], v[54:55], 0, v[28:29]
	global_load_dword v19, v[4:5], off
	v_lshl_add_u64 v[4:5], v[56:57], 0, v[28:29]
	global_load_dword v11, v[4:5], off
.LBB147_12:                             ;   in Loop: Header=BB147_3 Depth=1
	s_or_b64 exec, exec, s[18:19]
	v_lshl_add_u64 v[4:5], v[62:63], 0, s[40:41]
	v_cmp_gt_i64_e32 vcc, s[8:9], v[4:5]
	s_and_b64 s[20:21], s[6:7], vcc
	s_and_saveexec_b64 s[18:19], s[20:21]
	s_cbranch_execz .LBB147_14
; %bb.13:                               ;   in Loop: Header=BB147_3 Depth=1
	v_lshl_add_u64 v[4:5], v[50:51], 0, v[28:29]
	global_load_dword v20, v[4:5], off
	v_lshl_add_u64 v[4:5], v[52:53], 0, v[28:29]
	global_load_dword v12, v[4:5], off
.LBB147_14:                             ;   in Loop: Header=BB147_3 Depth=1
	;; [unrolled: 12-line block ×7, first 2 shown]
	s_or_b64 exec, exec, s[18:19]
	s_waitcnt vmcnt(0)
	ds_bpermute_b32 v4, v65, v67 offset:4
	ds_bpermute_b32 v5, v65, v67 offset:8
	ds_bpermute_b32 v2, v65, v67
	v_mul_f32_e32 v8, v10, v18
	v_pk_mul_f32 v[10:11], v[10:11], v[18:19]
	v_pk_mul_f32 v[12:13], v[12:13], v[20:21]
	v_mov_b32_e32 v10, v11
	v_mov_b32_e32 v11, v12
	s_waitcnt lgkmcnt(1)
	v_pk_mul_f32 v[4:5], v[10:11], v[4:5]
	ds_bpermute_b32 v10, v65, v67 offset:12
	ds_bpermute_b32 v11, v65, v67 offset:16
	s_waitcnt lgkmcnt(2)
	v_fma_f32 v2, v8, v2, v66
	v_pk_mul_f32 v[8:9], v[14:15], v[22:23]
	v_add_f32_e32 v2, v2, v4
	v_add_f32_e32 v2, v2, v5
	v_mov_b32_e32 v4, v13
	v_mov_b32_e32 v5, v8
	s_waitcnt lgkmcnt(0)
	v_pk_mul_f32 v[4:5], v[4:5], v[10:11]
	ds_bpermute_b32 v10, v65, v67 offset:20
	ds_bpermute_b32 v11, v65, v67 offset:24
	v_pk_mul_f32 v[6:7], v[16:17], v[24:25]
	v_add_f32_e32 v2, v2, v4
	v_add_f32_e32 v7, v2, v5
	ds_bpermute_b32 v2, v65, v67 offset:28
	v_mov_b32_e32 v4, v9
	v_mov_b32_e32 v5, v6
	s_waitcnt lgkmcnt(1)
	v_pk_mul_f32 v[4:5], v[4:5], v[10:11]
	s_nop 0
	v_add_f32_e32 v4, v7, v4
	v_add_f32_e32 v4, v4, v5
	s_branch .LBB147_40
.LBB147_25:                             ;   in Loop: Header=BB147_3 Depth=1
                                        ; implicit-def: $vgpr4
                                        ; implicit-def: $vgpr10_vgpr11_vgpr12_vgpr13_vgpr14_vgpr15_vgpr16_vgpr17
                                        ; implicit-def: $vgpr18_vgpr19_vgpr20_vgpr21_vgpr22_vgpr23_vgpr24_vgpr25
                                        ; implicit-def: $vgpr2
	s_cbranch_execz .LBB147_40
; %bb.26:                               ;   in Loop: Header=BB147_3 Depth=1
	s_load_dword s17, s[28:29], 0x0
	v_mov_b32_e32 v67, 0
	s_waitcnt lgkmcnt(0)
	s_cmp_lt_u32 s2, s17
	s_cselect_b32 s17, 12, 18
	s_add_u32 s18, s28, s17
	s_addc_u32 s19, s29, 0
	global_load_ushort v2, v3, s[18:19]
	s_waitcnt vmcnt(0)
	v_mad_u32_u24 v2, v64, v2, v1
	v_and_b32_e32 v2, 63, v2
	v_cmp_gt_u32_e32 vcc, 8, v2
	s_and_saveexec_b64 s[18:19], vcc
	s_cbranch_execz .LBB147_30
; %bb.27:                               ;   in Loop: Header=BB147_3 Depth=1
	v_lshl_add_u64 v[4:5], v[62:63], 0, v[2:3]
	v_lshl_add_u64 v[4:5], v[4:5], 0, s[36:37]
	v_cmp_gt_i64_e32 vcc, s[8:9], v[4:5]
	v_mov_b32_e32 v67, 0
	s_and_saveexec_b64 s[20:21], vcc
	s_cbranch_execz .LBB147_29
; %bb.28:                               ;   in Loop: Header=BB147_3 Depth=1
	v_lshl_add_u64 v[4:5], v[4:5], 2, s[24:25]
	global_load_dword v67, v[4:5], off
.LBB147_29:                             ;   in Loop: Header=BB147_3 Depth=1
	s_or_b64 exec, exec, s[20:21]
.LBB147_30:                             ;   in Loop: Header=BB147_3 Depth=1
	s_or_b64 exec, exec, s[18:19]
	s_mov_b32 s17, s16
	s_mov_b32 s18, s16
	;; [unrolled: 1-line block ×7, first 2 shown]
	v_mov_b64_e32 v[10:11], s[16:17]
	v_mov_b64_e32 v[16:17], s[22:23]
	;; [unrolled: 1-line block ×8, first 2 shown]
	s_and_saveexec_b64 s[18:19], s[6:7]
	s_cbranch_execnz .LBB147_42
; %bb.31:                               ;   in Loop: Header=BB147_3 Depth=1
	s_or_b64 exec, exec, s[18:19]
	s_and_saveexec_b64 s[18:19], s[6:7]
	s_cbranch_execnz .LBB147_43
.LBB147_32:                             ;   in Loop: Header=BB147_3 Depth=1
	s_or_b64 exec, exec, s[18:19]
	s_and_saveexec_b64 s[18:19], s[6:7]
	s_cbranch_execnz .LBB147_44
.LBB147_33:                             ;   in Loop: Header=BB147_3 Depth=1
	s_or_b64 exec, exec, s[18:19]
	s_and_saveexec_b64 s[18:19], s[6:7]
	s_cbranch_execnz .LBB147_45
.LBB147_34:                             ;   in Loop: Header=BB147_3 Depth=1
	s_or_b64 exec, exec, s[18:19]
	s_and_saveexec_b64 s[18:19], s[6:7]
	s_cbranch_execnz .LBB147_46
.LBB147_35:                             ;   in Loop: Header=BB147_3 Depth=1
	s_or_b64 exec, exec, s[18:19]
	s_and_saveexec_b64 s[18:19], s[6:7]
	s_cbranch_execnz .LBB147_47
.LBB147_36:                             ;   in Loop: Header=BB147_3 Depth=1
	s_or_b64 exec, exec, s[18:19]
	s_and_saveexec_b64 s[18:19], s[6:7]
	s_cbranch_execnz .LBB147_48
.LBB147_37:                             ;   in Loop: Header=BB147_3 Depth=1
	s_or_b64 exec, exec, s[18:19]
	s_and_saveexec_b64 s[18:19], s[6:7]
	s_cbranch_execz .LBB147_39
.LBB147_38:                             ;   in Loop: Header=BB147_3 Depth=1
	v_lshl_add_u64 v[4:5], v[30:31], 0, v[28:29]
	global_load_dword v25, v[4:5], off
	v_lshl_add_u64 v[4:5], v[32:33], 0, v[28:29]
	global_load_dword v17, v[4:5], off
.LBB147_39:                             ;   in Loop: Header=BB147_3 Depth=1
	s_or_b64 exec, exec, s[18:19]
	s_waitcnt vmcnt(0)
	ds_bpermute_b32 v4, v65, v67 offset:4
	ds_bpermute_b32 v5, v65, v67 offset:8
	ds_bpermute_b32 v2, v65, v67
	v_mul_f32_e32 v8, v10, v18
	v_pk_mul_f32 v[10:11], v[10:11], v[18:19]
	v_pk_mul_f32 v[12:13], v[12:13], v[20:21]
	v_mov_b32_e32 v10, v11
	v_mov_b32_e32 v11, v12
	s_waitcnt lgkmcnt(1)
	v_pk_mul_f32 v[4:5], v[10:11], v[4:5]
	ds_bpermute_b32 v10, v65, v67 offset:12
	ds_bpermute_b32 v11, v65, v67 offset:16
	s_waitcnt lgkmcnt(2)
	v_fmac_f32_e32 v66, v8, v2
	v_pk_mul_f32 v[8:9], v[14:15], v[22:23]
	v_add_f32_e32 v2, v66, v4
	v_add_f32_e32 v2, v2, v5
	v_mov_b32_e32 v4, v13
	v_mov_b32_e32 v5, v8
	s_waitcnt lgkmcnt(0)
	v_pk_mul_f32 v[4:5], v[4:5], v[10:11]
	ds_bpermute_b32 v10, v65, v67 offset:20
	ds_bpermute_b32 v11, v65, v67 offset:24
	v_pk_mul_f32 v[6:7], v[16:17], v[24:25]
	v_add_f32_e32 v2, v2, v4
	v_add_f32_e32 v7, v2, v5
	v_mov_b32_e32 v4, v9
	v_mov_b32_e32 v5, v6
	s_waitcnt lgkmcnt(0)
	v_pk_mul_f32 v[4:5], v[4:5], v[10:11]
	ds_bpermute_b32 v2, v65, v67 offset:28
	v_add_f32_e32 v4, v7, v4
	v_add_f32_e32 v4, v4, v5
.LBB147_40:                             ;   in Loop: Header=BB147_3 Depth=1
	s_add_u32 s52, s52, s3
	s_addc_u32 s53, s53, 0
	v_mov_b64_e32 v[6:7], s[8:9]
	v_mul_f32_e32 v5, v25, v17
	s_add_u32 s34, s34, s3
	v_cmp_lt_i64_e32 vcc, s[52:53], v[6:7]
	s_waitcnt lgkmcnt(0)
	v_fmac_f32_e32 v4, v5, v2
	v_lshl_add_u64 v[30:31], v[30:31], 0, s[30:31]
	v_lshl_add_u64 v[32:33], v[32:33], 0, s[30:31]
	;; [unrolled: 1-line block ×14, first 2 shown]
	s_addc_u32 s35, s35, 0
	v_lshl_add_u64 v[58:59], v[58:59], 0, s[30:31]
	v_lshl_add_u64 v[60:61], v[60:61], 0, s[30:31]
	s_cbranch_vccz .LBB147_50
; %bb.41:                               ;   in Loop: Header=BB147_3 Depth=1
	v_mov_b32_e32 v66, v4
	s_branch .LBB147_3
.LBB147_42:                             ;   in Loop: Header=BB147_3 Depth=1
	v_lshl_add_u64 v[4:5], v[58:59], 0, v[28:29]
	global_load_dword v2, v[4:5], off
	v_lshl_add_u64 v[4:5], v[60:61], 0, v[28:29]
	global_load_dword v10, v[4:5], off
	v_mov_b32_e32 v8, v3
	v_mov_b32_e32 v9, v3
	;; [unrolled: 1-line block ×6, first 2 shown]
	s_waitcnt vmcnt(1)
	v_mov_b64_e32 v[24:25], v[8:9]
	v_mov_b32_e32 v11, v3
	v_mov_b32_e32 v12, v3
	;; [unrolled: 1-line block ×7, first 2 shown]
	v_mov_b64_e32 v[22:23], v[6:7]
	v_mov_b64_e32 v[20:21], v[4:5]
	;; [unrolled: 1-line block ×3, first 2 shown]
	s_or_b64 exec, exec, s[18:19]
	s_and_saveexec_b64 s[18:19], s[6:7]
	s_cbranch_execz .LBB147_32
.LBB147_43:                             ;   in Loop: Header=BB147_3 Depth=1
	v_lshl_add_u64 v[4:5], v[54:55], 0, v[28:29]
	global_load_dword v19, v[4:5], off
	v_lshl_add_u64 v[4:5], v[56:57], 0, v[28:29]
	global_load_dword v11, v[4:5], off
	s_or_b64 exec, exec, s[18:19]
	s_and_saveexec_b64 s[18:19], s[6:7]
	s_cbranch_execz .LBB147_33
.LBB147_44:                             ;   in Loop: Header=BB147_3 Depth=1
	v_lshl_add_u64 v[4:5], v[50:51], 0, v[28:29]
	global_load_dword v20, v[4:5], off
	v_lshl_add_u64 v[4:5], v[52:53], 0, v[28:29]
	global_load_dword v12, v[4:5], off
	s_or_b64 exec, exec, s[18:19]
	s_and_saveexec_b64 s[18:19], s[6:7]
	s_cbranch_execz .LBB147_34
.LBB147_45:                             ;   in Loop: Header=BB147_3 Depth=1
	v_lshl_add_u64 v[4:5], v[46:47], 0, v[28:29]
	global_load_dword v21, v[4:5], off
	v_lshl_add_u64 v[4:5], v[48:49], 0, v[28:29]
	global_load_dword v13, v[4:5], off
	s_or_b64 exec, exec, s[18:19]
	s_and_saveexec_b64 s[18:19], s[6:7]
	s_cbranch_execz .LBB147_35
.LBB147_46:                             ;   in Loop: Header=BB147_3 Depth=1
	v_lshl_add_u64 v[4:5], v[42:43], 0, v[28:29]
	global_load_dword v22, v[4:5], off
	v_lshl_add_u64 v[4:5], v[44:45], 0, v[28:29]
	global_load_dword v14, v[4:5], off
	s_or_b64 exec, exec, s[18:19]
	s_and_saveexec_b64 s[18:19], s[6:7]
	s_cbranch_execz .LBB147_36
.LBB147_47:                             ;   in Loop: Header=BB147_3 Depth=1
	v_lshl_add_u64 v[4:5], v[38:39], 0, v[28:29]
	global_load_dword v23, v[4:5], off
	v_lshl_add_u64 v[4:5], v[40:41], 0, v[28:29]
	global_load_dword v15, v[4:5], off
	s_or_b64 exec, exec, s[18:19]
	s_and_saveexec_b64 s[18:19], s[6:7]
	s_cbranch_execz .LBB147_37
.LBB147_48:                             ;   in Loop: Header=BB147_3 Depth=1
	v_lshl_add_u64 v[4:5], v[34:35], 0, v[28:29]
	global_load_dword v24, v[4:5], off
	v_lshl_add_u64 v[4:5], v[36:37], 0, v[28:29]
	global_load_dword v16, v[4:5], off
	s_or_b64 exec, exec, s[18:19]
	s_and_saveexec_b64 s[18:19], s[6:7]
	s_cbranch_execnz .LBB147_38
	s_branch .LBB147_39
.LBB147_49:
                                        ; implicit-def: $vgpr4
	s_branch .LBB147_51
.LBB147_50:
	s_cbranch_execnz .LBB147_83
.LBB147_51:
	s_and_b64 vcc, exec, s[4:5]
	v_mov_b32_e32 v4, 0
	s_cbranch_vccnz .LBB147_83
; %bb.52:
	v_and_b32_e32 v1, 0x3ff, v0
	v_add_u32_e32 v2, s33, v1
	v_mov_b32_e32 v3, 0
	v_bfe_u32 v92, v0, 10, 10
	v_lshlrev_b64 v[28:29], 2, v[2:3]
	v_lshlrev_b32_e32 v2, 5, v92
	v_lshl_add_u64 v[4:5], s[26:27], 2, v[2:3]
	v_lshl_add_u64 v[6:7], v[4:5], 0, 4
	v_mov_b64_e32 v[8:9], s[12:13]
	v_lshl_add_u64 v[10:11], v[4:5], 0, 8
	v_lshl_add_u64 v[12:13], v[4:5], 0, 12
	;; [unrolled: 1-line block ×6, first 2 shown]
	v_mad_u64_u32 v[30:31], s[4:5], s10, v6, v[8:9]
	v_mad_u64_u32 v[32:33], s[4:5], s10, v10, v[8:9]
	;; [unrolled: 1-line block ×7, first 2 shown]
	v_mov_b64_e32 v[8:9], s[14:15]
	v_lshlrev_b32_e32 v26, 3, v92
	v_mov_b32_e32 v27, v3
	v_mul_lo_u32 v2, s10, v7
	v_mul_lo_u32 v7, s11, v6
	v_mad_u64_u32 v[44:45], s[4:5], s10, v6, v[8:9]
	v_add3_u32 v31, v7, v31, v2
	v_mul_lo_u32 v5, s10, v5
	v_mul_lo_u32 v25, s11, v4
	v_add3_u32 v45, v7, v45, v2
	v_lshl_add_u64 v[6:7], v[26:27], 0, s[26:27]
	v_mad_u64_u32 v[56:57], s[4:5], s10, v4, v[8:9]
	v_add3_u32 v43, v25, v43, v5
	v_add3_u32 v57, v25, v57, v5
	v_lshl_add_u64 v[4:5], v[6:7], 0, 7
	v_mad_u64_u32 v[46:47], s[4:5], s10, v10, v[8:9]
	v_mad_u64_u32 v[48:49], s[4:5], s10, v12, v[8:9]
	;; [unrolled: 1-line block ×5, first 2 shown]
	v_mul_lo_u32 v8, s11, v4
	v_mul_lo_u32 v9, s10, v5
	v_mad_u64_u32 v[4:5], s[4:5], s10, v4, 0
	v_mul_lo_u32 v11, s10, v11
	v_mul_lo_u32 v20, s11, v10
	v_add3_u32 v5, v5, v9, v8
	v_lshl_add_u64 v[8:9], v[6:7], 0, 6
	v_add3_u32 v33, v20, v33, v11
	v_add3_u32 v47, v20, v47, v11
	v_mul_lo_u32 v10, s11, v8
	v_mul_lo_u32 v11, s10, v9
	v_mad_u64_u32 v[8:9], s[4:5], s10, v8, 0
	v_mul_lo_u32 v13, s10, v13
	v_mul_lo_u32 v21, s11, v12
	v_add3_u32 v9, v9, v11, v10
	v_lshl_add_u64 v[10:11], v[6:7], 0, 5
	v_add3_u32 v35, v21, v35, v13
	v_add3_u32 v49, v21, v49, v13
	;; [unrolled: 9-line block ×4, first 2 shown]
	v_mul_lo_u32 v16, s11, v14
	v_mul_lo_u32 v17, s10, v15
	v_mad_u64_u32 v[14:15], s[4:5], s10, v14, 0
	v_mul_lo_u32 v19, s10, v19
	v_mul_lo_u32 v24, s11, v18
	v_add3_u32 v15, v15, v17, v16
	v_lshl_add_u64 v[16:17], v[6:7], 0, 2
	s_load_dword s3, s[0:1], 0x44
	v_lshlrev_b64 v[4:5], 2, v[4:5]
	v_add3_u32 v41, v24, v41, v19
	v_add3_u32 v55, v24, v55, v19
	v_mul_lo_u32 v18, s11, v16
	v_mul_lo_u32 v19, s10, v17
	v_mad_u64_u32 v[16:17], s[4:5], s10, v16, 0
	v_lshl_add_u64 v[62:63], s[12:13], 0, v[4:5]
	v_lshl_add_u64 v[64:65], s[14:15], 0, v[4:5]
	v_lshlrev_b64 v[4:5], 2, v[8:9]
	v_add3_u32 v17, v17, v19, v18
	v_mov_b64_e32 v[18:19], s[10:11]
	v_lshl_add_u64 v[66:67], s[12:13], 0, v[4:5]
	v_lshl_add_u64 v[68:69], s[14:15], 0, v[4:5]
	v_lshlrev_b64 v[4:5], 2, v[10:11]
	v_mul_lo_u32 v2, s11, v6
	v_mad_u64_u32 v[18:19], s[4:5], s10, v6, v[18:19]
	v_mul_lo_u32 v20, s10, v7
	v_mad_u64_u32 v[6:7], s[4:5], s10, v6, 0
	v_lshl_add_u64 v[70:71], s[12:13], 0, v[4:5]
	v_lshl_add_u64 v[72:73], s[14:15], 0, v[4:5]
	v_lshlrev_b64 v[4:5], 2, v[12:13]
	s_add_u32 s4, s0, 64
	v_lshl_add_u64 v[74:75], s[12:13], 0, v[4:5]
	v_lshl_add_u64 v[76:77], s[14:15], 0, v[4:5]
	v_lshlrev_b64 v[4:5], 2, v[14:15]
	v_add3_u32 v7, v7, v20, v2
	v_add3_u32 v19, v2, v19, v20
	s_addc_u32 s5, s1, 0
	s_waitcnt lgkmcnt(0)
	s_lshl_b32 s3, s3, 6
	v_lshl_add_u64 v[78:79], s[12:13], 0, v[4:5]
	v_lshl_add_u64 v[80:81], s[14:15], 0, v[4:5]
	v_lshlrev_b64 v[4:5], 2, v[16:17]
	v_mbcnt_lo_u32_b32 v2, -1, 0
	s_add_u32 s6, s26, 63
	s_mul_i32 s17, s11, s3
	s_mul_hi_u32 s18, s10, s3
	v_lshlrev_b64 v[6:7], 2, v[6:7]
	v_lshl_add_u64 v[82:83], s[12:13], 0, v[4:5]
	v_lshl_add_u64 v[84:85], s[14:15], 0, v[4:5]
	v_lshlrev_b64 v[4:5], 2, v[18:19]
	v_mbcnt_hi_u32_b32 v2, -1, v2
	s_addc_u32 s7, 0, 0
	s_add_i32 s19, s18, s17
	s_mul_i32 s18, s10, s3
	v_lshl_add_u64 v[58:59], s[12:13], 0, v[6:7]
	v_lshl_add_u64 v[60:61], s[14:15], 0, v[6:7]
	;; [unrolled: 1-line block ×4, first 2 shown]
	s_movk_i32 s12, 0xffc1
	s_movk_i32 s14, 0xffc2
	s_movk_i32 s30, 0xffc3
	s_movk_i32 s34, 0xffc4
	s_movk_i32 s36, 0xffc5
	s_movk_i32 s38, 0xffc6
	s_movk_i32 s40, 0xffc7
	s_movk_i32 s42, 0xffc8
	v_lshlrev_b32_e32 v2, 2, v2
	s_mov_b32 s16, 0
	s_lshl_b64 s[28:29], s[18:19], 2
	s_mov_b32 s13, -1
	s_mov_b32 s15, -1
	;; [unrolled: 1-line block ×8, first 2 shown]
	v_and_b32_e32 v93, 0x100, v2
	v_mov_b32_e32 v94, 0
.LBB147_53:                             ; =>This Inner Loop Header: Depth=1
	v_mov_b64_e32 v[4:5], s[8:9]
	v_cmp_ge_i64_e32 vcc, s[6:7], v[4:5]
	v_lshl_add_u64 v[90:91], v[26:27], 0, s[6:7]
	s_cbranch_vccz .LBB147_75
; %bb.54:                               ;   in Loop: Header=BB147_53 Depth=1
	s_load_dword s17, s[4:5], 0xc
	v_mov_b32_e32 v95, 0
	s_waitcnt lgkmcnt(0)
	s_and_b32 s17, s17, 0xffff
	v_mad_u32_u24 v2, v92, s17, v1
	v_and_b32_e32 v2, 63, v2
	v_cmp_gt_u32_e32 vcc, 8, v2
	s_and_saveexec_b64 s[18:19], vcc
	s_cbranch_execz .LBB147_58
; %bb.55:                               ;   in Loop: Header=BB147_53 Depth=1
	v_lshl_add_u64 v[4:5], v[90:91], 0, v[2:3]
	v_lshl_add_u64 v[4:5], v[4:5], 0, s[12:13]
	v_cmp_gt_i64_e32 vcc, s[8:9], v[4:5]
	v_mov_b32_e32 v95, 0
	s_and_saveexec_b64 s[20:21], vcc
	s_cbranch_execz .LBB147_57
; %bb.56:                               ;   in Loop: Header=BB147_53 Depth=1
	v_lshl_add_u64 v[4:5], v[4:5], 2, s[24:25]
	global_load_dword v95, v[4:5], off
.LBB147_57:                             ;   in Loop: Header=BB147_53 Depth=1
	s_or_b64 exec, exec, s[20:21]
.LBB147_58:                             ;   in Loop: Header=BB147_53 Depth=1
	s_or_b64 exec, exec, s[18:19]
	s_mov_b32 s17, s16
	s_mov_b32 s18, s16
	;; [unrolled: 1-line block ×7, first 2 shown]
	v_mov_b64_e32 v[10:11], s[16:17]
	v_mov_b64_e32 v[16:17], s[22:23]
	v_lshl_add_u64 v[4:5], v[90:91], 0, s[12:13]
	v_mov_b64_e32 v[12:13], s[18:19]
	v_mov_b64_e32 v[14:15], s[20:21]
	;; [unrolled: 1-line block ×3, first 2 shown]
	v_cmp_gt_i64_e32 vcc, s[8:9], v[4:5]
	v_mov_b64_e32 v[22:23], v[14:15]
	v_mov_b64_e32 v[20:21], v[12:13]
	;; [unrolled: 1-line block ×3, first 2 shown]
	s_and_saveexec_b64 s[18:19], vcc
	s_cbranch_execz .LBB147_60
; %bb.59:                               ;   in Loop: Header=BB147_53 Depth=1
	v_lshl_add_u64 v[4:5], v[58:59], 0, v[28:29]
	global_load_dword v2, v[4:5], off
	v_lshl_add_u64 v[4:5], v[60:61], 0, v[28:29]
	global_load_dword v10, v[4:5], off
	v_mov_b32_e32 v8, v3
	v_mov_b32_e32 v9, v3
	v_mov_b32_e32 v4, v3
	v_mov_b32_e32 v5, v3
	v_mov_b32_e32 v6, v3
	v_mov_b32_e32 v7, v3
	s_waitcnt vmcnt(1)
	v_mov_b64_e32 v[24:25], v[8:9]
	v_mov_b32_e32 v11, v3
	v_mov_b32_e32 v12, v3
	;; [unrolled: 1-line block ×7, first 2 shown]
	v_mov_b64_e32 v[22:23], v[6:7]
	v_mov_b64_e32 v[20:21], v[4:5]
	;; [unrolled: 1-line block ×3, first 2 shown]
.LBB147_60:                             ;   in Loop: Header=BB147_53 Depth=1
	s_or_b64 exec, exec, s[18:19]
	v_lshl_add_u64 v[4:5], v[90:91], 0, s[14:15]
	v_cmp_gt_i64_e32 vcc, s[8:9], v[4:5]
	s_and_saveexec_b64 s[18:19], vcc
	s_cbranch_execz .LBB147_62
; %bb.61:                               ;   in Loop: Header=BB147_53 Depth=1
	v_lshl_add_u64 v[4:5], v[86:87], 0, v[28:29]
	global_load_dword v19, v[4:5], off
	v_lshl_add_u64 v[4:5], v[88:89], 0, v[28:29]
	global_load_dword v11, v[4:5], off
.LBB147_62:                             ;   in Loop: Header=BB147_53 Depth=1
	s_or_b64 exec, exec, s[18:19]
	v_lshl_add_u64 v[4:5], v[90:91], 0, s[30:31]
	v_cmp_gt_i64_e32 vcc, s[8:9], v[4:5]
	s_and_saveexec_b64 s[18:19], vcc
	s_cbranch_execz .LBB147_64
; %bb.63:                               ;   in Loop: Header=BB147_53 Depth=1
	v_lshl_add_u64 v[4:5], v[82:83], 0, v[28:29]
	global_load_dword v20, v[4:5], off
	v_lshl_add_u64 v[4:5], v[84:85], 0, v[28:29]
	global_load_dword v12, v[4:5], off
.LBB147_64:                             ;   in Loop: Header=BB147_53 Depth=1
	;; [unrolled: 11-line block ×7, first 2 shown]
	s_or_b64 exec, exec, s[18:19]
	s_waitcnt vmcnt(0)
	ds_bpermute_b32 v4, v93, v95
	ds_bpermute_b32 v5, v93, v95 offset:4
	v_pk_mul_f32 v[8:9], v[14:15], v[22:23]
	ds_bpermute_b32 v14, v93, v95 offset:8
	ds_bpermute_b32 v15, v93, v95 offset:12
	v_pk_mul_f32 v[10:11], v[10:11], v[18:19]
	v_pk_mul_f32 v[12:13], v[12:13], v[20:21]
	s_waitcnt lgkmcnt(2)
	v_pk_mul_f32 v[4:5], v[10:11], v[4:5]
	ds_bpermute_b32 v10, v93, v95 offset:16
	ds_bpermute_b32 v11, v93, v95 offset:20
	v_add_f32_e32 v2, v94, v4
	v_add_f32_e32 v2, v2, v5
	s_waitcnt lgkmcnt(2)
	v_pk_mul_f32 v[4:5], v[12:13], v[14:15]
	ds_bpermute_b32 v12, v93, v95 offset:24
	ds_bpermute_b32 v13, v93, v95 offset:28
	v_add_f32_e32 v2, v2, v4
	v_add_f32_e32 v2, v2, v5
	s_waitcnt lgkmcnt(2)
	v_pk_mul_f32 v[4:5], v[8:9], v[10:11]
	v_pk_mul_f32 v[6:7], v[16:17], v[24:25]
	v_add_f32_e32 v2, v2, v4
	v_add_f32_e32 v2, v2, v5
	s_waitcnt lgkmcnt(0)
	v_pk_mul_f32 v[4:5], v[6:7], v[12:13]
	s_nop 0
	v_add_f32_e32 v2, v2, v4
	v_add_f32_e32 v4, v2, v5
	s_branch .LBB147_81
.LBB147_75:                             ;   in Loop: Header=BB147_53 Depth=1
                                        ; implicit-def: $vgpr4
	s_cbranch_execz .LBB147_81
; %bb.76:                               ;   in Loop: Header=BB147_53 Depth=1
	s_load_dword s17, s[4:5], 0x0
	v_mov_b32_e32 v6, 0
	s_waitcnt lgkmcnt(0)
	s_cmp_lt_u32 s2, s17
	s_cselect_b32 s17, 12, 18
	s_add_u32 s18, s4, s17
	s_addc_u32 s19, s5, 0
	global_load_ushort v2, v3, s[18:19]
	s_waitcnt vmcnt(0)
	v_mad_u32_u24 v2, v92, v2, v1
	v_and_b32_e32 v2, 63, v2
	v_cmp_gt_u32_e32 vcc, 8, v2
	s_and_saveexec_b64 s[18:19], vcc
	s_cbranch_execz .LBB147_80
; %bb.77:                               ;   in Loop: Header=BB147_53 Depth=1
	v_lshl_add_u64 v[4:5], v[90:91], 0, v[2:3]
	v_lshl_add_u64 v[4:5], v[4:5], 0, s[12:13]
	v_cmp_gt_i64_e32 vcc, s[8:9], v[4:5]
	v_mov_b32_e32 v6, 0
	s_and_saveexec_b64 s[20:21], vcc
	s_cbranch_execz .LBB147_79
; %bb.78:                               ;   in Loop: Header=BB147_53 Depth=1
	v_lshl_add_u64 v[4:5], v[4:5], 2, s[24:25]
	global_load_dword v6, v[4:5], off
.LBB147_79:                             ;   in Loop: Header=BB147_53 Depth=1
	s_or_b64 exec, exec, s[20:21]
.LBB147_80:                             ;   in Loop: Header=BB147_53 Depth=1
	s_or_b64 exec, exec, s[18:19]
	v_lshl_add_u64 v[4:5], v[58:59], 0, v[28:29]
	v_lshl_add_u64 v[10:11], v[30:31], 0, v[28:29]
	global_load_dword v4, v[4:5], off
	v_lshl_add_u64 v[8:9], v[60:61], 0, v[28:29]
	global_load_dword v5, v[10:11], off
	;; [unrolled: 2-line block ×15, first 2 shown]
	s_waitcnt vmcnt(15)
	ds_bpermute_b32 v24, v93, v6 offset:8
	global_load_dword v21, v[22:23], off
	ds_bpermute_b32 v22, v93, v6
	ds_bpermute_b32 v23, v93, v6 offset:4
	ds_bpermute_b32 v25, v93, v6 offset:12
	;; [unrolled: 1-line block ×6, first 2 shown]
	s_waitcnt vmcnt(12)
	v_pk_mul_f32 v[4:5], v[4:5], v[8:9]
	s_waitcnt lgkmcnt(5)
	v_pk_mul_f32 v[4:5], v[4:5], v[22:23]
	s_waitcnt vmcnt(8)
	v_pk_mul_f32 v[6:7], v[10:11], v[12:13]
	v_add_f32_e32 v2, v94, v4
	s_waitcnt lgkmcnt(4)
	v_pk_mul_f32 v[6:7], v[6:7], v[24:25]
	v_add_f32_e32 v2, v2, v5
	v_add_f32_e32 v2, v2, v6
	;; [unrolled: 1-line block ×3, first 2 shown]
	s_waitcnt vmcnt(4)
	v_pk_mul_f32 v[8:9], v[14:15], v[16:17]
	s_waitcnt lgkmcnt(2)
	v_pk_mul_f32 v[8:9], v[8:9], v[90:91]
	s_waitcnt vmcnt(0)
	v_pk_mul_f32 v[10:11], v[18:19], v[20:21]
	v_add_f32_e32 v2, v2, v8
	v_add_f32_e32 v2, v2, v9
	s_waitcnt lgkmcnt(0)
	v_pk_mul_f32 v[4:5], v[10:11], v[96:97]
	s_nop 0
	v_add_f32_e32 v2, v2, v4
	v_add_f32_e32 v4, v2, v5
.LBB147_81:                             ;   in Loop: Header=BB147_53 Depth=1
	s_add_u32 s26, s26, s3
	s_addc_u32 s27, s27, 0
	v_mov_b64_e32 v[6:7], s[8:9]
	s_add_u32 s6, s6, s3
	v_cmp_ge_i64_e32 vcc, s[26:27], v[6:7]
	s_addc_u32 s7, s7, 0
	v_lshl_add_u64 v[30:31], v[30:31], 0, s[28:29]
	v_lshl_add_u64 v[32:33], v[32:33], 0, s[28:29]
	;; [unrolled: 1-line block ×30, first 2 shown]
	s_cbranch_vccnz .LBB147_83
; %bb.82:                               ;   in Loop: Header=BB147_53 Depth=1
	v_mov_b32_e32 v94, v4
	s_branch .LBB147_53
.LBB147_83:
	v_bfe_u32 v2, v0, 10, 10
	v_and_b32_e32 v5, 0x3ff, v0
	s_movk_i32 s3, 0x41
	v_mad_u32_u24 v0, v2, s3, v5
	v_lshl_add_u32 v0, v0, 2, 0
	v_mov_b32_e32 v1, 0
	ds_write_b32 v0, v4
	ds_write_b32 v0, v1 offset:2080
	v_lshrrev_b32_e32 v0, 6, v5
	v_add_u32_e32 v3, v0, v2
	s_mov_b32 s3, 0
	v_cmp_gt_u32_e32 vcc, 64, v3
	s_waitcnt lgkmcnt(0)
	s_barrier
	s_and_saveexec_b64 s[4:5], vcc
	s_cbranch_execz .LBB147_90
; %bb.84:
	v_mbcnt_lo_u32_b32 v6, -1, 0
	v_mbcnt_hi_u32_b32 v6, -1, v6
	v_and_b32_e32 v4, 63, v5
	v_and_b32_e32 v7, 64, v6
	s_load_dwordx2 s[12:13], s[0:1], 0x30
	v_cmp_gt_u32_e32 vcc, 8, v4
	v_add_u32_e32 v7, 64, v7
	v_mul_u32_u24_e32 v8, 0x104, v4
	v_xor_b32_e32 v4, 4, v6
	s_lshl_b64 s[4:5], s[2:3], 6
	v_cmp_ne_u32_e64 s[0:1], 0, v5
	v_cmp_lt_i32_e64 s[2:3], v4, v7
	v_xor_b32_e32 v5, 2, v6
	v_xor_b32_e32 v9, 1, v6
	v_cndmask_b32_e64 v4, v6, v4, s[2:3]
	v_cmp_lt_i32_e64 s[2:3], v5, v7
	v_lshlrev_b32_e32 v3, 2, v3
	s_waitcnt lgkmcnt(0)
	s_cmp_eq_u64 s[12:13], 0
	v_cndmask_b32_e64 v5, v6, v5, s[2:3]
	v_cmp_lt_i32_e64 s[2:3], v9, v7
	v_add3_u32 v7, v8, v3, 0
	v_mov_b32_e32 v3, v1
	v_lshl_add_u64 v[0:1], v[0:1], 0, v[2:3]
	v_cndmask_b32_e64 v6, v6, v9, s[2:3]
	v_lshl_add_u64 v[2:3], v[0:1], 0, s[4:5]
	s_mov_b64 s[6:7], 0
	s_cselect_b64 s[8:9], -1, 0
	v_lshlrev_b32_e32 v4, 2, v4
	v_lshlrev_b32_e32 v5, 2, v5
	;; [unrolled: 1-line block ×3, first 2 shown]
	v_lshl_add_u64 v[2:3], v[2:3], 2, s[12:13]
                                        ; implicit-def: $vgpr8
	s_branch .LBB147_86
.LBB147_85:                             ;   in Loop: Header=BB147_86 Depth=1
	s_or_b64 exec, exec, s[2:3]
	v_lshl_add_u64 v[0:1], v[0:1], 0, 8
	v_add_u32_e32 v9, -8, v0
	v_cmp_lt_u32_e64 s[2:3], 55, v9
	v_add_u32_e32 v7, 32, v7
	s_or_b64 s[6:7], s[2:3], s[6:7]
	v_lshl_add_u64 v[2:3], v[2:3], 0, 32
	s_andn2_b64 exec, exec, s[6:7]
	s_cbranch_execz .LBB147_90
.LBB147_86:                             ; =>This Inner Loop Header: Depth=1
	s_and_saveexec_b64 s[2:3], vcc
	s_cbranch_execz .LBB147_88
; %bb.87:                               ;   in Loop: Header=BB147_86 Depth=1
	ds_read_b32 v8, v7
.LBB147_88:                             ;   in Loop: Header=BB147_86 Depth=1
	s_or_b64 exec, exec, s[2:3]
	s_waitcnt lgkmcnt(0)
	ds_bpermute_b32 v9, v4, v8
	s_waitcnt lgkmcnt(0)
	v_add_f32_e32 v8, v8, v9
	ds_bpermute_b32 v9, v5, v8
	s_waitcnt lgkmcnt(0)
	v_add_f32_e32 v10, v8, v9
	ds_bpermute_b32 v11, v6, v10
	v_lshl_add_u64 v[8:9], s[4:5], 0, v[0:1]
	v_cmp_le_i64_e64 s[2:3], s[10:11], v[8:9]
	s_or_b64 s[2:3], s[0:1], s[2:3]
	s_or_b64 s[2:3], s[8:9], s[2:3]
	s_waitcnt lgkmcnt(0)
	v_add_f32_e32 v8, v10, v11
	s_xor_b64 s[12:13], s[2:3], -1
	s_and_saveexec_b64 s[2:3], s[12:13]
	s_cbranch_execz .LBB147_85
; %bb.89:                               ;   in Loop: Header=BB147_86 Depth=1
	global_store_dword v[2:3], v8, off
	s_branch .LBB147_85
.LBB147_90:
	s_endpgm
	.section	.rodata,"a",@progbits
	.p2align	6, 0x0
	.amdhsa_kernel _ZN2at6native12_GLOBAL__N_135GammaBetaBackwardCUDAKernelTemplateIffLj64ELj8ELj64ELb0ELb0ELb1EEEvllPKT_S5_PKT0_S8_PS3_S9_
		.amdhsa_group_segment_fixed_size 0
		.amdhsa_private_segment_fixed_size 0
		.amdhsa_kernarg_size 320
		.amdhsa_user_sgpr_count 2
		.amdhsa_user_sgpr_dispatch_ptr 0
		.amdhsa_user_sgpr_queue_ptr 0
		.amdhsa_user_sgpr_kernarg_segment_ptr 1
		.amdhsa_user_sgpr_dispatch_id 0
		.amdhsa_user_sgpr_kernarg_preload_length 0
		.amdhsa_user_sgpr_kernarg_preload_offset 0
		.amdhsa_user_sgpr_private_segment_size 0
		.amdhsa_uses_dynamic_stack 0
		.amdhsa_enable_private_segment 0
		.amdhsa_system_sgpr_workgroup_id_x 1
		.amdhsa_system_sgpr_workgroup_id_y 1
		.amdhsa_system_sgpr_workgroup_id_z 0
		.amdhsa_system_sgpr_workgroup_info 0
		.amdhsa_system_vgpr_workitem_id 1
		.amdhsa_next_free_vgpr 98
		.amdhsa_next_free_sgpr 56
		.amdhsa_accum_offset 100
		.amdhsa_reserve_vcc 1
		.amdhsa_float_round_mode_32 0
		.amdhsa_float_round_mode_16_64 0
		.amdhsa_float_denorm_mode_32 3
		.amdhsa_float_denorm_mode_16_64 3
		.amdhsa_dx10_clamp 1
		.amdhsa_ieee_mode 1
		.amdhsa_fp16_overflow 0
		.amdhsa_tg_split 0
		.amdhsa_exception_fp_ieee_invalid_op 0
		.amdhsa_exception_fp_denorm_src 0
		.amdhsa_exception_fp_ieee_div_zero 0
		.amdhsa_exception_fp_ieee_overflow 0
		.amdhsa_exception_fp_ieee_underflow 0
		.amdhsa_exception_fp_ieee_inexact 0
		.amdhsa_exception_int_div_zero 0
	.end_amdhsa_kernel
	.section	.text._ZN2at6native12_GLOBAL__N_135GammaBetaBackwardCUDAKernelTemplateIffLj64ELj8ELj64ELb0ELb0ELb1EEEvllPKT_S5_PKT0_S8_PS3_S9_,"axG",@progbits,_ZN2at6native12_GLOBAL__N_135GammaBetaBackwardCUDAKernelTemplateIffLj64ELj8ELj64ELb0ELb0ELb1EEEvllPKT_S5_PKT0_S8_PS3_S9_,comdat
.Lfunc_end147:
	.size	_ZN2at6native12_GLOBAL__N_135GammaBetaBackwardCUDAKernelTemplateIffLj64ELj8ELj64ELb0ELb0ELb1EEEvllPKT_S5_PKT0_S8_PS3_S9_, .Lfunc_end147-_ZN2at6native12_GLOBAL__N_135GammaBetaBackwardCUDAKernelTemplateIffLj64ELj8ELj64ELb0ELb0ELb1EEEvllPKT_S5_PKT0_S8_PS3_S9_
                                        ; -- End function
	.section	.AMDGPU.csdata,"",@progbits
; Kernel info:
; codeLenInByte = 6124
; NumSgprs: 62
; NumVgprs: 98
; NumAgprs: 0
; TotalNumVgprs: 98
; ScratchSize: 0
; MemoryBound: 0
; FloatMode: 240
; IeeeMode: 1
; LDSByteSize: 0 bytes/workgroup (compile time only)
; SGPRBlocks: 7
; VGPRBlocks: 12
; NumSGPRsForWavesPerEU: 62
; NumVGPRsForWavesPerEU: 98
; AccumOffset: 100
; Occupancy: 4
; WaveLimiterHint : 0
; COMPUTE_PGM_RSRC2:SCRATCH_EN: 0
; COMPUTE_PGM_RSRC2:USER_SGPR: 2
; COMPUTE_PGM_RSRC2:TRAP_HANDLER: 0
; COMPUTE_PGM_RSRC2:TGID_X_EN: 1
; COMPUTE_PGM_RSRC2:TGID_Y_EN: 1
; COMPUTE_PGM_RSRC2:TGID_Z_EN: 0
; COMPUTE_PGM_RSRC2:TIDIG_COMP_CNT: 1
; COMPUTE_PGM_RSRC3_GFX90A:ACCUM_OFFSET: 24
; COMPUTE_PGM_RSRC3_GFX90A:TG_SPLIT: 0
	.section	.text._ZN2at6native12_GLOBAL__N_135GammaBetaBackwardCUDAKernelTemplateIffLj64ELj16ELj128ELb0ELb1ELb1EEEvllPKT_S5_PKT0_S8_PS3_S9_,"axG",@progbits,_ZN2at6native12_GLOBAL__N_135GammaBetaBackwardCUDAKernelTemplateIffLj64ELj16ELj128ELb0ELb1ELb1EEEvllPKT_S5_PKT0_S8_PS3_S9_,comdat
	.globl	_ZN2at6native12_GLOBAL__N_135GammaBetaBackwardCUDAKernelTemplateIffLj64ELj16ELj128ELb0ELb1ELb1EEEvllPKT_S5_PKT0_S8_PS3_S9_ ; -- Begin function _ZN2at6native12_GLOBAL__N_135GammaBetaBackwardCUDAKernelTemplateIffLj64ELj16ELj128ELb0ELb1ELb1EEEvllPKT_S5_PKT0_S8_PS3_S9_
	.p2align	8
	.type	_ZN2at6native12_GLOBAL__N_135GammaBetaBackwardCUDAKernelTemplateIffLj64ELj16ELj128ELb0ELb1ELb1EEEvllPKT_S5_PKT0_S8_PS3_S9_,@function
_ZN2at6native12_GLOBAL__N_135GammaBetaBackwardCUDAKernelTemplateIffLj64ELj16ELj128ELb0ELb1ELb1EEEvllPKT_S5_PKT0_S8_PS3_S9_: ; @_ZN2at6native12_GLOBAL__N_135GammaBetaBackwardCUDAKernelTemplateIffLj64ELj16ELj128ELb0ELb1ELb1EEEvllPKT_S5_PKT0_S8_PS3_S9_
; %bb.0:
	s_load_dwordx4 s[4:7], s[0:1], 0x0
	s_lshl_b32 s14, s3, 7
	s_mov_b32 s15, 0
	v_bfe_u32 v12, v0, 10, 10
	s_waitcnt lgkmcnt(0)
	v_mov_b64_e32 v[2:3], s[4:5]
	v_cmp_lt_i64_e32 vcc, s[14:15], v[2:3]
	s_cbranch_vccnz .LBB148_2
; %bb.1:
	s_mov_b64 s[8:9], 0
	v_bfe_u32 v2, v0, 10, 10
	s_branch .LBB148_3
.LBB148_2:
	s_mov_b64 s[8:9], -1
                                        ; implicit-def: $vgpr2
.LBB148_3:
	s_load_dwordx2 s[12:13], s[0:1], 0x30
	v_and_b32_e32 v10, 0x3ff, v0
	s_andn2_b64 vcc, exec, s[8:9]
	v_mov_b32_e32 v1, s15
	v_mbcnt_lo_u32_b32 v11, -1, 0
	s_cbranch_vccnz .LBB148_11
; %bb.4:
	s_load_dword s3, s[0:1], 0x4c
	s_load_dword s16, s[0:1], 0x44
	s_load_dwordx2 s[18:19], s[0:1], 0x28
	s_load_dwordx4 s[8:11], s[0:1], 0x10
	v_lshlrev_b32_e32 v0, 3, v12
	s_waitcnt lgkmcnt(0)
	s_and_b32 s0, s3, 0xffff
	v_mad_u32_u24 v1, v12, s0, v10
	v_and_b32_e32 v2, 63, v1
	v_mov_b32_e32 v1, 0
	v_mov_b32_e32 v3, v1
	v_lshl_add_u64 v[8:9], v[0:1], 0, s[14:15]
	v_cmp_gt_u32_e64 s[0:1], 8, v2
	v_mbcnt_hi_u32_b32 v4, -1, v11
	s_lshl_b32 s16, s16, 7
	v_lshl_add_u64 v[2:3], v[8:9], 0, v[2:3]
	v_mul_lo_u32 v0, s7, v8
	v_mul_lo_u32 v21, s6, v9
	v_mad_u64_u32 v[8:9], s[20:21], s6, v8, 0
	v_lshl_add_u32 v6, s2, 6, v10
	v_mov_b32_e32 v7, v1
	v_lshlrev_b32_e32 v4, 2, v4
	s_mul_i32 s3, s7, s16
	s_mul_hi_u32 s20, s6, s16
	s_mov_b32 s17, 0
	v_and_b32_e32 v13, 0x100, v4
	v_add3_u32 v9, v9, v21, v0
	v_lshlrev_b64 v[6:7], 2, v[6:7]
	s_add_i32 s21, s20, s3
	s_mul_i32 s20, s6, s16
	v_or_b32_e32 v14, 4, v13
	v_or_b32_e32 v15, 8, v13
	v_or_b32_e32 v16, 12, v13
	v_or_b32_e32 v17, 16, v13
	v_or_b32_e32 v18, 20, v13
	v_or_b32_e32 v19, 24, v13
	v_or_b32_e32 v20, 28, v13
	v_lshl_add_u64 v[4:5], v[2:3], 2, s[18:19]
	s_lshl_b64 s[18:19], s[16:17], 2
	v_lshl_add_u64 v[6:7], v[8:9], 2, v[6:7]
	s_lshl_b64 s[20:21], s[20:21], 2
	s_lshl_b64 s[6:7], s[6:7], 2
	v_mov_b64_e32 v[8:9], s[4:5]
	s_branch .LBB148_7
.LBB148_5:                              ;   in Loop: Header=BB148_7 Depth=1
	s_or_b64 exec, exec, s[24:25]
.LBB148_6:                              ;   in Loop: Header=BB148_7 Depth=1
	s_or_b64 exec, exec, s[22:23]
	v_lshl_add_u64 v[22:23], s[8:9], 0, v[6:7]
	global_load_dword v24, v[22:23], off
	v_lshl_add_u64 v[26:27], s[10:11], 0, v[6:7]
	v_lshl_add_u64 v[22:23], v[22:23], 0, s[6:7]
	global_load_dword v28, v[26:27], off
	global_load_dword v25, v[22:23], off
	v_lshl_add_u64 v[26:27], v[26:27], 0, s[6:7]
	v_lshl_add_u64 v[22:23], v[22:23], 0, s[6:7]
	global_load_dword v29, v[26:27], off
	;; [unrolled: 4-line block ×7, first 2 shown]
	v_lshl_add_u64 v[22:23], v[26:27], 0, s[6:7]
	global_load_dword v40, v[26:27], off
	global_load_dword v41, v[22:23], off
	s_waitcnt vmcnt(16)
	ds_bpermute_b32 v22, v13, v0
	ds_bpermute_b32 v23, v14, v0
	;; [unrolled: 1-line block ×8, first 2 shown]
	s_add_u32 s14, s14, s16
	s_addc_u32 s15, s15, 0
	v_cmp_lt_i64_e32 vcc, s[14:15], v[8:9]
	v_lshl_add_u64 v[4:5], v[4:5], 0, s[18:19]
	v_lshl_add_u64 v[2:3], v[2:3], 0, s[16:17]
	;; [unrolled: 1-line block ×3, first 2 shown]
	s_and_b64 vcc, exec, vcc
	s_waitcnt vmcnt(12)
	v_pk_mul_f32 v[24:25], v[24:25], v[28:29]
	s_waitcnt lgkmcnt(6)
	v_pk_mul_f32 v[22:23], v[24:25], v[22:23]
	s_nop 0
	v_add_f32_e32 v21, v1, v22
	v_add_f32_e32 v21, v21, v23
	s_waitcnt vmcnt(8)
	v_pk_mul_f32 v[0:1], v[30:31], v[32:33]
	s_waitcnt lgkmcnt(4)
	v_pk_mul_f32 v[0:1], v[0:1], v[26:27]
	s_waitcnt vmcnt(4)
	v_pk_mul_f32 v[22:23], v[34:35], v[36:37]
	v_add_f32_e32 v0, v21, v0
	v_add_f32_e32 v21, v0, v1
	s_waitcnt lgkmcnt(2)
	v_pk_mul_f32 v[0:1], v[22:23], v[42:43]
	s_waitcnt vmcnt(0)
	v_pk_mul_f32 v[22:23], v[38:39], v[40:41]
	v_add_f32_e32 v0, v21, v0
	v_add_f32_e32 v21, v0, v1
	s_waitcnt lgkmcnt(0)
	v_pk_mul_f32 v[0:1], v[22:23], v[44:45]
	s_nop 0
	v_add_f32_e32 v0, v21, v0
	v_add_f32_e32 v1, v0, v1
	s_cbranch_vccz .LBB148_10
.LBB148_7:                              ; =>This Inner Loop Header: Depth=1
	v_mov_b32_e32 v0, 0
	s_and_saveexec_b64 s[22:23], s[0:1]
	s_cbranch_execz .LBB148_6
; %bb.8:                                ;   in Loop: Header=BB148_7 Depth=1
	v_cmp_gt_i64_e32 vcc, s[4:5], v[2:3]
	v_mov_b32_e32 v0, 0
	s_and_saveexec_b64 s[24:25], vcc
	s_cbranch_execz .LBB148_5
; %bb.9:                                ;   in Loop: Header=BB148_7 Depth=1
	global_load_dword v0, v[4:5], off
	s_branch .LBB148_5
.LBB148_10:
	v_mov_b32_e32 v2, v12
.LBB148_11:
	s_movk_i32 s0, 0x41
	v_mad_u32_u24 v0, v2, s0, v10
	v_lshl_add_u32 v0, v0, 2, 0
	ds_write_b32 v0, v1
	v_mov_b32_e32 v1, 0
	ds_write_b32 v0, v1 offset:4160
	v_lshrrev_b32_e32 v0, 6, v10
	v_add_u32_e32 v3, v0, v2
	s_mov_b32 s3, 0
	v_cmp_gt_u32_e32 vcc, 64, v3
	s_waitcnt lgkmcnt(0)
	s_barrier
	s_and_saveexec_b64 s[0:1], vcc
	s_cbranch_execz .LBB148_18
; %bb.12:
	v_mbcnt_hi_u32_b32 v7, -1, v11
	v_and_b32_e32 v4, 63, v10
	v_and_b32_e32 v5, 64, v7
	s_cmp_lg_u64 s[12:13], 0
	v_cmp_gt_u32_e32 vcc, 16, v4
	v_add_u32_e32 v8, 64, v5
	v_cmp_eq_u32_e64 s[0:1], 0, v10
	s_cselect_b64 s[6:7], -1, 0
	v_mul_u32_u24_e32 v9, 0x104, v4
	v_xor_b32_e32 v4, 8, v7
	s_and_b64 s[6:7], s[0:1], s[6:7]
	v_cmp_lt_i32_e64 s[0:1], v4, v8
	v_xor_b32_e32 v5, 4, v7
	v_xor_b32_e32 v6, 2, v7
	v_cndmask_b32_e64 v4, v7, v4, s[0:1]
	v_cmp_lt_i32_e64 s[0:1], v5, v8
	v_xor_b32_e32 v10, 1, v7
	s_mov_b64 s[4:5], 0
	v_cndmask_b32_e64 v5, v7, v5, s[0:1]
	v_cmp_lt_i32_e64 s[0:1], v6, v8
	v_lshlrev_b32_e32 v4, 2, v4
	v_lshlrev_b32_e32 v5, 2, v5
	v_cndmask_b32_e64 v6, v7, v6, s[0:1]
	v_cmp_lt_i32_e64 s[0:1], v10, v8
	v_lshlrev_b32_e32 v8, 2, v3
	v_add3_u32 v8, v9, v8, 0
	v_cndmask_b32_e64 v7, v7, v10, s[0:1]
	s_lshl_b64 s[0:1], s[2:3], 8
	v_add_u32_e32 v9, -16, v3
	v_mov_b32_e32 v3, v1
	s_add_u32 s0, s12, s0
	v_lshl_add_u64 v[0:1], v[0:1], 0, v[2:3]
	s_addc_u32 s1, s13, s1
	v_lshlrev_b32_e32 v6, 2, v6
	v_lshlrev_b32_e32 v7, 2, v7
	v_lshl_add_u64 v[0:1], v[0:1], 2, s[0:1]
                                        ; implicit-def: $vgpr2
	s_branch .LBB148_14
.LBB148_13:                             ;   in Loop: Header=BB148_14 Depth=1
	s_or_b64 exec, exec, s[0:1]
	v_add_u32_e32 v9, 16, v9
	v_cmp_lt_u32_e64 s[0:1], 47, v9
	v_add_u32_e32 v8, 64, v8
	s_or_b64 s[4:5], s[0:1], s[4:5]
	v_lshl_add_u64 v[0:1], v[0:1], 0, 64
	s_andn2_b64 exec, exec, s[4:5]
	s_cbranch_execz .LBB148_18
.LBB148_14:                             ; =>This Inner Loop Header: Depth=1
	s_and_saveexec_b64 s[0:1], vcc
	s_cbranch_execz .LBB148_16
; %bb.15:                               ;   in Loop: Header=BB148_14 Depth=1
	ds_read_b32 v2, v8
.LBB148_16:                             ;   in Loop: Header=BB148_14 Depth=1
	s_or_b64 exec, exec, s[0:1]
	s_waitcnt lgkmcnt(0)
	ds_bpermute_b32 v3, v4, v2
	s_waitcnt lgkmcnt(0)
	v_add_f32_e32 v2, v2, v3
	ds_bpermute_b32 v3, v5, v2
	s_waitcnt lgkmcnt(0)
	v_add_f32_e32 v2, v2, v3
	;; [unrolled: 3-line block ×4, first 2 shown]
	s_and_saveexec_b64 s[0:1], s[6:7]
	s_cbranch_execz .LBB148_13
; %bb.17:                               ;   in Loop: Header=BB148_14 Depth=1
	global_store_dword v[0:1], v2, off
	s_branch .LBB148_13
.LBB148_18:
	s_endpgm
	.section	.rodata,"a",@progbits
	.p2align	6, 0x0
	.amdhsa_kernel _ZN2at6native12_GLOBAL__N_135GammaBetaBackwardCUDAKernelTemplateIffLj64ELj16ELj128ELb0ELb1ELb1EEEvllPKT_S5_PKT0_S8_PS3_S9_
		.amdhsa_group_segment_fixed_size 0
		.amdhsa_private_segment_fixed_size 0
		.amdhsa_kernarg_size 320
		.amdhsa_user_sgpr_count 2
		.amdhsa_user_sgpr_dispatch_ptr 0
		.amdhsa_user_sgpr_queue_ptr 0
		.amdhsa_user_sgpr_kernarg_segment_ptr 1
		.amdhsa_user_sgpr_dispatch_id 0
		.amdhsa_user_sgpr_kernarg_preload_length 0
		.amdhsa_user_sgpr_kernarg_preload_offset 0
		.amdhsa_user_sgpr_private_segment_size 0
		.amdhsa_uses_dynamic_stack 0
		.amdhsa_enable_private_segment 0
		.amdhsa_system_sgpr_workgroup_id_x 1
		.amdhsa_system_sgpr_workgroup_id_y 1
		.amdhsa_system_sgpr_workgroup_id_z 0
		.amdhsa_system_sgpr_workgroup_info 0
		.amdhsa_system_vgpr_workitem_id 1
		.amdhsa_next_free_vgpr 46
		.amdhsa_next_free_sgpr 26
		.amdhsa_accum_offset 48
		.amdhsa_reserve_vcc 1
		.amdhsa_float_round_mode_32 0
		.amdhsa_float_round_mode_16_64 0
		.amdhsa_float_denorm_mode_32 3
		.amdhsa_float_denorm_mode_16_64 3
		.amdhsa_dx10_clamp 1
		.amdhsa_ieee_mode 1
		.amdhsa_fp16_overflow 0
		.amdhsa_tg_split 0
		.amdhsa_exception_fp_ieee_invalid_op 0
		.amdhsa_exception_fp_denorm_src 0
		.amdhsa_exception_fp_ieee_div_zero 0
		.amdhsa_exception_fp_ieee_overflow 0
		.amdhsa_exception_fp_ieee_underflow 0
		.amdhsa_exception_fp_ieee_inexact 0
		.amdhsa_exception_int_div_zero 0
	.end_amdhsa_kernel
	.section	.text._ZN2at6native12_GLOBAL__N_135GammaBetaBackwardCUDAKernelTemplateIffLj64ELj16ELj128ELb0ELb1ELb1EEEvllPKT_S5_PKT0_S8_PS3_S9_,"axG",@progbits,_ZN2at6native12_GLOBAL__N_135GammaBetaBackwardCUDAKernelTemplateIffLj64ELj16ELj128ELb0ELb1ELb1EEEvllPKT_S5_PKT0_S8_PS3_S9_,comdat
.Lfunc_end148:
	.size	_ZN2at6native12_GLOBAL__N_135GammaBetaBackwardCUDAKernelTemplateIffLj64ELj16ELj128ELb0ELb1ELb1EEEvllPKT_S5_PKT0_S8_PS3_S9_, .Lfunc_end148-_ZN2at6native12_GLOBAL__N_135GammaBetaBackwardCUDAKernelTemplateIffLj64ELj16ELj128ELb0ELb1ELb1EEEvllPKT_S5_PKT0_S8_PS3_S9_
                                        ; -- End function
	.section	.AMDGPU.csdata,"",@progbits
; Kernel info:
; codeLenInByte = 1332
; NumSgprs: 32
; NumVgprs: 46
; NumAgprs: 0
; TotalNumVgprs: 46
; ScratchSize: 0
; MemoryBound: 0
; FloatMode: 240
; IeeeMode: 1
; LDSByteSize: 0 bytes/workgroup (compile time only)
; SGPRBlocks: 3
; VGPRBlocks: 5
; NumSGPRsForWavesPerEU: 32
; NumVGPRsForWavesPerEU: 46
; AccumOffset: 48
; Occupancy: 8
; WaveLimiterHint : 0
; COMPUTE_PGM_RSRC2:SCRATCH_EN: 0
; COMPUTE_PGM_RSRC2:USER_SGPR: 2
; COMPUTE_PGM_RSRC2:TRAP_HANDLER: 0
; COMPUTE_PGM_RSRC2:TGID_X_EN: 1
; COMPUTE_PGM_RSRC2:TGID_Y_EN: 1
; COMPUTE_PGM_RSRC2:TGID_Z_EN: 0
; COMPUTE_PGM_RSRC2:TIDIG_COMP_CNT: 1
; COMPUTE_PGM_RSRC3_GFX90A:ACCUM_OFFSET: 11
; COMPUTE_PGM_RSRC3_GFX90A:TG_SPLIT: 0
	.section	.text._ZN2at6native12_GLOBAL__N_135GammaBetaBackwardCUDAKernelTemplateIffLj64ELj16ELj128ELb0ELb0ELb1EEEvllPKT_S5_PKT0_S8_PS3_S9_,"axG",@progbits,_ZN2at6native12_GLOBAL__N_135GammaBetaBackwardCUDAKernelTemplateIffLj64ELj16ELj128ELb0ELb0ELb1EEEvllPKT_S5_PKT0_S8_PS3_S9_,comdat
	.globl	_ZN2at6native12_GLOBAL__N_135GammaBetaBackwardCUDAKernelTemplateIffLj64ELj16ELj128ELb0ELb0ELb1EEEvllPKT_S5_PKT0_S8_PS3_S9_ ; -- Begin function _ZN2at6native12_GLOBAL__N_135GammaBetaBackwardCUDAKernelTemplateIffLj64ELj16ELj128ELb0ELb0ELb1EEEvllPKT_S5_PKT0_S8_PS3_S9_
	.p2align	8
	.type	_ZN2at6native12_GLOBAL__N_135GammaBetaBackwardCUDAKernelTemplateIffLj64ELj16ELj128ELb0ELb0ELb1EEEvllPKT_S5_PKT0_S8_PS3_S9_,@function
_ZN2at6native12_GLOBAL__N_135GammaBetaBackwardCUDAKernelTemplateIffLj64ELj16ELj128ELb0ELb0ELb1EEEvllPKT_S5_PKT0_S8_PS3_S9_: ; @_ZN2at6native12_GLOBAL__N_135GammaBetaBackwardCUDAKernelTemplateIffLj64ELj16ELj128ELb0ELb0ELb1EEEvllPKT_S5_PKT0_S8_PS3_S9_
; %bb.0:
	s_load_dwordx8 s[8:15], s[0:1], 0x0
	s_load_dwordx2 s[24:25], s[0:1], 0x28
	s_lshl_b32 s33, s2, 6
	s_or_b32 s26, s33, 63
	s_mov_b32 s27, 0
	s_waitcnt lgkmcnt(0)
	v_mov_b64_e32 v[2:3], s[10:11]
	v_cmp_ge_i64_e32 vcc, s[26:27], v[2:3]
	s_lshl_b32 s26, s3, 7
	v_mov_b64_e32 v[2:3], s[8:9]
	v_cmp_lt_i64_e64 s[4:5], s[26:27], v[2:3]
	s_nop 1
	v_cndmask_b32_e64 v1, 0, 1, s[4:5]
	v_cmp_ne_u32_e64 s[4:5], 1, v1
	s_cbranch_vccz .LBB149_49
; %bb.1:
	s_and_b64 vcc, exec, s[4:5]
	v_mov_b32_e32 v4, 0
	s_cbranch_vccnz .LBB149_50
; %bb.2:
	v_mov_b32_e32 v3, 0
	v_bfe_u32 v64, v0, 10, 10
	s_load_dword s3, s[0:1], 0x44
	v_lshlrev_b32_e32 v26, 3, v64
	v_mov_b32_e32 v27, v3
	v_and_b32_e32 v1, 0x3ff, v0
	v_lshl_add_u64 v[4:5], v[26:27], 0, s[26:27]
	v_add_u32_e32 v2, s33, v1
	v_lshl_add_u64 v[6:7], v[4:5], 0, 7
	s_add_u32 s28, s0, 64
	v_cmp_gt_i64_e64 s[6:7], s[10:11], v[2:3]
	v_lshlrev_b64 v[28:29], 2, v[2:3]
	v_mul_lo_u32 v2, s11, v6
	v_mul_lo_u32 v8, s10, v7
	v_mad_u64_u32 v[6:7], s[18:19], s10, v6, 0
	s_addc_u32 s29, s1, 0
	s_waitcnt lgkmcnt(0)
	s_lshl_b32 s3, s3, 7
	v_add3_u32 v7, v7, v8, v2
	v_lshlrev_b64 v[6:7], 2, v[6:7]
	s_mul_i32 s17, s11, s3
	s_mul_hi_u32 s18, s10, s3
	v_lshl_add_u64 v[30:31], s[12:13], 0, v[6:7]
	s_add_i32 s19, s18, s17
	s_mul_i32 s18, s10, s3
	v_lshl_add_u64 v[32:33], s[14:15], 0, v[6:7]
	v_lshl_add_u64 v[6:7], v[4:5], 0, 6
	s_lshl_b64 s[30:31], s[18:19], 2
	v_mul_lo_u32 v2, s11, v6
	v_mul_lo_u32 v8, s10, v7
	v_mad_u64_u32 v[6:7], s[18:19], s10, v6, 0
	v_add3_u32 v7, v7, v8, v2
	v_lshlrev_b64 v[6:7], 2, v[6:7]
	v_lshl_add_u64 v[34:35], s[12:13], 0, v[6:7]
	v_lshl_add_u64 v[36:37], s[14:15], 0, v[6:7]
	v_lshl_add_u64 v[6:7], v[4:5], 0, 5
	v_mul_lo_u32 v2, s11, v6
	v_mul_lo_u32 v8, s10, v7
	v_mad_u64_u32 v[6:7], s[18:19], s10, v6, 0
	v_add3_u32 v7, v7, v8, v2
	v_lshlrev_b64 v[6:7], 2, v[6:7]
	v_lshl_add_u64 v[38:39], s[12:13], 0, v[6:7]
	v_lshl_add_u64 v[40:41], s[14:15], 0, v[6:7]
	v_lshl_add_u64 v[6:7], v[4:5], 0, 4
	;; [unrolled: 8-line block ×4, first 2 shown]
	v_mul_lo_u32 v2, s11, v6
	v_mul_lo_u32 v8, s10, v7
	v_mad_u64_u32 v[6:7], s[18:19], s10, v6, 0
	v_add3_u32 v7, v7, v8, v2
	v_lshlrev_b64 v[6:7], 2, v[6:7]
	v_lshl_add_u64 v[50:51], s[12:13], 0, v[6:7]
	v_lshl_add_u64 v[52:53], s[14:15], 0, v[6:7]
	v_mov_b64_e32 v[6:7], s[10:11]
	v_mad_u64_u32 v[6:7], s[18:19], s10, v4, v[6:7]
	v_mul_lo_u32 v2, s10, v5
	v_mul_lo_u32 v8, s11, v4
	v_mad_u64_u32 v[4:5], s[18:19], s10, v4, 0
	v_add3_u32 v7, v8, v7, v2
	v_add3_u32 v5, v5, v2, v8
	v_mbcnt_lo_u32_b32 v2, -1, 0
	v_mbcnt_hi_u32_b32 v2, -1, v2
	v_lshlrev_b64 v[6:7], 2, v[6:7]
	s_add_u32 s34, s26, 0x7f
	v_lshlrev_b64 v[4:5], 2, v[4:5]
	s_movk_i32 s36, 0xff81
	s_movk_i32 s38, 0xff82
	;; [unrolled: 1-line block ×8, first 2 shown]
	v_lshlrev_b32_e32 v2, 2, v2
	s_mov_b32 s16, 0
	v_lshl_add_u64 v[54:55], s[12:13], 0, v[6:7]
	v_lshl_add_u64 v[56:57], s[14:15], 0, v[6:7]
	s_addc_u32 s35, 0, 0
	v_lshl_add_u64 v[58:59], s[12:13], 0, v[4:5]
	v_lshl_add_u64 v[60:61], s[14:15], 0, v[4:5]
	s_mov_b32 s37, -1
	s_mov_b32 s39, -1
	;; [unrolled: 1-line block ×8, first 2 shown]
	v_and_b32_e32 v65, 0x100, v2
	s_mov_b64 s[52:53], s[26:27]
	v_mov_b32_e32 v66, 0
.LBB149_3:                              ; =>This Inner Loop Header: Depth=1
	v_mov_b64_e32 v[4:5], s[8:9]
	v_cmp_ge_i64_e32 vcc, s[34:35], v[4:5]
	v_lshl_add_u64 v[62:63], v[26:27], 0, s[34:35]
	s_cbranch_vccz .LBB149_25
; %bb.4:                                ;   in Loop: Header=BB149_3 Depth=1
	s_load_dword s17, s[28:29], 0xc
	v_mov_b32_e32 v67, 0
	s_waitcnt lgkmcnt(0)
	s_and_b32 s17, s17, 0xffff
	v_mad_u32_u24 v2, v64, s17, v1
	v_and_b32_e32 v2, 63, v2
	v_cmp_gt_u32_e32 vcc, 8, v2
	s_and_saveexec_b64 s[18:19], vcc
	s_cbranch_execz .LBB149_8
; %bb.5:                                ;   in Loop: Header=BB149_3 Depth=1
	v_lshl_add_u64 v[4:5], v[62:63], 0, v[2:3]
	v_lshl_add_u64 v[4:5], v[4:5], 0, s[36:37]
	v_cmp_gt_i64_e32 vcc, s[8:9], v[4:5]
	v_mov_b32_e32 v67, 0
	s_and_saveexec_b64 s[20:21], vcc
	s_cbranch_execz .LBB149_7
; %bb.6:                                ;   in Loop: Header=BB149_3 Depth=1
	v_lshl_add_u64 v[4:5], v[4:5], 2, s[24:25]
	global_load_dword v67, v[4:5], off
.LBB149_7:                              ;   in Loop: Header=BB149_3 Depth=1
	s_or_b64 exec, exec, s[20:21]
.LBB149_8:                              ;   in Loop: Header=BB149_3 Depth=1
	s_or_b64 exec, exec, s[18:19]
	s_mov_b32 s17, s16
	s_mov_b32 s18, s16
	s_mov_b32 s19, s16
	s_mov_b32 s20, s16
	s_mov_b32 s21, s16
	s_mov_b32 s22, s16
	s_mov_b32 s23, s16
	v_mov_b64_e32 v[10:11], s[16:17]
	v_lshl_add_u64 v[4:5], v[62:63], 0, s[36:37]
	v_mov_b64_e32 v[16:17], s[22:23]
	v_cmp_gt_i64_e32 vcc, s[8:9], v[4:5]
	v_mov_b64_e32 v[12:13], s[18:19]
	v_mov_b64_e32 v[14:15], s[20:21]
	;; [unrolled: 1-line block ×3, first 2 shown]
	s_and_b64 s[54:55], s[6:7], vcc
	v_mov_b64_e32 v[22:23], v[14:15]
	v_mov_b64_e32 v[20:21], v[12:13]
	;; [unrolled: 1-line block ×3, first 2 shown]
	s_and_saveexec_b64 s[18:19], s[54:55]
	s_cbranch_execz .LBB149_10
; %bb.9:                                ;   in Loop: Header=BB149_3 Depth=1
	v_lshl_add_u64 v[4:5], v[58:59], 0, v[28:29]
	global_load_dword v2, v[4:5], off
	v_lshl_add_u64 v[4:5], v[60:61], 0, v[28:29]
	global_load_dword v10, v[4:5], off
	v_mov_b32_e32 v8, v3
	v_mov_b32_e32 v9, v3
	;; [unrolled: 1-line block ×6, first 2 shown]
	s_waitcnt vmcnt(1)
	v_mov_b64_e32 v[24:25], v[8:9]
	v_mov_b32_e32 v11, v3
	v_mov_b32_e32 v12, v3
	;; [unrolled: 1-line block ×7, first 2 shown]
	v_mov_b64_e32 v[22:23], v[6:7]
	v_mov_b64_e32 v[20:21], v[4:5]
	;; [unrolled: 1-line block ×3, first 2 shown]
.LBB149_10:                             ;   in Loop: Header=BB149_3 Depth=1
	s_or_b64 exec, exec, s[18:19]
	v_lshl_add_u64 v[4:5], v[62:63], 0, s[38:39]
	v_cmp_gt_i64_e32 vcc, s[8:9], v[4:5]
	s_and_b64 s[20:21], s[6:7], vcc
	s_and_saveexec_b64 s[18:19], s[20:21]
	s_cbranch_execz .LBB149_12
; %bb.11:                               ;   in Loop: Header=BB149_3 Depth=1
	v_lshl_add_u64 v[4:5], v[54:55], 0, v[28:29]
	global_load_dword v19, v[4:5], off
	v_lshl_add_u64 v[4:5], v[56:57], 0, v[28:29]
	global_load_dword v11, v[4:5], off
.LBB149_12:                             ;   in Loop: Header=BB149_3 Depth=1
	s_or_b64 exec, exec, s[18:19]
	v_lshl_add_u64 v[4:5], v[62:63], 0, s[40:41]
	v_cmp_gt_i64_e32 vcc, s[8:9], v[4:5]
	s_and_b64 s[20:21], s[6:7], vcc
	s_and_saveexec_b64 s[18:19], s[20:21]
	s_cbranch_execz .LBB149_14
; %bb.13:                               ;   in Loop: Header=BB149_3 Depth=1
	v_lshl_add_u64 v[4:5], v[50:51], 0, v[28:29]
	global_load_dword v20, v[4:5], off
	v_lshl_add_u64 v[4:5], v[52:53], 0, v[28:29]
	global_load_dword v12, v[4:5], off
.LBB149_14:                             ;   in Loop: Header=BB149_3 Depth=1
	;; [unrolled: 12-line block ×7, first 2 shown]
	s_or_b64 exec, exec, s[18:19]
	s_waitcnt vmcnt(0)
	ds_bpermute_b32 v4, v65, v67 offset:4
	ds_bpermute_b32 v5, v65, v67 offset:8
	ds_bpermute_b32 v2, v65, v67
	v_mul_f32_e32 v8, v10, v18
	v_pk_mul_f32 v[10:11], v[10:11], v[18:19]
	v_pk_mul_f32 v[12:13], v[12:13], v[20:21]
	v_mov_b32_e32 v10, v11
	v_mov_b32_e32 v11, v12
	s_waitcnt lgkmcnt(1)
	v_pk_mul_f32 v[4:5], v[10:11], v[4:5]
	ds_bpermute_b32 v10, v65, v67 offset:12
	ds_bpermute_b32 v11, v65, v67 offset:16
	s_waitcnt lgkmcnt(2)
	v_fma_f32 v2, v8, v2, v66
	v_pk_mul_f32 v[8:9], v[14:15], v[22:23]
	v_add_f32_e32 v2, v2, v4
	v_add_f32_e32 v2, v2, v5
	v_mov_b32_e32 v4, v13
	v_mov_b32_e32 v5, v8
	s_waitcnt lgkmcnt(0)
	v_pk_mul_f32 v[4:5], v[4:5], v[10:11]
	ds_bpermute_b32 v10, v65, v67 offset:20
	ds_bpermute_b32 v11, v65, v67 offset:24
	v_pk_mul_f32 v[6:7], v[16:17], v[24:25]
	v_add_f32_e32 v2, v2, v4
	v_add_f32_e32 v7, v2, v5
	ds_bpermute_b32 v2, v65, v67 offset:28
	v_mov_b32_e32 v4, v9
	v_mov_b32_e32 v5, v6
	s_waitcnt lgkmcnt(1)
	v_pk_mul_f32 v[4:5], v[4:5], v[10:11]
	s_nop 0
	v_add_f32_e32 v4, v7, v4
	v_add_f32_e32 v4, v4, v5
	s_branch .LBB149_40
.LBB149_25:                             ;   in Loop: Header=BB149_3 Depth=1
                                        ; implicit-def: $vgpr4
                                        ; implicit-def: $vgpr10_vgpr11_vgpr12_vgpr13_vgpr14_vgpr15_vgpr16_vgpr17
                                        ; implicit-def: $vgpr18_vgpr19_vgpr20_vgpr21_vgpr22_vgpr23_vgpr24_vgpr25
                                        ; implicit-def: $vgpr2
	s_cbranch_execz .LBB149_40
; %bb.26:                               ;   in Loop: Header=BB149_3 Depth=1
	s_load_dword s17, s[28:29], 0x0
	v_mov_b32_e32 v67, 0
	s_waitcnt lgkmcnt(0)
	s_cmp_lt_u32 s2, s17
	s_cselect_b32 s17, 12, 18
	s_add_u32 s18, s28, s17
	s_addc_u32 s19, s29, 0
	global_load_ushort v2, v3, s[18:19]
	s_waitcnt vmcnt(0)
	v_mad_u32_u24 v2, v64, v2, v1
	v_and_b32_e32 v2, 63, v2
	v_cmp_gt_u32_e32 vcc, 8, v2
	s_and_saveexec_b64 s[18:19], vcc
	s_cbranch_execz .LBB149_30
; %bb.27:                               ;   in Loop: Header=BB149_3 Depth=1
	v_lshl_add_u64 v[4:5], v[62:63], 0, v[2:3]
	v_lshl_add_u64 v[4:5], v[4:5], 0, s[36:37]
	v_cmp_gt_i64_e32 vcc, s[8:9], v[4:5]
	v_mov_b32_e32 v67, 0
	s_and_saveexec_b64 s[20:21], vcc
	s_cbranch_execz .LBB149_29
; %bb.28:                               ;   in Loop: Header=BB149_3 Depth=1
	v_lshl_add_u64 v[4:5], v[4:5], 2, s[24:25]
	global_load_dword v67, v[4:5], off
.LBB149_29:                             ;   in Loop: Header=BB149_3 Depth=1
	s_or_b64 exec, exec, s[20:21]
.LBB149_30:                             ;   in Loop: Header=BB149_3 Depth=1
	s_or_b64 exec, exec, s[18:19]
	s_mov_b32 s17, s16
	s_mov_b32 s18, s16
	;; [unrolled: 1-line block ×7, first 2 shown]
	v_mov_b64_e32 v[10:11], s[16:17]
	v_mov_b64_e32 v[16:17], s[22:23]
	v_mov_b64_e32 v[12:13], s[18:19]
	v_mov_b64_e32 v[14:15], s[20:21]
	v_mov_b64_e32 v[24:25], v[16:17]
	v_mov_b64_e32 v[22:23], v[14:15]
	v_mov_b64_e32 v[20:21], v[12:13]
	v_mov_b64_e32 v[18:19], v[10:11]
	s_and_saveexec_b64 s[18:19], s[6:7]
	s_cbranch_execnz .LBB149_42
; %bb.31:                               ;   in Loop: Header=BB149_3 Depth=1
	s_or_b64 exec, exec, s[18:19]
	s_and_saveexec_b64 s[18:19], s[6:7]
	s_cbranch_execnz .LBB149_43
.LBB149_32:                             ;   in Loop: Header=BB149_3 Depth=1
	s_or_b64 exec, exec, s[18:19]
	s_and_saveexec_b64 s[18:19], s[6:7]
	s_cbranch_execnz .LBB149_44
.LBB149_33:                             ;   in Loop: Header=BB149_3 Depth=1
	s_or_b64 exec, exec, s[18:19]
	s_and_saveexec_b64 s[18:19], s[6:7]
	s_cbranch_execnz .LBB149_45
.LBB149_34:                             ;   in Loop: Header=BB149_3 Depth=1
	s_or_b64 exec, exec, s[18:19]
	s_and_saveexec_b64 s[18:19], s[6:7]
	s_cbranch_execnz .LBB149_46
.LBB149_35:                             ;   in Loop: Header=BB149_3 Depth=1
	s_or_b64 exec, exec, s[18:19]
	s_and_saveexec_b64 s[18:19], s[6:7]
	s_cbranch_execnz .LBB149_47
.LBB149_36:                             ;   in Loop: Header=BB149_3 Depth=1
	s_or_b64 exec, exec, s[18:19]
	s_and_saveexec_b64 s[18:19], s[6:7]
	s_cbranch_execnz .LBB149_48
.LBB149_37:                             ;   in Loop: Header=BB149_3 Depth=1
	s_or_b64 exec, exec, s[18:19]
	s_and_saveexec_b64 s[18:19], s[6:7]
	s_cbranch_execz .LBB149_39
.LBB149_38:                             ;   in Loop: Header=BB149_3 Depth=1
	v_lshl_add_u64 v[4:5], v[30:31], 0, v[28:29]
	global_load_dword v25, v[4:5], off
	v_lshl_add_u64 v[4:5], v[32:33], 0, v[28:29]
	global_load_dword v17, v[4:5], off
.LBB149_39:                             ;   in Loop: Header=BB149_3 Depth=1
	s_or_b64 exec, exec, s[18:19]
	s_waitcnt vmcnt(0)
	ds_bpermute_b32 v4, v65, v67 offset:4
	ds_bpermute_b32 v5, v65, v67 offset:8
	ds_bpermute_b32 v2, v65, v67
	v_mul_f32_e32 v8, v10, v18
	v_pk_mul_f32 v[10:11], v[10:11], v[18:19]
	v_pk_mul_f32 v[12:13], v[12:13], v[20:21]
	v_mov_b32_e32 v10, v11
	v_mov_b32_e32 v11, v12
	s_waitcnt lgkmcnt(1)
	v_pk_mul_f32 v[4:5], v[10:11], v[4:5]
	ds_bpermute_b32 v10, v65, v67 offset:12
	ds_bpermute_b32 v11, v65, v67 offset:16
	s_waitcnt lgkmcnt(2)
	v_fmac_f32_e32 v66, v8, v2
	v_pk_mul_f32 v[8:9], v[14:15], v[22:23]
	v_add_f32_e32 v2, v66, v4
	v_add_f32_e32 v2, v2, v5
	v_mov_b32_e32 v4, v13
	v_mov_b32_e32 v5, v8
	s_waitcnt lgkmcnt(0)
	v_pk_mul_f32 v[4:5], v[4:5], v[10:11]
	ds_bpermute_b32 v10, v65, v67 offset:20
	ds_bpermute_b32 v11, v65, v67 offset:24
	v_pk_mul_f32 v[6:7], v[16:17], v[24:25]
	v_add_f32_e32 v2, v2, v4
	v_add_f32_e32 v7, v2, v5
	v_mov_b32_e32 v4, v9
	v_mov_b32_e32 v5, v6
	s_waitcnt lgkmcnt(0)
	v_pk_mul_f32 v[4:5], v[4:5], v[10:11]
	ds_bpermute_b32 v2, v65, v67 offset:28
	v_add_f32_e32 v4, v7, v4
	v_add_f32_e32 v4, v4, v5
.LBB149_40:                             ;   in Loop: Header=BB149_3 Depth=1
	s_add_u32 s52, s52, s3
	s_addc_u32 s53, s53, 0
	v_mov_b64_e32 v[6:7], s[8:9]
	v_mul_f32_e32 v5, v25, v17
	s_add_u32 s34, s34, s3
	v_cmp_lt_i64_e32 vcc, s[52:53], v[6:7]
	s_waitcnt lgkmcnt(0)
	v_fmac_f32_e32 v4, v5, v2
	v_lshl_add_u64 v[30:31], v[30:31], 0, s[30:31]
	v_lshl_add_u64 v[32:33], v[32:33], 0, s[30:31]
	v_lshl_add_u64 v[34:35], v[34:35], 0, s[30:31]
	v_lshl_add_u64 v[36:37], v[36:37], 0, s[30:31]
	v_lshl_add_u64 v[38:39], v[38:39], 0, s[30:31]
	v_lshl_add_u64 v[40:41], v[40:41], 0, s[30:31]
	v_lshl_add_u64 v[42:43], v[42:43], 0, s[30:31]
	v_lshl_add_u64 v[44:45], v[44:45], 0, s[30:31]
	v_lshl_add_u64 v[46:47], v[46:47], 0, s[30:31]
	v_lshl_add_u64 v[48:49], v[48:49], 0, s[30:31]
	v_lshl_add_u64 v[50:51], v[50:51], 0, s[30:31]
	v_lshl_add_u64 v[52:53], v[52:53], 0, s[30:31]
	v_lshl_add_u64 v[54:55], v[54:55], 0, s[30:31]
	v_lshl_add_u64 v[56:57], v[56:57], 0, s[30:31]
	s_addc_u32 s35, s35, 0
	v_lshl_add_u64 v[58:59], v[58:59], 0, s[30:31]
	v_lshl_add_u64 v[60:61], v[60:61], 0, s[30:31]
	s_cbranch_vccz .LBB149_50
; %bb.41:                               ;   in Loop: Header=BB149_3 Depth=1
	v_mov_b32_e32 v66, v4
	s_branch .LBB149_3
.LBB149_42:                             ;   in Loop: Header=BB149_3 Depth=1
	v_lshl_add_u64 v[4:5], v[58:59], 0, v[28:29]
	global_load_dword v2, v[4:5], off
	v_lshl_add_u64 v[4:5], v[60:61], 0, v[28:29]
	global_load_dword v10, v[4:5], off
	v_mov_b32_e32 v8, v3
	v_mov_b32_e32 v9, v3
	;; [unrolled: 1-line block ×6, first 2 shown]
	s_waitcnt vmcnt(1)
	v_mov_b64_e32 v[24:25], v[8:9]
	v_mov_b32_e32 v11, v3
	v_mov_b32_e32 v12, v3
	;; [unrolled: 1-line block ×7, first 2 shown]
	v_mov_b64_e32 v[22:23], v[6:7]
	v_mov_b64_e32 v[20:21], v[4:5]
	v_mov_b64_e32 v[18:19], v[2:3]
	s_or_b64 exec, exec, s[18:19]
	s_and_saveexec_b64 s[18:19], s[6:7]
	s_cbranch_execz .LBB149_32
.LBB149_43:                             ;   in Loop: Header=BB149_3 Depth=1
	v_lshl_add_u64 v[4:5], v[54:55], 0, v[28:29]
	global_load_dword v19, v[4:5], off
	v_lshl_add_u64 v[4:5], v[56:57], 0, v[28:29]
	global_load_dword v11, v[4:5], off
	s_or_b64 exec, exec, s[18:19]
	s_and_saveexec_b64 s[18:19], s[6:7]
	s_cbranch_execz .LBB149_33
.LBB149_44:                             ;   in Loop: Header=BB149_3 Depth=1
	v_lshl_add_u64 v[4:5], v[50:51], 0, v[28:29]
	global_load_dword v20, v[4:5], off
	v_lshl_add_u64 v[4:5], v[52:53], 0, v[28:29]
	global_load_dword v12, v[4:5], off
	s_or_b64 exec, exec, s[18:19]
	s_and_saveexec_b64 s[18:19], s[6:7]
	s_cbranch_execz .LBB149_34
.LBB149_45:                             ;   in Loop: Header=BB149_3 Depth=1
	v_lshl_add_u64 v[4:5], v[46:47], 0, v[28:29]
	global_load_dword v21, v[4:5], off
	v_lshl_add_u64 v[4:5], v[48:49], 0, v[28:29]
	global_load_dword v13, v[4:5], off
	s_or_b64 exec, exec, s[18:19]
	s_and_saveexec_b64 s[18:19], s[6:7]
	s_cbranch_execz .LBB149_35
.LBB149_46:                             ;   in Loop: Header=BB149_3 Depth=1
	v_lshl_add_u64 v[4:5], v[42:43], 0, v[28:29]
	global_load_dword v22, v[4:5], off
	v_lshl_add_u64 v[4:5], v[44:45], 0, v[28:29]
	global_load_dword v14, v[4:5], off
	s_or_b64 exec, exec, s[18:19]
	s_and_saveexec_b64 s[18:19], s[6:7]
	s_cbranch_execz .LBB149_36
.LBB149_47:                             ;   in Loop: Header=BB149_3 Depth=1
	v_lshl_add_u64 v[4:5], v[38:39], 0, v[28:29]
	global_load_dword v23, v[4:5], off
	v_lshl_add_u64 v[4:5], v[40:41], 0, v[28:29]
	global_load_dword v15, v[4:5], off
	s_or_b64 exec, exec, s[18:19]
	s_and_saveexec_b64 s[18:19], s[6:7]
	s_cbranch_execz .LBB149_37
.LBB149_48:                             ;   in Loop: Header=BB149_3 Depth=1
	v_lshl_add_u64 v[4:5], v[34:35], 0, v[28:29]
	global_load_dword v24, v[4:5], off
	v_lshl_add_u64 v[4:5], v[36:37], 0, v[28:29]
	global_load_dword v16, v[4:5], off
	s_or_b64 exec, exec, s[18:19]
	s_and_saveexec_b64 s[18:19], s[6:7]
	s_cbranch_execnz .LBB149_38
	s_branch .LBB149_39
.LBB149_49:
                                        ; implicit-def: $vgpr4
	s_branch .LBB149_51
.LBB149_50:
	s_cbranch_execnz .LBB149_83
.LBB149_51:
	s_and_b64 vcc, exec, s[4:5]
	v_mov_b32_e32 v4, 0
	s_cbranch_vccnz .LBB149_83
; %bb.52:
	v_and_b32_e32 v1, 0x3ff, v0
	v_add_u32_e32 v2, s33, v1
	v_mov_b32_e32 v3, 0
	v_bfe_u32 v92, v0, 10, 10
	v_lshlrev_b64 v[28:29], 2, v[2:3]
	v_lshlrev_b32_e32 v2, 5, v92
	v_lshl_add_u64 v[4:5], s[26:27], 2, v[2:3]
	v_lshl_add_u64 v[6:7], v[4:5], 0, 4
	v_mov_b64_e32 v[8:9], s[12:13]
	v_lshl_add_u64 v[10:11], v[4:5], 0, 8
	v_lshl_add_u64 v[12:13], v[4:5], 0, 12
	;; [unrolled: 1-line block ×6, first 2 shown]
	v_mad_u64_u32 v[30:31], s[4:5], s10, v6, v[8:9]
	v_mad_u64_u32 v[32:33], s[4:5], s10, v10, v[8:9]
	;; [unrolled: 1-line block ×7, first 2 shown]
	v_mov_b64_e32 v[8:9], s[14:15]
	v_lshlrev_b32_e32 v26, 3, v92
	v_mov_b32_e32 v27, v3
	v_mul_lo_u32 v2, s10, v7
	v_mul_lo_u32 v7, s11, v6
	v_mad_u64_u32 v[44:45], s[4:5], s10, v6, v[8:9]
	v_add3_u32 v31, v7, v31, v2
	v_mul_lo_u32 v5, s10, v5
	v_mul_lo_u32 v25, s11, v4
	v_add3_u32 v45, v7, v45, v2
	v_lshl_add_u64 v[6:7], v[26:27], 0, s[26:27]
	v_mad_u64_u32 v[56:57], s[4:5], s10, v4, v[8:9]
	v_add3_u32 v43, v25, v43, v5
	v_add3_u32 v57, v25, v57, v5
	v_lshl_add_u64 v[4:5], v[6:7], 0, 7
	v_mad_u64_u32 v[46:47], s[4:5], s10, v10, v[8:9]
	v_mad_u64_u32 v[48:49], s[4:5], s10, v12, v[8:9]
	;; [unrolled: 1-line block ×5, first 2 shown]
	v_mul_lo_u32 v8, s11, v4
	v_mul_lo_u32 v9, s10, v5
	v_mad_u64_u32 v[4:5], s[4:5], s10, v4, 0
	v_mul_lo_u32 v11, s10, v11
	v_mul_lo_u32 v20, s11, v10
	v_add3_u32 v5, v5, v9, v8
	v_lshl_add_u64 v[8:9], v[6:7], 0, 6
	v_add3_u32 v33, v20, v33, v11
	v_add3_u32 v47, v20, v47, v11
	v_mul_lo_u32 v10, s11, v8
	v_mul_lo_u32 v11, s10, v9
	v_mad_u64_u32 v[8:9], s[4:5], s10, v8, 0
	v_mul_lo_u32 v13, s10, v13
	v_mul_lo_u32 v21, s11, v12
	v_add3_u32 v9, v9, v11, v10
	v_lshl_add_u64 v[10:11], v[6:7], 0, 5
	v_add3_u32 v35, v21, v35, v13
	v_add3_u32 v49, v21, v49, v13
	v_mul_lo_u32 v12, s11, v10
	v_mul_lo_u32 v13, s10, v11
	v_mad_u64_u32 v[10:11], s[4:5], s10, v10, 0
	v_mul_lo_u32 v15, s10, v15
	v_mul_lo_u32 v22, s11, v14
	v_add3_u32 v11, v11, v13, v12
	v_lshl_add_u64 v[12:13], v[6:7], 0, 4
	v_add3_u32 v37, v22, v37, v15
	v_add3_u32 v51, v22, v51, v15
	v_mul_lo_u32 v14, s11, v12
	v_mul_lo_u32 v15, s10, v13
	v_mad_u64_u32 v[12:13], s[4:5], s10, v12, 0
	v_mul_lo_u32 v17, s10, v17
	v_mul_lo_u32 v23, s11, v16
	v_add3_u32 v13, v13, v15, v14
	v_lshl_add_u64 v[14:15], v[6:7], 0, 3
	v_add3_u32 v39, v23, v39, v17
	v_add3_u32 v53, v23, v53, v17
	v_mul_lo_u32 v16, s11, v14
	v_mul_lo_u32 v17, s10, v15
	v_mad_u64_u32 v[14:15], s[4:5], s10, v14, 0
	v_mul_lo_u32 v19, s10, v19
	v_mul_lo_u32 v24, s11, v18
	v_add3_u32 v15, v15, v17, v16
	v_lshl_add_u64 v[16:17], v[6:7], 0, 2
	s_load_dword s3, s[0:1], 0x44
	v_lshlrev_b64 v[4:5], 2, v[4:5]
	v_add3_u32 v41, v24, v41, v19
	v_add3_u32 v55, v24, v55, v19
	v_mul_lo_u32 v18, s11, v16
	v_mul_lo_u32 v19, s10, v17
	v_mad_u64_u32 v[16:17], s[4:5], s10, v16, 0
	v_lshl_add_u64 v[62:63], s[12:13], 0, v[4:5]
	v_lshl_add_u64 v[64:65], s[14:15], 0, v[4:5]
	v_lshlrev_b64 v[4:5], 2, v[8:9]
	v_add3_u32 v17, v17, v19, v18
	v_mov_b64_e32 v[18:19], s[10:11]
	v_lshl_add_u64 v[66:67], s[12:13], 0, v[4:5]
	v_lshl_add_u64 v[68:69], s[14:15], 0, v[4:5]
	v_lshlrev_b64 v[4:5], 2, v[10:11]
	v_mul_lo_u32 v2, s11, v6
	v_mad_u64_u32 v[18:19], s[4:5], s10, v6, v[18:19]
	v_mul_lo_u32 v20, s10, v7
	v_mad_u64_u32 v[6:7], s[4:5], s10, v6, 0
	v_lshl_add_u64 v[70:71], s[12:13], 0, v[4:5]
	v_lshl_add_u64 v[72:73], s[14:15], 0, v[4:5]
	v_lshlrev_b64 v[4:5], 2, v[12:13]
	s_add_u32 s4, s0, 64
	v_lshl_add_u64 v[74:75], s[12:13], 0, v[4:5]
	v_lshl_add_u64 v[76:77], s[14:15], 0, v[4:5]
	v_lshlrev_b64 v[4:5], 2, v[14:15]
	v_add3_u32 v7, v7, v20, v2
	v_add3_u32 v19, v2, v19, v20
	s_addc_u32 s5, s1, 0
	s_waitcnt lgkmcnt(0)
	s_lshl_b32 s3, s3, 7
	v_lshl_add_u64 v[78:79], s[12:13], 0, v[4:5]
	v_lshl_add_u64 v[80:81], s[14:15], 0, v[4:5]
	v_lshlrev_b64 v[4:5], 2, v[16:17]
	v_mbcnt_lo_u32_b32 v2, -1, 0
	s_add_u32 s6, s26, 0x7f
	s_mul_i32 s17, s11, s3
	s_mul_hi_u32 s18, s10, s3
	v_lshlrev_b64 v[6:7], 2, v[6:7]
	v_lshl_add_u64 v[82:83], s[12:13], 0, v[4:5]
	v_lshl_add_u64 v[84:85], s[14:15], 0, v[4:5]
	v_lshlrev_b64 v[4:5], 2, v[18:19]
	v_mbcnt_hi_u32_b32 v2, -1, v2
	s_addc_u32 s7, 0, 0
	s_add_i32 s19, s18, s17
	s_mul_i32 s18, s10, s3
	v_lshl_add_u64 v[58:59], s[12:13], 0, v[6:7]
	v_lshl_add_u64 v[60:61], s[14:15], 0, v[6:7]
	;; [unrolled: 1-line block ×4, first 2 shown]
	s_movk_i32 s12, 0xff81
	s_movk_i32 s14, 0xff82
	;; [unrolled: 1-line block ×8, first 2 shown]
	v_lshlrev_b32_e32 v2, 2, v2
	s_mov_b32 s16, 0
	s_lshl_b64 s[28:29], s[18:19], 2
	s_mov_b32 s13, -1
	s_mov_b32 s15, -1
	;; [unrolled: 1-line block ×8, first 2 shown]
	v_and_b32_e32 v93, 0x100, v2
	v_mov_b32_e32 v94, 0
.LBB149_53:                             ; =>This Inner Loop Header: Depth=1
	v_mov_b64_e32 v[4:5], s[8:9]
	v_cmp_ge_i64_e32 vcc, s[6:7], v[4:5]
	v_lshl_add_u64 v[90:91], v[26:27], 0, s[6:7]
	s_cbranch_vccz .LBB149_75
; %bb.54:                               ;   in Loop: Header=BB149_53 Depth=1
	s_load_dword s17, s[4:5], 0xc
	v_mov_b32_e32 v95, 0
	s_waitcnt lgkmcnt(0)
	s_and_b32 s17, s17, 0xffff
	v_mad_u32_u24 v2, v92, s17, v1
	v_and_b32_e32 v2, 63, v2
	v_cmp_gt_u32_e32 vcc, 8, v2
	s_and_saveexec_b64 s[18:19], vcc
	s_cbranch_execz .LBB149_58
; %bb.55:                               ;   in Loop: Header=BB149_53 Depth=1
	v_lshl_add_u64 v[4:5], v[90:91], 0, v[2:3]
	v_lshl_add_u64 v[4:5], v[4:5], 0, s[12:13]
	v_cmp_gt_i64_e32 vcc, s[8:9], v[4:5]
	v_mov_b32_e32 v95, 0
	s_and_saveexec_b64 s[20:21], vcc
	s_cbranch_execz .LBB149_57
; %bb.56:                               ;   in Loop: Header=BB149_53 Depth=1
	v_lshl_add_u64 v[4:5], v[4:5], 2, s[24:25]
	global_load_dword v95, v[4:5], off
.LBB149_57:                             ;   in Loop: Header=BB149_53 Depth=1
	s_or_b64 exec, exec, s[20:21]
.LBB149_58:                             ;   in Loop: Header=BB149_53 Depth=1
	s_or_b64 exec, exec, s[18:19]
	s_mov_b32 s17, s16
	s_mov_b32 s18, s16
	s_mov_b32 s19, s16
	s_mov_b32 s20, s16
	s_mov_b32 s21, s16
	s_mov_b32 s22, s16
	s_mov_b32 s23, s16
	v_mov_b64_e32 v[10:11], s[16:17]
	v_mov_b64_e32 v[16:17], s[22:23]
	v_lshl_add_u64 v[4:5], v[90:91], 0, s[12:13]
	v_mov_b64_e32 v[12:13], s[18:19]
	v_mov_b64_e32 v[14:15], s[20:21]
	;; [unrolled: 1-line block ×3, first 2 shown]
	v_cmp_gt_i64_e32 vcc, s[8:9], v[4:5]
	v_mov_b64_e32 v[22:23], v[14:15]
	v_mov_b64_e32 v[20:21], v[12:13]
	;; [unrolled: 1-line block ×3, first 2 shown]
	s_and_saveexec_b64 s[18:19], vcc
	s_cbranch_execz .LBB149_60
; %bb.59:                               ;   in Loop: Header=BB149_53 Depth=1
	v_lshl_add_u64 v[4:5], v[58:59], 0, v[28:29]
	global_load_dword v2, v[4:5], off
	v_lshl_add_u64 v[4:5], v[60:61], 0, v[28:29]
	global_load_dword v10, v[4:5], off
	v_mov_b32_e32 v8, v3
	v_mov_b32_e32 v9, v3
	;; [unrolled: 1-line block ×6, first 2 shown]
	s_waitcnt vmcnt(1)
	v_mov_b64_e32 v[24:25], v[8:9]
	v_mov_b32_e32 v11, v3
	v_mov_b32_e32 v12, v3
	;; [unrolled: 1-line block ×7, first 2 shown]
	v_mov_b64_e32 v[22:23], v[6:7]
	v_mov_b64_e32 v[20:21], v[4:5]
	;; [unrolled: 1-line block ×3, first 2 shown]
.LBB149_60:                             ;   in Loop: Header=BB149_53 Depth=1
	s_or_b64 exec, exec, s[18:19]
	v_lshl_add_u64 v[4:5], v[90:91], 0, s[14:15]
	v_cmp_gt_i64_e32 vcc, s[8:9], v[4:5]
	s_and_saveexec_b64 s[18:19], vcc
	s_cbranch_execz .LBB149_62
; %bb.61:                               ;   in Loop: Header=BB149_53 Depth=1
	v_lshl_add_u64 v[4:5], v[86:87], 0, v[28:29]
	global_load_dword v19, v[4:5], off
	v_lshl_add_u64 v[4:5], v[88:89], 0, v[28:29]
	global_load_dword v11, v[4:5], off
.LBB149_62:                             ;   in Loop: Header=BB149_53 Depth=1
	s_or_b64 exec, exec, s[18:19]
	v_lshl_add_u64 v[4:5], v[90:91], 0, s[30:31]
	v_cmp_gt_i64_e32 vcc, s[8:9], v[4:5]
	s_and_saveexec_b64 s[18:19], vcc
	s_cbranch_execz .LBB149_64
; %bb.63:                               ;   in Loop: Header=BB149_53 Depth=1
	v_lshl_add_u64 v[4:5], v[82:83], 0, v[28:29]
	global_load_dword v20, v[4:5], off
	v_lshl_add_u64 v[4:5], v[84:85], 0, v[28:29]
	global_load_dword v12, v[4:5], off
.LBB149_64:                             ;   in Loop: Header=BB149_53 Depth=1
	s_or_b64 exec, exec, s[18:19]
	v_lshl_add_u64 v[4:5], v[90:91], 0, s[34:35]
	v_cmp_gt_i64_e32 vcc, s[8:9], v[4:5]
	s_and_saveexec_b64 s[18:19], vcc
	s_cbranch_execz .LBB149_66
; %bb.65:                               ;   in Loop: Header=BB149_53 Depth=1
	v_lshl_add_u64 v[4:5], v[78:79], 0, v[28:29]
	global_load_dword v21, v[4:5], off
	v_lshl_add_u64 v[4:5], v[80:81], 0, v[28:29]
	global_load_dword v13, v[4:5], off
.LBB149_66:                             ;   in Loop: Header=BB149_53 Depth=1
	s_or_b64 exec, exec, s[18:19]
	v_lshl_add_u64 v[4:5], v[90:91], 0, s[36:37]
	v_cmp_gt_i64_e32 vcc, s[8:9], v[4:5]
	s_and_saveexec_b64 s[18:19], vcc
	s_cbranch_execz .LBB149_68
; %bb.67:                               ;   in Loop: Header=BB149_53 Depth=1
	v_lshl_add_u64 v[4:5], v[74:75], 0, v[28:29]
	global_load_dword v22, v[4:5], off
	v_lshl_add_u64 v[4:5], v[76:77], 0, v[28:29]
	global_load_dword v14, v[4:5], off
.LBB149_68:                             ;   in Loop: Header=BB149_53 Depth=1
	s_or_b64 exec, exec, s[18:19]
	v_lshl_add_u64 v[4:5], v[90:91], 0, s[38:39]
	v_cmp_gt_i64_e32 vcc, s[8:9], v[4:5]
	s_and_saveexec_b64 s[18:19], vcc
	s_cbranch_execz .LBB149_70
; %bb.69:                               ;   in Loop: Header=BB149_53 Depth=1
	v_lshl_add_u64 v[4:5], v[70:71], 0, v[28:29]
	global_load_dword v23, v[4:5], off
	v_lshl_add_u64 v[4:5], v[72:73], 0, v[28:29]
	global_load_dword v15, v[4:5], off
.LBB149_70:                             ;   in Loop: Header=BB149_53 Depth=1
	s_or_b64 exec, exec, s[18:19]
	v_lshl_add_u64 v[4:5], v[90:91], 0, s[40:41]
	v_cmp_gt_i64_e32 vcc, s[8:9], v[4:5]
	s_and_saveexec_b64 s[18:19], vcc
	s_cbranch_execz .LBB149_72
; %bb.71:                               ;   in Loop: Header=BB149_53 Depth=1
	v_lshl_add_u64 v[4:5], v[66:67], 0, v[28:29]
	global_load_dword v24, v[4:5], off
	v_lshl_add_u64 v[4:5], v[68:69], 0, v[28:29]
	global_load_dword v16, v[4:5], off
.LBB149_72:                             ;   in Loop: Header=BB149_53 Depth=1
	s_or_b64 exec, exec, s[18:19]
	v_lshl_add_u64 v[4:5], v[90:91], 0, s[42:43]
	v_cmp_gt_i64_e32 vcc, s[8:9], v[4:5]
	s_and_saveexec_b64 s[18:19], vcc
	s_cbranch_execz .LBB149_74
; %bb.73:                               ;   in Loop: Header=BB149_53 Depth=1
	v_lshl_add_u64 v[4:5], v[62:63], 0, v[28:29]
	global_load_dword v25, v[4:5], off
	v_lshl_add_u64 v[4:5], v[64:65], 0, v[28:29]
	global_load_dword v17, v[4:5], off
.LBB149_74:                             ;   in Loop: Header=BB149_53 Depth=1
	s_or_b64 exec, exec, s[18:19]
	s_waitcnt vmcnt(0)
	ds_bpermute_b32 v4, v93, v95
	ds_bpermute_b32 v5, v93, v95 offset:4
	v_pk_mul_f32 v[8:9], v[14:15], v[22:23]
	ds_bpermute_b32 v14, v93, v95 offset:8
	ds_bpermute_b32 v15, v93, v95 offset:12
	v_pk_mul_f32 v[10:11], v[10:11], v[18:19]
	v_pk_mul_f32 v[12:13], v[12:13], v[20:21]
	s_waitcnt lgkmcnt(2)
	v_pk_mul_f32 v[4:5], v[10:11], v[4:5]
	ds_bpermute_b32 v10, v93, v95 offset:16
	ds_bpermute_b32 v11, v93, v95 offset:20
	v_add_f32_e32 v2, v94, v4
	v_add_f32_e32 v2, v2, v5
	s_waitcnt lgkmcnt(2)
	v_pk_mul_f32 v[4:5], v[12:13], v[14:15]
	ds_bpermute_b32 v12, v93, v95 offset:24
	ds_bpermute_b32 v13, v93, v95 offset:28
	v_add_f32_e32 v2, v2, v4
	v_add_f32_e32 v2, v2, v5
	s_waitcnt lgkmcnt(2)
	v_pk_mul_f32 v[4:5], v[8:9], v[10:11]
	v_pk_mul_f32 v[6:7], v[16:17], v[24:25]
	v_add_f32_e32 v2, v2, v4
	v_add_f32_e32 v2, v2, v5
	s_waitcnt lgkmcnt(0)
	v_pk_mul_f32 v[4:5], v[6:7], v[12:13]
	s_nop 0
	v_add_f32_e32 v2, v2, v4
	v_add_f32_e32 v4, v2, v5
	s_branch .LBB149_81
.LBB149_75:                             ;   in Loop: Header=BB149_53 Depth=1
                                        ; implicit-def: $vgpr4
	s_cbranch_execz .LBB149_81
; %bb.76:                               ;   in Loop: Header=BB149_53 Depth=1
	s_load_dword s17, s[4:5], 0x0
	v_mov_b32_e32 v6, 0
	s_waitcnt lgkmcnt(0)
	s_cmp_lt_u32 s2, s17
	s_cselect_b32 s17, 12, 18
	s_add_u32 s18, s4, s17
	s_addc_u32 s19, s5, 0
	global_load_ushort v2, v3, s[18:19]
	s_waitcnt vmcnt(0)
	v_mad_u32_u24 v2, v92, v2, v1
	v_and_b32_e32 v2, 63, v2
	v_cmp_gt_u32_e32 vcc, 8, v2
	s_and_saveexec_b64 s[18:19], vcc
	s_cbranch_execz .LBB149_80
; %bb.77:                               ;   in Loop: Header=BB149_53 Depth=1
	v_lshl_add_u64 v[4:5], v[90:91], 0, v[2:3]
	v_lshl_add_u64 v[4:5], v[4:5], 0, s[12:13]
	v_cmp_gt_i64_e32 vcc, s[8:9], v[4:5]
	v_mov_b32_e32 v6, 0
	s_and_saveexec_b64 s[20:21], vcc
	s_cbranch_execz .LBB149_79
; %bb.78:                               ;   in Loop: Header=BB149_53 Depth=1
	v_lshl_add_u64 v[4:5], v[4:5], 2, s[24:25]
	global_load_dword v6, v[4:5], off
.LBB149_79:                             ;   in Loop: Header=BB149_53 Depth=1
	s_or_b64 exec, exec, s[20:21]
.LBB149_80:                             ;   in Loop: Header=BB149_53 Depth=1
	s_or_b64 exec, exec, s[18:19]
	v_lshl_add_u64 v[4:5], v[58:59], 0, v[28:29]
	v_lshl_add_u64 v[10:11], v[30:31], 0, v[28:29]
	global_load_dword v4, v[4:5], off
	v_lshl_add_u64 v[8:9], v[60:61], 0, v[28:29]
	global_load_dword v5, v[10:11], off
	;; [unrolled: 2-line block ×15, first 2 shown]
	s_waitcnt vmcnt(15)
	ds_bpermute_b32 v24, v93, v6 offset:8
	global_load_dword v21, v[22:23], off
	ds_bpermute_b32 v22, v93, v6
	ds_bpermute_b32 v23, v93, v6 offset:4
	ds_bpermute_b32 v25, v93, v6 offset:12
	;; [unrolled: 1-line block ×6, first 2 shown]
	s_waitcnt vmcnt(12)
	v_pk_mul_f32 v[4:5], v[4:5], v[8:9]
	s_waitcnt lgkmcnt(5)
	v_pk_mul_f32 v[4:5], v[4:5], v[22:23]
	s_waitcnt vmcnt(8)
	v_pk_mul_f32 v[6:7], v[10:11], v[12:13]
	v_add_f32_e32 v2, v94, v4
	s_waitcnt lgkmcnt(4)
	v_pk_mul_f32 v[6:7], v[6:7], v[24:25]
	v_add_f32_e32 v2, v2, v5
	v_add_f32_e32 v2, v2, v6
	;; [unrolled: 1-line block ×3, first 2 shown]
	s_waitcnt vmcnt(4)
	v_pk_mul_f32 v[8:9], v[14:15], v[16:17]
	s_waitcnt lgkmcnt(2)
	v_pk_mul_f32 v[8:9], v[8:9], v[90:91]
	s_waitcnt vmcnt(0)
	v_pk_mul_f32 v[10:11], v[18:19], v[20:21]
	v_add_f32_e32 v2, v2, v8
	v_add_f32_e32 v2, v2, v9
	s_waitcnt lgkmcnt(0)
	v_pk_mul_f32 v[4:5], v[10:11], v[96:97]
	s_nop 0
	v_add_f32_e32 v2, v2, v4
	v_add_f32_e32 v4, v2, v5
.LBB149_81:                             ;   in Loop: Header=BB149_53 Depth=1
	s_add_u32 s26, s26, s3
	s_addc_u32 s27, s27, 0
	v_mov_b64_e32 v[6:7], s[8:9]
	s_add_u32 s6, s6, s3
	v_cmp_ge_i64_e32 vcc, s[26:27], v[6:7]
	s_addc_u32 s7, s7, 0
	v_lshl_add_u64 v[30:31], v[30:31], 0, s[28:29]
	v_lshl_add_u64 v[32:33], v[32:33], 0, s[28:29]
	;; [unrolled: 1-line block ×30, first 2 shown]
	s_cbranch_vccnz .LBB149_83
; %bb.82:                               ;   in Loop: Header=BB149_53 Depth=1
	v_mov_b32_e32 v94, v4
	s_branch .LBB149_53
.LBB149_83:
	v_bfe_u32 v2, v0, 10, 10
	v_and_b32_e32 v5, 0x3ff, v0
	s_movk_i32 s3, 0x41
	v_mad_u32_u24 v0, v2, s3, v5
	v_lshl_add_u32 v0, v0, 2, 0
	v_mov_b32_e32 v1, 0
	ds_write_b32 v0, v4
	ds_write_b32 v0, v1 offset:4160
	v_lshrrev_b32_e32 v0, 6, v5
	v_add_u32_e32 v3, v0, v2
	s_mov_b32 s3, 0
	v_cmp_gt_u32_e32 vcc, 64, v3
	s_waitcnt lgkmcnt(0)
	s_barrier
	s_and_saveexec_b64 s[4:5], vcc
	s_cbranch_execz .LBB149_90
; %bb.84:
	v_mbcnt_lo_u32_b32 v6, -1, 0
	v_mbcnt_hi_u32_b32 v7, -1, v6
	v_and_b32_e32 v4, 63, v5
	v_and_b32_e32 v6, 64, v7
	v_cmp_gt_u32_e32 vcc, 16, v4
	v_add_u32_e32 v8, 64, v6
	v_mul_u32_u24_e32 v9, 0x104, v4
	v_xor_b32_e32 v4, 8, v7
	s_load_dwordx2 s[12:13], s[0:1], 0x30
	s_lshl_b64 s[4:5], s[2:3], 6
	v_cmp_ne_u32_e64 s[0:1], 0, v5
	v_cmp_lt_i32_e64 s[2:3], v4, v8
	v_xor_b32_e32 v5, 4, v7
	v_xor_b32_e32 v6, 2, v7
	v_cndmask_b32_e64 v4, v7, v4, s[2:3]
	v_cmp_lt_i32_e64 s[2:3], v5, v8
	v_xor_b32_e32 v10, 1, v7
	v_lshlrev_b32_e32 v3, 2, v3
	v_cndmask_b32_e64 v5, v7, v5, s[2:3]
	v_cmp_lt_i32_e64 s[2:3], v6, v8
	s_waitcnt lgkmcnt(0)
	s_cmp_eq_u64 s[12:13], 0
	s_mov_b64 s[6:7], 0
	v_cndmask_b32_e64 v6, v7, v6, s[2:3]
	v_cmp_lt_i32_e64 s[2:3], v10, v8
	v_add3_u32 v8, v9, v3, 0
	v_mov_b32_e32 v3, v1
	v_lshl_add_u64 v[0:1], v[0:1], 0, v[2:3]
	v_cndmask_b32_e64 v7, v7, v10, s[2:3]
	v_lshl_add_u64 v[2:3], v[0:1], 0, s[4:5]
	s_cselect_b64 s[8:9], -1, 0
	v_lshlrev_b32_e32 v4, 2, v4
	v_lshlrev_b32_e32 v5, 2, v5
	;; [unrolled: 1-line block ×4, first 2 shown]
	v_lshl_add_u64 v[2:3], v[2:3], 2, s[12:13]
                                        ; implicit-def: $vgpr9
	s_branch .LBB149_86
.LBB149_85:                             ;   in Loop: Header=BB149_86 Depth=1
	s_or_b64 exec, exec, s[2:3]
	v_lshl_add_u64 v[0:1], v[0:1], 0, 16
	v_add_u32_e32 v10, -16, v0
	v_cmp_lt_u32_e64 s[2:3], 47, v10
	v_add_u32_e32 v8, 64, v8
	s_or_b64 s[6:7], s[2:3], s[6:7]
	v_lshl_add_u64 v[2:3], v[2:3], 0, 64
	s_andn2_b64 exec, exec, s[6:7]
	s_cbranch_execz .LBB149_90
.LBB149_86:                             ; =>This Inner Loop Header: Depth=1
	s_and_saveexec_b64 s[2:3], vcc
	s_cbranch_execz .LBB149_88
; %bb.87:                               ;   in Loop: Header=BB149_86 Depth=1
	ds_read_b32 v9, v8
.LBB149_88:                             ;   in Loop: Header=BB149_86 Depth=1
	s_or_b64 exec, exec, s[2:3]
	s_waitcnt lgkmcnt(0)
	ds_bpermute_b32 v10, v4, v9
	s_waitcnt lgkmcnt(0)
	v_add_f32_e32 v9, v9, v10
	ds_bpermute_b32 v10, v5, v9
	s_waitcnt lgkmcnt(0)
	v_add_f32_e32 v9, v9, v10
	;; [unrolled: 3-line block ×3, first 2 shown]
	ds_bpermute_b32 v12, v7, v9
	v_lshl_add_u64 v[10:11], s[4:5], 0, v[0:1]
	v_cmp_le_i64_e64 s[2:3], s[10:11], v[10:11]
	s_or_b64 s[2:3], s[0:1], s[2:3]
	s_or_b64 s[2:3], s[8:9], s[2:3]
	s_waitcnt lgkmcnt(0)
	v_add_f32_e32 v9, v9, v12
	s_xor_b64 s[12:13], s[2:3], -1
	s_and_saveexec_b64 s[2:3], s[12:13]
	s_cbranch_execz .LBB149_85
; %bb.89:                               ;   in Loop: Header=BB149_86 Depth=1
	global_store_dword v[2:3], v9, off
	s_branch .LBB149_85
.LBB149_90:
	s_endpgm
	.section	.rodata,"a",@progbits
	.p2align	6, 0x0
	.amdhsa_kernel _ZN2at6native12_GLOBAL__N_135GammaBetaBackwardCUDAKernelTemplateIffLj64ELj16ELj128ELb0ELb0ELb1EEEvllPKT_S5_PKT0_S8_PS3_S9_
		.amdhsa_group_segment_fixed_size 0
		.amdhsa_private_segment_fixed_size 0
		.amdhsa_kernarg_size 320
		.amdhsa_user_sgpr_count 2
		.amdhsa_user_sgpr_dispatch_ptr 0
		.amdhsa_user_sgpr_queue_ptr 0
		.amdhsa_user_sgpr_kernarg_segment_ptr 1
		.amdhsa_user_sgpr_dispatch_id 0
		.amdhsa_user_sgpr_kernarg_preload_length 0
		.amdhsa_user_sgpr_kernarg_preload_offset 0
		.amdhsa_user_sgpr_private_segment_size 0
		.amdhsa_uses_dynamic_stack 0
		.amdhsa_enable_private_segment 0
		.amdhsa_system_sgpr_workgroup_id_x 1
		.amdhsa_system_sgpr_workgroup_id_y 1
		.amdhsa_system_sgpr_workgroup_id_z 0
		.amdhsa_system_sgpr_workgroup_info 0
		.amdhsa_system_vgpr_workitem_id 1
		.amdhsa_next_free_vgpr 98
		.amdhsa_next_free_sgpr 56
		.amdhsa_accum_offset 100
		.amdhsa_reserve_vcc 1
		.amdhsa_float_round_mode_32 0
		.amdhsa_float_round_mode_16_64 0
		.amdhsa_float_denorm_mode_32 3
		.amdhsa_float_denorm_mode_16_64 3
		.amdhsa_dx10_clamp 1
		.amdhsa_ieee_mode 1
		.amdhsa_fp16_overflow 0
		.amdhsa_tg_split 0
		.amdhsa_exception_fp_ieee_invalid_op 0
		.amdhsa_exception_fp_denorm_src 0
		.amdhsa_exception_fp_ieee_div_zero 0
		.amdhsa_exception_fp_ieee_overflow 0
		.amdhsa_exception_fp_ieee_underflow 0
		.amdhsa_exception_fp_ieee_inexact 0
		.amdhsa_exception_int_div_zero 0
	.end_amdhsa_kernel
	.section	.text._ZN2at6native12_GLOBAL__N_135GammaBetaBackwardCUDAKernelTemplateIffLj64ELj16ELj128ELb0ELb0ELb1EEEvllPKT_S5_PKT0_S8_PS3_S9_,"axG",@progbits,_ZN2at6native12_GLOBAL__N_135GammaBetaBackwardCUDAKernelTemplateIffLj64ELj16ELj128ELb0ELb0ELb1EEEvllPKT_S5_PKT0_S8_PS3_S9_,comdat
.Lfunc_end149:
	.size	_ZN2at6native12_GLOBAL__N_135GammaBetaBackwardCUDAKernelTemplateIffLj64ELj16ELj128ELb0ELb0ELb1EEEvllPKT_S5_PKT0_S8_PS3_S9_, .Lfunc_end149-_ZN2at6native12_GLOBAL__N_135GammaBetaBackwardCUDAKernelTemplateIffLj64ELj16ELj128ELb0ELb0ELb1EEEvllPKT_S5_PKT0_S8_PS3_S9_
                                        ; -- End function
	.section	.AMDGPU.csdata,"",@progbits
; Kernel info:
; codeLenInByte = 6172
; NumSgprs: 62
; NumVgprs: 98
; NumAgprs: 0
; TotalNumVgprs: 98
; ScratchSize: 0
; MemoryBound: 0
; FloatMode: 240
; IeeeMode: 1
; LDSByteSize: 0 bytes/workgroup (compile time only)
; SGPRBlocks: 7
; VGPRBlocks: 12
; NumSGPRsForWavesPerEU: 62
; NumVGPRsForWavesPerEU: 98
; AccumOffset: 100
; Occupancy: 4
; WaveLimiterHint : 0
; COMPUTE_PGM_RSRC2:SCRATCH_EN: 0
; COMPUTE_PGM_RSRC2:USER_SGPR: 2
; COMPUTE_PGM_RSRC2:TRAP_HANDLER: 0
; COMPUTE_PGM_RSRC2:TGID_X_EN: 1
; COMPUTE_PGM_RSRC2:TGID_Y_EN: 1
; COMPUTE_PGM_RSRC2:TGID_Z_EN: 0
; COMPUTE_PGM_RSRC2:TIDIG_COMP_CNT: 1
; COMPUTE_PGM_RSRC3_GFX90A:ACCUM_OFFSET: 24
; COMPUTE_PGM_RSRC3_GFX90A:TG_SPLIT: 0
	.section	.text._ZN2at6native12_GLOBAL__N_135GammaBetaBackwardCUDAKernelTemplateIffLj64ELj16ELj256ELb0ELb1ELb1EEEvllPKT_S5_PKT0_S8_PS3_S9_,"axG",@progbits,_ZN2at6native12_GLOBAL__N_135GammaBetaBackwardCUDAKernelTemplateIffLj64ELj16ELj256ELb0ELb1ELb1EEEvllPKT_S5_PKT0_S8_PS3_S9_,comdat
	.globl	_ZN2at6native12_GLOBAL__N_135GammaBetaBackwardCUDAKernelTemplateIffLj64ELj16ELj256ELb0ELb1ELb1EEEvllPKT_S5_PKT0_S8_PS3_S9_ ; -- Begin function _ZN2at6native12_GLOBAL__N_135GammaBetaBackwardCUDAKernelTemplateIffLj64ELj16ELj256ELb0ELb1ELb1EEEvllPKT_S5_PKT0_S8_PS3_S9_
	.p2align	8
	.type	_ZN2at6native12_GLOBAL__N_135GammaBetaBackwardCUDAKernelTemplateIffLj64ELj16ELj256ELb0ELb1ELb1EEEvllPKT_S5_PKT0_S8_PS3_S9_,@function
_ZN2at6native12_GLOBAL__N_135GammaBetaBackwardCUDAKernelTemplateIffLj64ELj16ELj256ELb0ELb1ELb1EEEvllPKT_S5_PKT0_S8_PS3_S9_: ; @_ZN2at6native12_GLOBAL__N_135GammaBetaBackwardCUDAKernelTemplateIffLj64ELj16ELj256ELb0ELb1ELb1EEEvllPKT_S5_PKT0_S8_PS3_S9_
; %bb.0:
	s_load_dwordx4 s[4:7], s[0:1], 0x0
	s_lshl_b32 s14, s3, 8
	s_mov_b32 s15, 0
	v_bfe_u32 v36, v0, 10, 10
	s_waitcnt lgkmcnt(0)
	v_mov_b64_e32 v[2:3], s[4:5]
	v_cmp_lt_i64_e32 vcc, s[14:15], v[2:3]
	s_cbranch_vccnz .LBB150_2
; %bb.1:
	s_mov_b64 s[8:9], 0
	v_bfe_u32 v2, v0, 10, 10
	s_branch .LBB150_3
.LBB150_2:
	s_mov_b64 s[8:9], -1
                                        ; implicit-def: $vgpr2
.LBB150_3:
	s_load_dwordx2 s[12:13], s[0:1], 0x30
	v_and_b32_e32 v34, 0x3ff, v0
	s_andn2_b64 vcc, exec, s[8:9]
	v_mov_b32_e32 v1, s15
	v_mbcnt_lo_u32_b32 v35, -1, 0
	s_cbranch_vccnz .LBB150_11
; %bb.4:
	s_load_dword s3, s[0:1], 0x4c
	s_load_dword s16, s[0:1], 0x44
	s_load_dwordx2 s[18:19], s[0:1], 0x28
	s_load_dwordx4 s[8:11], s[0:1], 0x10
	v_lshlrev_b32_e32 v0, 4, v36
	s_waitcnt lgkmcnt(0)
	s_and_b32 s0, s3, 0xffff
	v_mad_u32_u24 v1, v36, s0, v34
	v_and_b32_e32 v2, 63, v1
	v_mov_b32_e32 v1, 0
	v_mov_b32_e32 v3, v1
	v_lshl_add_u64 v[8:9], v[0:1], 0, s[14:15]
	v_cmp_gt_u32_e64 s[0:1], 16, v2
	v_mbcnt_hi_u32_b32 v4, -1, v35
	s_lshl_b32 s16, s16, 8
	v_lshl_add_u64 v[2:3], v[8:9], 0, v[2:3]
	v_mul_lo_u32 v0, s7, v8
	v_mul_lo_u32 v10, s6, v9
	v_mad_u64_u32 v[8:9], s[20:21], s6, v8, 0
	v_lshl_add_u32 v6, s2, 6, v34
	v_mov_b32_e32 v7, v1
	v_lshlrev_b32_e32 v4, 2, v4
	s_mul_i32 s3, s7, s16
	s_mul_hi_u32 s20, s6, s16
	s_mov_b32 s17, 0
	v_and_b32_e32 v37, 0x100, v4
	v_add3_u32 v9, v9, v10, v0
	v_lshlrev_b64 v[6:7], 2, v[6:7]
	s_add_i32 s21, s20, s3
	s_mul_i32 s20, s6, s16
	v_or_b32_e32 v38, 4, v37
	v_or_b32_e32 v39, 8, v37
	;; [unrolled: 1-line block ×15, first 2 shown]
	v_lshl_add_u64 v[4:5], v[2:3], 2, s[18:19]
	s_lshl_b64 s[18:19], s[16:17], 2
	v_lshl_add_u64 v[6:7], v[8:9], 2, v[6:7]
	s_lshl_b64 s[20:21], s[20:21], 2
	s_lshl_b64 s[6:7], s[6:7], 2
	v_mov_b64_e32 v[8:9], s[4:5]
	s_branch .LBB150_7
.LBB150_5:                              ;   in Loop: Header=BB150_7 Depth=1
	s_or_b64 exec, exec, s[24:25]
.LBB150_6:                              ;   in Loop: Header=BB150_7 Depth=1
	s_or_b64 exec, exec, s[22:23]
	v_lshl_add_u64 v[20:21], s[8:9], 0, v[6:7]
	v_lshl_add_u64 v[24:25], v[20:21], 0, s[6:7]
	;; [unrolled: 1-line block ×5, first 2 shown]
	global_load_dword v12, v[10:11], off
	v_lshl_add_u64 v[10:11], v[10:11], 0, s[6:7]
	global_load_dword v13, v[10:11], off
	v_lshl_add_u64 v[10:11], v[10:11], 0, s[6:7]
	v_lshl_add_u64 v[22:23], s[10:11], 0, v[6:7]
	global_load_dword v14, v[10:11], off
	v_lshl_add_u64 v[10:11], v[10:11], 0, s[6:7]
	;; [unrolled: 3-line block ×4, first 2 shown]
	v_lshl_add_u64 v[56:57], v[32:33], 0, s[6:7]
	v_lshl_add_u64 v[18:19], v[10:11], 0, s[6:7]
	;; [unrolled: 1-line block ×3, first 2 shown]
	global_load_dword v17, v[10:11], off
	s_waitcnt vmcnt(6)
	ds_bpermute_b32 v69, v39, v0
	global_load_dword v10, v[18:19], off
	v_lshl_add_u64 v[18:19], v[18:19], 0, s[6:7]
	global_load_dword v11, v[18:19], off
	v_lshl_add_u64 v[60:61], v[18:19], 0, s[6:7]
	global_load_dword v53, v[20:21], off
	global_load_dword v62, v[22:23], off
	;; [unrolled: 1-line block ×4, first 2 shown]
	v_lshl_add_u64 v[20:21], v[58:59], 0, s[6:7]
	global_load_dword v63, v[24:25], off
	global_load_dword v64, v[28:29], off
	;; [unrolled: 1-line block ×7, first 2 shown]
	v_lshl_add_u64 v[20:21], v[20:21], 0, s[6:7]
	global_load_dword v32, v[20:21], off
	v_lshl_add_u64 v[20:21], v[20:21], 0, s[6:7]
	global_load_dword v33, v[20:21], off
	;; [unrolled: 2-line block ×4, first 2 shown]
	v_lshl_add_u64 v[20:21], v[20:21], 0, s[6:7]
	v_lshl_add_u64 v[24:25], v[20:21], 0, s[6:7]
	global_load_dword v28, v[20:21], off
	global_load_dword v29, v[24:25], off
	v_lshl_add_u64 v[54:55], v[24:25], 0, s[6:7]
	v_lshl_add_u64 v[22:23], v[60:61], 0, s[6:7]
	global_load_dword v24, v[54:55], off
	v_lshl_add_u64 v[54:55], v[54:55], 0, s[6:7]
	global_load_dword v19, v[22:23], off
	;; [unrolled: 2-line block ×3, first 2 shown]
	global_load_dword v20, v[22:23], off
	v_lshl_add_u64 v[22:23], v[22:23], 0, s[6:7]
	v_lshl_add_u64 v[54:55], v[54:55], 0, s[6:7]
	global_load_dword v21, v[22:23], off
	ds_bpermute_b32 v60, v37, v0
	global_load_dword v22, v[54:55], off
	v_lshl_add_u64 v[54:55], v[54:55], 0, s[6:7]
	global_load_dword v23, v[54:55], off
	ds_bpermute_b32 v61, v38, v0
	ds_bpermute_b32 v70, v40, v0
	;; [unrolled: 1-line block ×8, first 2 shown]
	s_add_u32 s14, s14, s16
	s_addc_u32 s15, s15, 0
	v_cmp_lt_i64_e32 vcc, s[14:15], v[8:9]
	v_lshl_add_u64 v[4:5], v[4:5], 0, s[18:19]
	v_lshl_add_u64 v[2:3], v[2:3], 0, s[16:17]
	;; [unrolled: 1-line block ×3, first 2 shown]
	s_and_b64 vcc, exec, vcc
	s_waitcnt vmcnt(22)
	v_mul_f32_e32 v53, v53, v62
	s_waitcnt lgkmcnt(8)
	v_fmac_f32_e32 v1, v53, v60
	s_waitcnt vmcnt(18)
	v_mul_f32_e32 v53, v63, v64
	s_waitcnt lgkmcnt(7)
	v_fmac_f32_e32 v1, v53, v61
	s_waitcnt vmcnt(16)
	v_mul_f32_e32 v53, v65, v66
	v_fmac_f32_e32 v1, v53, v69
	s_waitcnt vmcnt(14)
	v_mul_f32_e32 v53, v67, v68
	s_waitcnt vmcnt(13)
	v_pk_mul_f32 v[12:13], v[12:13], v[26:27]
	s_waitcnt lgkmcnt(6)
	v_fmac_f32_e32 v1, v53, v70
	s_waitcnt lgkmcnt(4)
	v_pk_mul_f32 v[12:13], v[12:13], v[54:55]
	s_waitcnt vmcnt(11)
	v_pk_mul_f32 v[14:15], v[14:15], v[32:33]
	v_add_f32_e32 v1, v1, v12
	v_add_f32_e32 v1, v1, v13
	s_waitcnt lgkmcnt(2)
	v_pk_mul_f32 v[12:13], v[14:15], v[56:57]
	ds_bpermute_b32 v60, v47, v0
	v_add_f32_e32 v1, v1, v12
	s_waitcnt vmcnt(9)
	v_pk_mul_f32 v[14:15], v[16:17], v[30:31]
	ds_bpermute_b32 v61, v48, v0
	v_add_f32_e32 v1, v1, v13
	s_waitcnt lgkmcnt(2)
	v_pk_mul_f32 v[12:13], v[14:15], v[58:59]
	s_waitcnt vmcnt(7)
	v_pk_mul_f32 v[10:11], v[10:11], v[28:29]
	v_add_f32_e32 v1, v1, v12
	v_add_f32_e32 v1, v1, v13
	ds_bpermute_b32 v12, v49, v0
	ds_bpermute_b32 v13, v50, v0
	s_waitcnt lgkmcnt(2)
	v_pk_mul_f32 v[10:11], v[10:11], v[60:61]
	ds_bpermute_b32 v14, v51, v0
	v_add_f32_e32 v1, v1, v10
	ds_bpermute_b32 v15, v52, v0
	v_add_f32_e32 v16, v1, v11
	s_waitcnt vmcnt(4)
	v_pk_mul_f32 v[10:11], v[18:19], v[24:25]
	s_waitcnt lgkmcnt(2)
	v_pk_mul_f32 v[0:1], v[10:11], v[12:13]
	s_nop 0
	v_add_f32_e32 v0, v16, v0
	v_add_f32_e32 v10, v0, v1
	s_waitcnt vmcnt(0)
	v_pk_mul_f32 v[0:1], v[20:21], v[22:23]
	s_waitcnt lgkmcnt(0)
	v_pk_mul_f32 v[0:1], v[0:1], v[14:15]
	s_nop 0
	v_add_f32_e32 v0, v10, v0
	v_add_f32_e32 v1, v0, v1
	s_cbranch_vccz .LBB150_10
.LBB150_7:                              ; =>This Inner Loop Header: Depth=1
	v_mov_b32_e32 v0, 0
	s_and_saveexec_b64 s[22:23], s[0:1]
	s_cbranch_execz .LBB150_6
; %bb.8:                                ;   in Loop: Header=BB150_7 Depth=1
	v_cmp_gt_i64_e32 vcc, s[4:5], v[2:3]
	v_mov_b32_e32 v0, 0
	s_and_saveexec_b64 s[24:25], vcc
	s_cbranch_execz .LBB150_5
; %bb.9:                                ;   in Loop: Header=BB150_7 Depth=1
	global_load_dword v0, v[4:5], off
	s_branch .LBB150_5
.LBB150_10:
	v_mov_b32_e32 v2, v36
.LBB150_11:
	s_movk_i32 s0, 0x41
	v_mad_u32_u24 v0, v2, s0, v34
	v_lshl_add_u32 v0, v0, 2, 0
	ds_write_b32 v0, v1
	v_mov_b32_e32 v1, 0
	ds_write_b32 v0, v1 offset:4160
	v_lshrrev_b32_e32 v0, 6, v34
	v_add_u32_e32 v3, v0, v2
	s_mov_b32 s3, 0
	v_cmp_gt_u32_e32 vcc, 64, v3
	s_waitcnt lgkmcnt(0)
	s_barrier
	s_and_saveexec_b64 s[0:1], vcc
	s_cbranch_execz .LBB150_18
; %bb.12:
	v_mbcnt_hi_u32_b32 v7, -1, v35
	v_and_b32_e32 v4, 63, v34
	v_and_b32_e32 v5, 64, v7
	s_cmp_lg_u64 s[12:13], 0
	v_cmp_gt_u32_e32 vcc, 16, v4
	v_add_u32_e32 v8, 64, v5
	v_cmp_eq_u32_e64 s[0:1], 0, v34
	s_cselect_b64 s[6:7], -1, 0
	v_mul_u32_u24_e32 v9, 0x104, v4
	v_xor_b32_e32 v4, 8, v7
	s_and_b64 s[6:7], s[0:1], s[6:7]
	v_cmp_lt_i32_e64 s[0:1], v4, v8
	v_xor_b32_e32 v5, 4, v7
	v_xor_b32_e32 v6, 2, v7
	v_cndmask_b32_e64 v4, v7, v4, s[0:1]
	v_cmp_lt_i32_e64 s[0:1], v5, v8
	v_xor_b32_e32 v10, 1, v7
	s_mov_b64 s[4:5], 0
	v_cndmask_b32_e64 v5, v7, v5, s[0:1]
	v_cmp_lt_i32_e64 s[0:1], v6, v8
	v_lshlrev_b32_e32 v4, 2, v4
	v_lshlrev_b32_e32 v5, 2, v5
	v_cndmask_b32_e64 v6, v7, v6, s[0:1]
	v_cmp_lt_i32_e64 s[0:1], v10, v8
	v_lshlrev_b32_e32 v8, 2, v3
	v_add3_u32 v8, v9, v8, 0
	v_cndmask_b32_e64 v7, v7, v10, s[0:1]
	s_lshl_b64 s[0:1], s[2:3], 8
	v_add_u32_e32 v9, -16, v3
	v_mov_b32_e32 v3, v1
	s_add_u32 s0, s12, s0
	v_lshl_add_u64 v[0:1], v[0:1], 0, v[2:3]
	s_addc_u32 s1, s13, s1
	v_lshlrev_b32_e32 v6, 2, v6
	v_lshlrev_b32_e32 v7, 2, v7
	v_lshl_add_u64 v[0:1], v[0:1], 2, s[0:1]
                                        ; implicit-def: $vgpr2
	s_branch .LBB150_14
.LBB150_13:                             ;   in Loop: Header=BB150_14 Depth=1
	s_or_b64 exec, exec, s[0:1]
	v_add_u32_e32 v9, 16, v9
	v_cmp_lt_u32_e64 s[0:1], 47, v9
	v_add_u32_e32 v8, 64, v8
	s_or_b64 s[4:5], s[0:1], s[4:5]
	v_lshl_add_u64 v[0:1], v[0:1], 0, 64
	s_andn2_b64 exec, exec, s[4:5]
	s_cbranch_execz .LBB150_18
.LBB150_14:                             ; =>This Inner Loop Header: Depth=1
	s_and_saveexec_b64 s[0:1], vcc
	s_cbranch_execz .LBB150_16
; %bb.15:                               ;   in Loop: Header=BB150_14 Depth=1
	ds_read_b32 v2, v8
.LBB150_16:                             ;   in Loop: Header=BB150_14 Depth=1
	s_or_b64 exec, exec, s[0:1]
	s_waitcnt lgkmcnt(0)
	ds_bpermute_b32 v3, v4, v2
	s_waitcnt lgkmcnt(0)
	v_add_f32_e32 v2, v2, v3
	ds_bpermute_b32 v3, v5, v2
	s_waitcnt lgkmcnt(0)
	v_add_f32_e32 v2, v2, v3
	;; [unrolled: 3-line block ×4, first 2 shown]
	s_and_saveexec_b64 s[0:1], s[6:7]
	s_cbranch_execz .LBB150_13
; %bb.17:                               ;   in Loop: Header=BB150_14 Depth=1
	global_store_dword v[0:1], v2, off
	s_branch .LBB150_13
.LBB150_18:
	s_endpgm
	.section	.rodata,"a",@progbits
	.p2align	6, 0x0
	.amdhsa_kernel _ZN2at6native12_GLOBAL__N_135GammaBetaBackwardCUDAKernelTemplateIffLj64ELj16ELj256ELb0ELb1ELb1EEEvllPKT_S5_PKT0_S8_PS3_S9_
		.amdhsa_group_segment_fixed_size 0
		.amdhsa_private_segment_fixed_size 0
		.amdhsa_kernarg_size 320
		.amdhsa_user_sgpr_count 2
		.amdhsa_user_sgpr_dispatch_ptr 0
		.amdhsa_user_sgpr_queue_ptr 0
		.amdhsa_user_sgpr_kernarg_segment_ptr 1
		.amdhsa_user_sgpr_dispatch_id 0
		.amdhsa_user_sgpr_kernarg_preload_length 0
		.amdhsa_user_sgpr_kernarg_preload_offset 0
		.amdhsa_user_sgpr_private_segment_size 0
		.amdhsa_uses_dynamic_stack 0
		.amdhsa_enable_private_segment 0
		.amdhsa_system_sgpr_workgroup_id_x 1
		.amdhsa_system_sgpr_workgroup_id_y 1
		.amdhsa_system_sgpr_workgroup_id_z 0
		.amdhsa_system_sgpr_workgroup_info 0
		.amdhsa_system_vgpr_workitem_id 1
		.amdhsa_next_free_vgpr 71
		.amdhsa_next_free_sgpr 26
		.amdhsa_accum_offset 72
		.amdhsa_reserve_vcc 1
		.amdhsa_float_round_mode_32 0
		.amdhsa_float_round_mode_16_64 0
		.amdhsa_float_denorm_mode_32 3
		.amdhsa_float_denorm_mode_16_64 3
		.amdhsa_dx10_clamp 1
		.amdhsa_ieee_mode 1
		.amdhsa_fp16_overflow 0
		.amdhsa_tg_split 0
		.amdhsa_exception_fp_ieee_invalid_op 0
		.amdhsa_exception_fp_denorm_src 0
		.amdhsa_exception_fp_ieee_div_zero 0
		.amdhsa_exception_fp_ieee_overflow 0
		.amdhsa_exception_fp_ieee_underflow 0
		.amdhsa_exception_fp_ieee_inexact 0
		.amdhsa_exception_int_div_zero 0
	.end_amdhsa_kernel
	.section	.text._ZN2at6native12_GLOBAL__N_135GammaBetaBackwardCUDAKernelTemplateIffLj64ELj16ELj256ELb0ELb1ELb1EEEvllPKT_S5_PKT0_S8_PS3_S9_,"axG",@progbits,_ZN2at6native12_GLOBAL__N_135GammaBetaBackwardCUDAKernelTemplateIffLj64ELj16ELj256ELb0ELb1ELb1EEEvllPKT_S5_PKT0_S8_PS3_S9_,comdat
.Lfunc_end150:
	.size	_ZN2at6native12_GLOBAL__N_135GammaBetaBackwardCUDAKernelTemplateIffLj64ELj16ELj256ELb0ELb1ELb1EEEvllPKT_S5_PKT0_S8_PS3_S9_, .Lfunc_end150-_ZN2at6native12_GLOBAL__N_135GammaBetaBackwardCUDAKernelTemplateIffLj64ELj16ELj256ELb0ELb1ELb1EEEvllPKT_S5_PKT0_S8_PS3_S9_
                                        ; -- End function
	.section	.AMDGPU.csdata,"",@progbits
; Kernel info:
; codeLenInByte = 1808
; NumSgprs: 32
; NumVgprs: 71
; NumAgprs: 0
; TotalNumVgprs: 71
; ScratchSize: 0
; MemoryBound: 0
; FloatMode: 240
; IeeeMode: 1
; LDSByteSize: 0 bytes/workgroup (compile time only)
; SGPRBlocks: 3
; VGPRBlocks: 8
; NumSGPRsForWavesPerEU: 32
; NumVGPRsForWavesPerEU: 71
; AccumOffset: 72
; Occupancy: 7
; WaveLimiterHint : 0
; COMPUTE_PGM_RSRC2:SCRATCH_EN: 0
; COMPUTE_PGM_RSRC2:USER_SGPR: 2
; COMPUTE_PGM_RSRC2:TRAP_HANDLER: 0
; COMPUTE_PGM_RSRC2:TGID_X_EN: 1
; COMPUTE_PGM_RSRC2:TGID_Y_EN: 1
; COMPUTE_PGM_RSRC2:TGID_Z_EN: 0
; COMPUTE_PGM_RSRC2:TIDIG_COMP_CNT: 1
; COMPUTE_PGM_RSRC3_GFX90A:ACCUM_OFFSET: 17
; COMPUTE_PGM_RSRC3_GFX90A:TG_SPLIT: 0
	.section	.text._ZN2at6native12_GLOBAL__N_135GammaBetaBackwardCUDAKernelTemplateIffLj64ELj16ELj256ELb0ELb0ELb1EEEvllPKT_S5_PKT0_S8_PS3_S9_,"axG",@progbits,_ZN2at6native12_GLOBAL__N_135GammaBetaBackwardCUDAKernelTemplateIffLj64ELj16ELj256ELb0ELb0ELb1EEEvllPKT_S5_PKT0_S8_PS3_S9_,comdat
	.globl	_ZN2at6native12_GLOBAL__N_135GammaBetaBackwardCUDAKernelTemplateIffLj64ELj16ELj256ELb0ELb0ELb1EEEvllPKT_S5_PKT0_S8_PS3_S9_ ; -- Begin function _ZN2at6native12_GLOBAL__N_135GammaBetaBackwardCUDAKernelTemplateIffLj64ELj16ELj256ELb0ELb0ELb1EEEvllPKT_S5_PKT0_S8_PS3_S9_
	.p2align	8
	.type	_ZN2at6native12_GLOBAL__N_135GammaBetaBackwardCUDAKernelTemplateIffLj64ELj16ELj256ELb0ELb0ELb1EEEvllPKT_S5_PKT0_S8_PS3_S9_,@function
_ZN2at6native12_GLOBAL__N_135GammaBetaBackwardCUDAKernelTemplateIffLj64ELj16ELj256ELb0ELb0ELb1EEEvllPKT_S5_PKT0_S8_PS3_S9_: ; @_ZN2at6native12_GLOBAL__N_135GammaBetaBackwardCUDAKernelTemplateIffLj64ELj16ELj256ELb0ELb0ELb1EEEvllPKT_S5_PKT0_S8_PS3_S9_
; %bb.0:
	s_load_dwordx8 s[24:31], s[0:1], 0x0
	s_load_dwordx2 s[34:35], s[0:1], 0x28
	s_lshl_b32 s33, s2, 6
	v_mov_b32_e32 v103, v0
	s_or_b32 s36, s33, 63
	s_mov_b32 s37, 0
	s_waitcnt lgkmcnt(0)
	v_mov_b64_e32 v[0:1], s[26:27]
	v_cmp_ge_i64_e32 vcc, s[36:37], v[0:1]
	s_lshl_b32 s36, s3, 8
	v_mov_b64_e32 v[0:1], s[24:25]
	v_cmp_lt_i64_e64 s[4:5], s[36:37], v[0:1]
	s_nop 1
	v_cndmask_b32_e64 v0, 0, 1, s[4:5]
	v_cmp_ne_u32_e64 s[4:5], 1, v0
	s_cbranch_vccz .LBB151_81
; %bb.1:
	s_and_b64 vcc, exec, s[4:5]
	v_mov_b32_e32 v2, 0
	s_cbranch_vccnz .LBB151_83
; %bb.2:
	v_mov_b32_e32 v3, 0
	v_bfe_u32 v119, v103, 10, 10
	s_load_dword s3, s[0:1], 0x44
	v_lshlrev_b32_e32 v50, 4, v119
	v_mov_b32_e32 v51, v3
	v_and_b32_e32 v118, 0x3ff, v103
	v_lshl_add_u64 v[0:1], v[50:51], 0, s[36:37]
	v_add_u32_e32 v2, s33, v118
	v_lshl_add_u64 v[4:5], v[0:1], 0, 15
	s_add_u32 s38, s0, 64
	v_cmp_gt_i64_e64 s[6:7], s[26:27], v[2:3]
	v_lshlrev_b64 v[52:53], 2, v[2:3]
	v_mul_lo_u32 v2, s27, v4
	v_mul_lo_u32 v6, s26, v5
	v_mad_u64_u32 v[4:5], s[10:11], s26, v4, 0
	s_addc_u32 s39, s1, 0
	s_waitcnt lgkmcnt(0)
	s_lshl_b32 s3, s3, 8
	v_add3_u32 v5, v5, v6, v2
	v_lshlrev_b64 v[4:5], 2, v[4:5]
	s_mul_i32 s9, s27, s3
	s_mul_hi_u32 s10, s26, s3
	v_lshl_add_u64 v[54:55], s[28:29], 0, v[4:5]
	s_add_i32 s11, s10, s9
	s_mul_i32 s10, s26, s3
	v_lshl_add_u64 v[56:57], s[30:31], 0, v[4:5]
	v_lshl_add_u64 v[4:5], v[0:1], 0, 14
	s_lshl_b64 s[40:41], s[10:11], 2
	v_mul_lo_u32 v2, s27, v4
	v_mul_lo_u32 v6, s26, v5
	v_mad_u64_u32 v[4:5], s[10:11], s26, v4, 0
	v_add3_u32 v5, v5, v6, v2
	v_lshlrev_b64 v[4:5], 2, v[4:5]
	v_lshl_add_u64 v[58:59], s[28:29], 0, v[4:5]
	v_lshl_add_u64 v[60:61], s[30:31], 0, v[4:5]
	v_lshl_add_u64 v[4:5], v[0:1], 0, 13
	v_mul_lo_u32 v2, s27, v4
	v_mul_lo_u32 v6, s26, v5
	v_mad_u64_u32 v[4:5], s[10:11], s26, v4, 0
	v_add3_u32 v5, v5, v6, v2
	v_lshlrev_b64 v[4:5], 2, v[4:5]
	v_lshl_add_u64 v[62:63], s[28:29], 0, v[4:5]
	v_lshl_add_u64 v[64:65], s[30:31], 0, v[4:5]
	v_lshl_add_u64 v[4:5], v[0:1], 0, 12
	;; [unrolled: 8-line block ×11, first 2 shown]
	v_mul_lo_u32 v2, s27, v4
	v_mul_lo_u32 v6, s26, v5
	v_mad_u64_u32 v[4:5], s[10:11], s26, v4, 0
	v_add3_u32 v5, v5, v6, v2
	v_lshlrev_b64 v[4:5], 2, v[4:5]
	v_mov_b32_e32 v123, v103
	v_lshl_add_u64 v[102:103], s[28:29], 0, v[4:5]
	v_lshl_add_u64 v[104:105], s[30:31], 0, v[4:5]
	;; [unrolled: 1-line block ×3, first 2 shown]
	v_mul_lo_u32 v2, s27, v4
	v_mul_lo_u32 v6, s26, v5
	v_mad_u64_u32 v[4:5], s[10:11], s26, v4, 0
	v_add3_u32 v5, v5, v6, v2
	v_lshlrev_b64 v[4:5], 2, v[4:5]
	v_lshl_add_u64 v[106:107], s[28:29], 0, v[4:5]
	v_lshl_add_u64 v[108:109], s[30:31], 0, v[4:5]
	v_mov_b64_e32 v[4:5], s[26:27]
	v_mad_u64_u32 v[4:5], s[10:11], s26, v0, v[4:5]
	v_mul_lo_u32 v2, s26, v1
	v_mul_lo_u32 v6, s27, v0
	v_mad_u64_u32 v[0:1], s[10:11], s26, v0, 0
	v_add3_u32 v5, v6, v5, v2
	v_add3_u32 v1, v1, v2, v6
	v_mbcnt_lo_u32_b32 v2, -1, 0
	v_lshlrev_b64 v[4:5], 2, v[4:5]
	v_mbcnt_hi_u32_b32 v2, -1, v2
	v_lshl_add_u64 v[110:111], s[28:29], 0, v[4:5]
	v_lshl_add_u64 v[112:113], s[30:31], 0, v[4:5]
	s_add_u32 s42, s36, 0xff
	v_lshlrev_b64 v[4:5], 2, v[0:1]
	s_movk_i32 s44, 0xff01
	s_movk_i32 s46, 0xff02
	s_movk_i32 s48, 0xff03
	s_movk_i32 s50, 0xff04
	s_movk_i32 s52, 0xff05
	s_movk_i32 s54, 0xff06
	s_movk_i32 s56, 0xff07
	s_movk_i32 s58, 0xff08
	s_movk_i32 s60, 0xff09
	s_movk_i32 s62, 0xff0a
	s_movk_i32 s64, 0xff0b
	s_movk_i32 s66, 0xff0c
	s_movk_i32 s68, 0xff0d
	s_movk_i32 s70, 0xff0e
	s_movk_i32 s72, 0xff0f
	s_movk_i32 s74, 0xff10
	v_lshlrev_b32_e32 v2, 2, v2
	s_mov_b32 s8, 0
	s_addc_u32 s43, 0, 0
	v_lshl_add_u64 v[0:1], s[28:29], 0, v[4:5]
	v_lshl_add_u64 v[114:115], s[30:31], 0, v[4:5]
	s_mov_b32 s45, -1
	s_mov_b32 s47, -1
	;; [unrolled: 1-line block ×16, first 2 shown]
	v_and_b32_e32 v120, 0x100, v2
	s_mov_b64 s[76:77], s[36:37]
	v_mov_b32_e32 v121, 0
.LBB151_3:                              ; =>This Inner Loop Header: Depth=1
	v_mov_b64_e32 v[4:5], s[24:25]
	v_cmp_ge_i64_e32 vcc, s[42:43], v[4:5]
	v_lshl_add_u64 v[116:117], v[50:51], 0, s[42:43]
	s_cbranch_vccz .LBB151_41
; %bb.4:                                ;   in Loop: Header=BB151_3 Depth=1
	s_load_dword s9, s[38:39], 0xc
	v_mov_b32_e32 v122, 0
	s_waitcnt lgkmcnt(0)
	s_and_b32 s9, s9, 0xffff
	v_mad_u32_u24 v2, v119, s9, v118
	v_and_b32_e32 v2, 63, v2
	v_cmp_gt_u32_e32 vcc, 16, v2
	s_and_saveexec_b64 s[10:11], vcc
	s_cbranch_execz .LBB151_8
; %bb.5:                                ;   in Loop: Header=BB151_3 Depth=1
	v_lshl_add_u64 v[4:5], v[116:117], 0, v[2:3]
	v_lshl_add_u64 v[4:5], v[4:5], 0, s[44:45]
	v_cmp_gt_i64_e32 vcc, s[24:25], v[4:5]
	v_mov_b32_e32 v122, 0
	s_and_saveexec_b64 s[12:13], vcc
	s_cbranch_execz .LBB151_7
; %bb.6:                                ;   in Loop: Header=BB151_3 Depth=1
	v_lshl_add_u64 v[4:5], v[4:5], 2, s[34:35]
	global_load_dword v122, v[4:5], off
.LBB151_7:                              ;   in Loop: Header=BB151_3 Depth=1
	s_or_b64 exec, exec, s[12:13]
.LBB151_8:                              ;   in Loop: Header=BB151_3 Depth=1
	s_or_b64 exec, exec, s[10:11]
	s_mov_b32 s22, s8
	s_mov_b32 s23, s8
	v_lshl_add_u64 v[4:5], v[116:117], 0, s[44:45]
	s_mov_b32 s9, s8
	s_mov_b32 s10, s8
	;; [unrolled: 1-line block ×13, first 2 shown]
	v_mov_b64_e32 v[32:33], s[22:23]
	v_cmp_gt_i64_e32 vcc, s[24:25], v[4:5]
	v_mov_b64_e32 v[30:31], s[20:21]
	v_mov_b64_e32 v[28:29], s[18:19]
	;; [unrolled: 1-line block ×8, first 2 shown]
	s_and_b64 s[78:79], s[6:7], vcc
	v_mov_b64_e32 v[46:47], v[30:31]
	v_mov_b64_e32 v[44:45], v[28:29]
	;; [unrolled: 1-line block ×7, first 2 shown]
	s_and_saveexec_b64 s[10:11], s[78:79]
	s_cbranch_execz .LBB151_10
; %bb.9:                                ;   in Loop: Header=BB151_3 Depth=1
	v_lshl_add_u64 v[4:5], v[0:1], 0, v[52:53]
	global_load_dword v2, v[4:5], off
	v_lshl_add_u64 v[4:5], v[114:115], 0, v[52:53]
	global_load_dword v18, v[4:5], off
	v_mov_b32_e32 v16, v3
	v_mov_b32_e32 v17, v3
	;; [unrolled: 1-line block ×14, first 2 shown]
	s_waitcnt vmcnt(1)
	v_mov_b64_e32 v[48:49], v[16:17]
	v_mov_b32_e32 v19, v3
	v_mov_b32_e32 v20, v3
	;; [unrolled: 1-line block ×15, first 2 shown]
	v_mov_b64_e32 v[46:47], v[14:15]
	v_mov_b64_e32 v[44:45], v[12:13]
	;; [unrolled: 1-line block ×7, first 2 shown]
.LBB151_10:                             ;   in Loop: Header=BB151_3 Depth=1
	s_or_b64 exec, exec, s[10:11]
	v_lshl_add_u64 v[4:5], v[116:117], 0, s[46:47]
	v_cmp_gt_i64_e32 vcc, s[24:25], v[4:5]
	s_and_b64 s[12:13], s[6:7], vcc
	s_and_saveexec_b64 s[10:11], s[12:13]
	s_cbranch_execz .LBB151_12
; %bb.11:                               ;   in Loop: Header=BB151_3 Depth=1
	v_lshl_add_u64 v[4:5], v[110:111], 0, v[52:53]
	global_load_dword v35, v[4:5], off
	v_lshl_add_u64 v[4:5], v[112:113], 0, v[52:53]
	global_load_dword v19, v[4:5], off
.LBB151_12:                             ;   in Loop: Header=BB151_3 Depth=1
	s_or_b64 exec, exec, s[10:11]
	v_lshl_add_u64 v[4:5], v[116:117], 0, s[48:49]
	v_cmp_gt_i64_e32 vcc, s[24:25], v[4:5]
	s_and_b64 s[12:13], s[6:7], vcc
	s_and_saveexec_b64 s[10:11], s[12:13]
	s_cbranch_execz .LBB151_14
; %bb.13:                               ;   in Loop: Header=BB151_3 Depth=1
	v_lshl_add_u64 v[4:5], v[106:107], 0, v[52:53]
	global_load_dword v36, v[4:5], off
	v_lshl_add_u64 v[4:5], v[108:109], 0, v[52:53]
	global_load_dword v20, v[4:5], off
.LBB151_14:                             ;   in Loop: Header=BB151_3 Depth=1
	;; [unrolled: 12-line block ×15, first 2 shown]
	s_or_b64 exec, exec, s[10:11]
	s_waitcnt vmcnt(0)
	ds_bpermute_b32 v2, v120, v122
	ds_bpermute_b32 v4, v120, v122 offset:4
	ds_bpermute_b32 v6, v120, v122 offset:8
	v_mul_f32_e32 v5, v18, v34
	v_mul_f32_e32 v7, v19, v35
	s_waitcnt lgkmcnt(2)
	v_fma_f32 v2, v5, v2, v121
	s_waitcnt lgkmcnt(1)
	v_fmac_f32_e32 v2, v7, v4
	v_mul_f32_e32 v4, v20, v36
	s_waitcnt lgkmcnt(0)
	v_fmac_f32_e32 v2, v4, v6
	ds_bpermute_b32 v4, v120, v122 offset:12
	ds_bpermute_b32 v5, v120, v122 offset:16
	v_pk_mul_f32 v[16:17], v[20:21], v[36:37]
	v_pk_mul_f32 v[18:19], v[22:23], v[38:39]
	v_mov_b32_e32 v16, v17
	v_mov_b32_e32 v17, v18
	s_waitcnt lgkmcnt(0)
	v_pk_mul_f32 v[4:5], v[16:17], v[4:5]
	ds_bpermute_b32 v16, v120, v122 offset:20
	ds_bpermute_b32 v17, v120, v122 offset:24
	v_pk_mul_f32 v[14:15], v[24:25], v[40:41]
	v_add_f32_e32 v2, v2, v4
	v_add_f32_e32 v2, v2, v5
	v_mov_b32_e32 v4, v19
	v_mov_b32_e32 v5, v14
	s_waitcnt lgkmcnt(0)
	v_pk_mul_f32 v[4:5], v[4:5], v[16:17]
	ds_bpermute_b32 v16, v120, v122 offset:28
	ds_bpermute_b32 v17, v120, v122 offset:32
	v_pk_mul_f32 v[12:13], v[26:27], v[42:43]
	v_add_f32_e32 v2, v2, v4
	v_mov_b32_e32 v4, v15
	ds_bpermute_b32 v14, v120, v122 offset:36
	ds_bpermute_b32 v15, v120, v122 offset:40
	v_add_f32_e32 v2, v2, v5
	v_mov_b32_e32 v5, v12
	s_waitcnt lgkmcnt(2)
	v_pk_mul_f32 v[4:5], v[4:5], v[16:17]
	v_pk_mul_f32 v[10:11], v[28:29], v[44:45]
	v_add_f32_e32 v2, v2, v4
	v_mov_b32_e32 v4, v13
	ds_bpermute_b32 v12, v120, v122 offset:44
	ds_bpermute_b32 v13, v120, v122 offset:48
	v_add_f32_e32 v2, v2, v5
	v_mov_b32_e32 v5, v10
	s_waitcnt lgkmcnt(2)
	v_pk_mul_f32 v[4:5], v[4:5], v[14:15]
	v_pk_mul_f32 v[8:9], v[30:31], v[46:47]
	v_add_f32_e32 v2, v2, v4
	v_mov_b32_e32 v4, v11
	ds_bpermute_b32 v10, v120, v122 offset:52
	ds_bpermute_b32 v11, v120, v122 offset:56
	v_add_f32_e32 v2, v2, v5
	v_mov_b32_e32 v5, v8
	s_waitcnt lgkmcnt(2)
	v_pk_mul_f32 v[4:5], v[4:5], v[12:13]
	v_pk_mul_f32 v[6:7], v[32:33], v[48:49]
	v_add_f32_e32 v2, v2, v4
	ds_bpermute_b32 v4, v120, v122 offset:60
	v_mov_b32_e32 v8, v9
	v_mov_b32_e32 v9, v6
	v_add_f32_e32 v2, v2, v5
	s_waitcnt lgkmcnt(1)
	v_pk_mul_f32 v[6:7], v[8:9], v[10:11]
	s_nop 0
	v_add_f32_e32 v2, v2, v6
	v_add_f32_e32 v2, v2, v7
	s_branch .LBB151_64
.LBB151_41:                             ;   in Loop: Header=BB151_3 Depth=1
                                        ; implicit-def: $vgpr2
                                        ; implicit-def: $vgpr18_vgpr19_vgpr20_vgpr21_vgpr22_vgpr23_vgpr24_vgpr25_vgpr26_vgpr27_vgpr28_vgpr29_vgpr30_vgpr31_vgpr32_vgpr33
                                        ; implicit-def: $vgpr34_vgpr35_vgpr36_vgpr37_vgpr38_vgpr39_vgpr40_vgpr41_vgpr42_vgpr43_vgpr44_vgpr45_vgpr46_vgpr47_vgpr48_vgpr49
                                        ; implicit-def: $vgpr4
	s_cbranch_execz .LBB151_64
; %bb.42:                               ;   in Loop: Header=BB151_3 Depth=1
	s_load_dword s9, s[38:39], 0x0
	v_mov_b32_e32 v122, 0
	s_waitcnt lgkmcnt(0)
	s_cmp_lt_u32 s2, s9
	s_cselect_b32 s9, 12, 18
	s_add_u32 s10, s38, s9
	s_addc_u32 s11, s39, 0
	global_load_ushort v2, v3, s[10:11]
	s_waitcnt vmcnt(0)
	v_mad_u32_u24 v2, v119, v2, v118
	v_and_b32_e32 v2, 63, v2
	v_cmp_gt_u32_e32 vcc, 16, v2
	s_and_saveexec_b64 s[10:11], vcc
	s_cbranch_execz .LBB151_46
; %bb.43:                               ;   in Loop: Header=BB151_3 Depth=1
	v_lshl_add_u64 v[4:5], v[116:117], 0, v[2:3]
	v_lshl_add_u64 v[4:5], v[4:5], 0, s[44:45]
	v_cmp_gt_i64_e32 vcc, s[24:25], v[4:5]
	v_mov_b32_e32 v122, 0
	s_and_saveexec_b64 s[12:13], vcc
	s_cbranch_execz .LBB151_45
; %bb.44:                               ;   in Loop: Header=BB151_3 Depth=1
	v_lshl_add_u64 v[4:5], v[4:5], 2, s[34:35]
	global_load_dword v122, v[4:5], off
.LBB151_45:                             ;   in Loop: Header=BB151_3 Depth=1
	s_or_b64 exec, exec, s[12:13]
.LBB151_46:                             ;   in Loop: Header=BB151_3 Depth=1
	s_or_b64 exec, exec, s[10:11]
	s_mov_b32 s22, s8
	s_mov_b32 s23, s8
	;; [unrolled: 1-line block ×15, first 2 shown]
	v_mov_b64_e32 v[32:33], s[22:23]
	v_mov_b64_e32 v[30:31], s[20:21]
	;; [unrolled: 1-line block ×16, first 2 shown]
	s_and_saveexec_b64 s[10:11], s[6:7]
	s_cbranch_execnz .LBB151_66
; %bb.47:                               ;   in Loop: Header=BB151_3 Depth=1
	s_or_b64 exec, exec, s[10:11]
	s_and_saveexec_b64 s[10:11], s[6:7]
	s_cbranch_execnz .LBB151_67
.LBB151_48:                             ;   in Loop: Header=BB151_3 Depth=1
	s_or_b64 exec, exec, s[10:11]
	s_and_saveexec_b64 s[10:11], s[6:7]
	s_cbranch_execnz .LBB151_68
.LBB151_49:                             ;   in Loop: Header=BB151_3 Depth=1
	s_or_b64 exec, exec, s[10:11]
	s_and_saveexec_b64 s[10:11], s[6:7]
	s_cbranch_execnz .LBB151_69
.LBB151_50:                             ;   in Loop: Header=BB151_3 Depth=1
	s_or_b64 exec, exec, s[10:11]
	s_and_saveexec_b64 s[10:11], s[6:7]
	s_cbranch_execnz .LBB151_70
.LBB151_51:                             ;   in Loop: Header=BB151_3 Depth=1
	s_or_b64 exec, exec, s[10:11]
	s_and_saveexec_b64 s[10:11], s[6:7]
	s_cbranch_execnz .LBB151_71
.LBB151_52:                             ;   in Loop: Header=BB151_3 Depth=1
	s_or_b64 exec, exec, s[10:11]
	s_and_saveexec_b64 s[10:11], s[6:7]
	s_cbranch_execnz .LBB151_72
.LBB151_53:                             ;   in Loop: Header=BB151_3 Depth=1
	s_or_b64 exec, exec, s[10:11]
	s_and_saveexec_b64 s[10:11], s[6:7]
	s_cbranch_execnz .LBB151_73
.LBB151_54:                             ;   in Loop: Header=BB151_3 Depth=1
	s_or_b64 exec, exec, s[10:11]
	s_and_saveexec_b64 s[10:11], s[6:7]
	s_cbranch_execnz .LBB151_74
.LBB151_55:                             ;   in Loop: Header=BB151_3 Depth=1
	s_or_b64 exec, exec, s[10:11]
	s_and_saveexec_b64 s[10:11], s[6:7]
	s_cbranch_execnz .LBB151_75
.LBB151_56:                             ;   in Loop: Header=BB151_3 Depth=1
	s_or_b64 exec, exec, s[10:11]
	s_and_saveexec_b64 s[10:11], s[6:7]
	s_cbranch_execnz .LBB151_76
.LBB151_57:                             ;   in Loop: Header=BB151_3 Depth=1
	s_or_b64 exec, exec, s[10:11]
	s_and_saveexec_b64 s[10:11], s[6:7]
	s_cbranch_execnz .LBB151_77
.LBB151_58:                             ;   in Loop: Header=BB151_3 Depth=1
	s_or_b64 exec, exec, s[10:11]
	s_and_saveexec_b64 s[10:11], s[6:7]
	s_cbranch_execnz .LBB151_78
.LBB151_59:                             ;   in Loop: Header=BB151_3 Depth=1
	s_or_b64 exec, exec, s[10:11]
	s_and_saveexec_b64 s[10:11], s[6:7]
	s_cbranch_execnz .LBB151_79
.LBB151_60:                             ;   in Loop: Header=BB151_3 Depth=1
	s_or_b64 exec, exec, s[10:11]
	s_and_saveexec_b64 s[10:11], s[6:7]
	s_cbranch_execnz .LBB151_80
.LBB151_61:                             ;   in Loop: Header=BB151_3 Depth=1
	s_or_b64 exec, exec, s[10:11]
	s_and_saveexec_b64 s[10:11], s[6:7]
	s_cbranch_execz .LBB151_63
.LBB151_62:                             ;   in Loop: Header=BB151_3 Depth=1
	v_lshl_add_u64 v[4:5], v[54:55], 0, v[52:53]
	global_load_dword v49, v[4:5], off
	v_lshl_add_u64 v[4:5], v[56:57], 0, v[52:53]
	global_load_dword v33, v[4:5], off
.LBB151_63:                             ;   in Loop: Header=BB151_3 Depth=1
	s_or_b64 exec, exec, s[10:11]
	s_waitcnt vmcnt(0)
	ds_bpermute_b32 v2, v120, v122
	ds_bpermute_b32 v4, v120, v122 offset:4
	v_mul_f32_e32 v5, v18, v34
	v_mul_f32_e32 v7, v19, v35
	ds_bpermute_b32 v6, v120, v122 offset:8
	s_waitcnt lgkmcnt(2)
	v_fmac_f32_e32 v121, v5, v2
	s_waitcnt lgkmcnt(1)
	v_fmac_f32_e32 v121, v7, v4
	ds_bpermute_b32 v4, v120, v122 offset:12
	ds_bpermute_b32 v5, v120, v122 offset:16
	v_pk_mul_f32 v[16:17], v[20:21], v[36:37]
	v_pk_mul_f32 v[18:19], v[22:23], v[38:39]
	v_mov_b32_e32 v16, v17
	v_mov_b32_e32 v17, v18
	s_waitcnt lgkmcnt(0)
	v_pk_mul_f32 v[4:5], v[16:17], v[4:5]
	ds_bpermute_b32 v16, v120, v122 offset:20
	ds_bpermute_b32 v17, v120, v122 offset:24
	v_mul_f32_e32 v2, v20, v36
	v_fmac_f32_e32 v121, v2, v6
	v_pk_mul_f32 v[14:15], v[24:25], v[40:41]
	v_add_f32_e32 v2, v121, v4
	v_add_f32_e32 v2, v2, v5
	v_mov_b32_e32 v4, v19
	v_mov_b32_e32 v5, v14
	s_waitcnt lgkmcnt(0)
	v_pk_mul_f32 v[4:5], v[4:5], v[16:17]
	ds_bpermute_b32 v16, v120, v122 offset:28
	ds_bpermute_b32 v17, v120, v122 offset:32
	v_pk_mul_f32 v[12:13], v[26:27], v[42:43]
	v_add_f32_e32 v2, v2, v4
	v_mov_b32_e32 v4, v15
	ds_bpermute_b32 v14, v120, v122 offset:36
	ds_bpermute_b32 v15, v120, v122 offset:40
	v_add_f32_e32 v2, v2, v5
	v_mov_b32_e32 v5, v12
	s_waitcnt lgkmcnt(2)
	v_pk_mul_f32 v[4:5], v[4:5], v[16:17]
	v_pk_mul_f32 v[10:11], v[28:29], v[44:45]
	v_add_f32_e32 v2, v2, v4
	v_add_f32_e32 v2, v2, v5
	v_mov_b32_e32 v4, v13
	v_mov_b32_e32 v5, v10
	ds_bpermute_b32 v12, v120, v122 offset:44
	ds_bpermute_b32 v13, v120, v122 offset:48
	s_waitcnt lgkmcnt(2)
	v_pk_mul_f32 v[4:5], v[4:5], v[14:15]
	ds_bpermute_b32 v10, v120, v122 offset:52
	v_add_f32_e32 v2, v2, v4
	v_mov_b32_e32 v4, v11
	ds_bpermute_b32 v11, v120, v122 offset:56
	v_pk_mul_f32 v[8:9], v[30:31], v[46:47]
	v_add_f32_e32 v2, v2, v5
	v_mov_b32_e32 v5, v8
	v_pk_mul_f32 v[6:7], v[32:33], v[48:49]
	s_waitcnt lgkmcnt(2)
	v_pk_mul_f32 v[4:5], v[4:5], v[12:13]
	v_mov_b32_e32 v8, v9
	v_add_f32_e32 v2, v2, v4
	v_mov_b32_e32 v9, v6
	v_add_f32_e32 v2, v2, v5
	s_waitcnt lgkmcnt(0)
	v_pk_mul_f32 v[6:7], v[8:9], v[10:11]
	ds_bpermute_b32 v4, v120, v122 offset:60
	v_add_f32_e32 v2, v2, v6
	v_add_f32_e32 v2, v2, v7
.LBB151_64:                             ;   in Loop: Header=BB151_3 Depth=1
	v_mul_f32_e32 v5, v49, v33
	s_add_u32 s76, s76, s3
	s_waitcnt lgkmcnt(0)
	v_fmac_f32_e32 v2, v5, v4
	s_addc_u32 s77, s77, 0
	v_mov_b64_e32 v[4:5], s[24:25]
	s_add_u32 s42, s42, s3
	v_cmp_lt_i64_e32 vcc, s[76:77], v[4:5]
	v_lshl_add_u64 v[54:55], v[54:55], 0, s[40:41]
	v_lshl_add_u64 v[56:57], v[56:57], 0, s[40:41]
	;; [unrolled: 1-line block ×30, first 2 shown]
	s_addc_u32 s43, s43, 0
	v_lshl_add_u64 v[0:1], v[0:1], 0, s[40:41]
	v_lshl_add_u64 v[114:115], v[114:115], 0, s[40:41]
	s_cbranch_vccz .LBB151_82
; %bb.65:                               ;   in Loop: Header=BB151_3 Depth=1
	v_mov_b32_e32 v121, v2
	s_branch .LBB151_3
.LBB151_66:                             ;   in Loop: Header=BB151_3 Depth=1
	v_lshl_add_u64 v[4:5], v[0:1], 0, v[52:53]
	global_load_dword v2, v[4:5], off
	v_lshl_add_u64 v[4:5], v[114:115], 0, v[52:53]
	global_load_dword v18, v[4:5], off
	v_mov_b32_e32 v16, v3
	v_mov_b32_e32 v17, v3
	v_mov_b32_e32 v4, v3
	v_mov_b32_e32 v5, v3
	v_mov_b32_e32 v6, v3
	v_mov_b32_e32 v7, v3
	v_mov_b32_e32 v8, v3
	v_mov_b32_e32 v9, v3
	v_mov_b32_e32 v10, v3
	v_mov_b32_e32 v11, v3
	v_mov_b32_e32 v12, v3
	v_mov_b32_e32 v13, v3
	v_mov_b32_e32 v14, v3
	v_mov_b32_e32 v15, v3
	s_waitcnt vmcnt(1)
	v_mov_b64_e32 v[48:49], v[16:17]
	v_mov_b32_e32 v19, v3
	v_mov_b32_e32 v20, v3
	v_mov_b32_e32 v21, v3
	v_mov_b32_e32 v22, v3
	v_mov_b32_e32 v23, v3
	v_mov_b32_e32 v24, v3
	v_mov_b32_e32 v25, v3
	v_mov_b32_e32 v26, v3
	v_mov_b32_e32 v27, v3
	v_mov_b32_e32 v28, v3
	v_mov_b32_e32 v29, v3
	v_mov_b32_e32 v30, v3
	v_mov_b32_e32 v31, v3
	v_mov_b32_e32 v32, v3
	v_mov_b32_e32 v33, v3
	v_mov_b64_e32 v[46:47], v[14:15]
	v_mov_b64_e32 v[44:45], v[12:13]
	;; [unrolled: 1-line block ×7, first 2 shown]
	s_or_b64 exec, exec, s[10:11]
	s_and_saveexec_b64 s[10:11], s[6:7]
	s_cbranch_execz .LBB151_48
.LBB151_67:                             ;   in Loop: Header=BB151_3 Depth=1
	v_lshl_add_u64 v[4:5], v[110:111], 0, v[52:53]
	global_load_dword v35, v[4:5], off
	v_lshl_add_u64 v[4:5], v[112:113], 0, v[52:53]
	global_load_dword v19, v[4:5], off
	s_or_b64 exec, exec, s[10:11]
	s_and_saveexec_b64 s[10:11], s[6:7]
	s_cbranch_execz .LBB151_49
.LBB151_68:                             ;   in Loop: Header=BB151_3 Depth=1
	v_lshl_add_u64 v[4:5], v[106:107], 0, v[52:53]
	global_load_dword v36, v[4:5], off
	v_lshl_add_u64 v[4:5], v[108:109], 0, v[52:53]
	global_load_dword v20, v[4:5], off
	s_or_b64 exec, exec, s[10:11]
	s_and_saveexec_b64 s[10:11], s[6:7]
	s_cbranch_execz .LBB151_50
.LBB151_69:                             ;   in Loop: Header=BB151_3 Depth=1
	v_lshl_add_u64 v[4:5], v[102:103], 0, v[52:53]
	global_load_dword v37, v[4:5], off
	v_lshl_add_u64 v[4:5], v[104:105], 0, v[52:53]
	global_load_dword v21, v[4:5], off
	s_or_b64 exec, exec, s[10:11]
	s_and_saveexec_b64 s[10:11], s[6:7]
	s_cbranch_execz .LBB151_51
.LBB151_70:                             ;   in Loop: Header=BB151_3 Depth=1
	v_lshl_add_u64 v[4:5], v[98:99], 0, v[52:53]
	global_load_dword v38, v[4:5], off
	v_lshl_add_u64 v[4:5], v[100:101], 0, v[52:53]
	global_load_dword v22, v[4:5], off
	s_or_b64 exec, exec, s[10:11]
	s_and_saveexec_b64 s[10:11], s[6:7]
	s_cbranch_execz .LBB151_52
.LBB151_71:                             ;   in Loop: Header=BB151_3 Depth=1
	v_lshl_add_u64 v[4:5], v[94:95], 0, v[52:53]
	global_load_dword v39, v[4:5], off
	v_lshl_add_u64 v[4:5], v[96:97], 0, v[52:53]
	global_load_dword v23, v[4:5], off
	s_or_b64 exec, exec, s[10:11]
	s_and_saveexec_b64 s[10:11], s[6:7]
	s_cbranch_execz .LBB151_53
.LBB151_72:                             ;   in Loop: Header=BB151_3 Depth=1
	v_lshl_add_u64 v[4:5], v[90:91], 0, v[52:53]
	global_load_dword v40, v[4:5], off
	v_lshl_add_u64 v[4:5], v[92:93], 0, v[52:53]
	global_load_dword v24, v[4:5], off
	s_or_b64 exec, exec, s[10:11]
	s_and_saveexec_b64 s[10:11], s[6:7]
	s_cbranch_execz .LBB151_54
.LBB151_73:                             ;   in Loop: Header=BB151_3 Depth=1
	v_lshl_add_u64 v[4:5], v[86:87], 0, v[52:53]
	global_load_dword v41, v[4:5], off
	v_lshl_add_u64 v[4:5], v[88:89], 0, v[52:53]
	global_load_dword v25, v[4:5], off
	s_or_b64 exec, exec, s[10:11]
	s_and_saveexec_b64 s[10:11], s[6:7]
	s_cbranch_execz .LBB151_55
.LBB151_74:                             ;   in Loop: Header=BB151_3 Depth=1
	v_lshl_add_u64 v[4:5], v[82:83], 0, v[52:53]
	global_load_dword v42, v[4:5], off
	v_lshl_add_u64 v[4:5], v[84:85], 0, v[52:53]
	global_load_dword v26, v[4:5], off
	s_or_b64 exec, exec, s[10:11]
	s_and_saveexec_b64 s[10:11], s[6:7]
	s_cbranch_execz .LBB151_56
.LBB151_75:                             ;   in Loop: Header=BB151_3 Depth=1
	v_lshl_add_u64 v[4:5], v[78:79], 0, v[52:53]
	global_load_dword v43, v[4:5], off
	v_lshl_add_u64 v[4:5], v[80:81], 0, v[52:53]
	global_load_dword v27, v[4:5], off
	s_or_b64 exec, exec, s[10:11]
	s_and_saveexec_b64 s[10:11], s[6:7]
	s_cbranch_execz .LBB151_57
.LBB151_76:                             ;   in Loop: Header=BB151_3 Depth=1
	v_lshl_add_u64 v[4:5], v[74:75], 0, v[52:53]
	global_load_dword v44, v[4:5], off
	v_lshl_add_u64 v[4:5], v[76:77], 0, v[52:53]
	global_load_dword v28, v[4:5], off
	s_or_b64 exec, exec, s[10:11]
	s_and_saveexec_b64 s[10:11], s[6:7]
	s_cbranch_execz .LBB151_58
.LBB151_77:                             ;   in Loop: Header=BB151_3 Depth=1
	v_lshl_add_u64 v[4:5], v[70:71], 0, v[52:53]
	global_load_dword v45, v[4:5], off
	v_lshl_add_u64 v[4:5], v[72:73], 0, v[52:53]
	global_load_dword v29, v[4:5], off
	s_or_b64 exec, exec, s[10:11]
	s_and_saveexec_b64 s[10:11], s[6:7]
	s_cbranch_execz .LBB151_59
.LBB151_78:                             ;   in Loop: Header=BB151_3 Depth=1
	v_lshl_add_u64 v[4:5], v[66:67], 0, v[52:53]
	global_load_dword v46, v[4:5], off
	v_lshl_add_u64 v[4:5], v[68:69], 0, v[52:53]
	global_load_dword v30, v[4:5], off
	s_or_b64 exec, exec, s[10:11]
	s_and_saveexec_b64 s[10:11], s[6:7]
	s_cbranch_execz .LBB151_60
.LBB151_79:                             ;   in Loop: Header=BB151_3 Depth=1
	v_lshl_add_u64 v[4:5], v[62:63], 0, v[52:53]
	global_load_dword v47, v[4:5], off
	v_lshl_add_u64 v[4:5], v[64:65], 0, v[52:53]
	global_load_dword v31, v[4:5], off
	s_or_b64 exec, exec, s[10:11]
	s_and_saveexec_b64 s[10:11], s[6:7]
	s_cbranch_execz .LBB151_61
.LBB151_80:                             ;   in Loop: Header=BB151_3 Depth=1
	v_lshl_add_u64 v[4:5], v[58:59], 0, v[52:53]
	global_load_dword v48, v[4:5], off
	v_lshl_add_u64 v[4:5], v[60:61], 0, v[52:53]
	global_load_dword v32, v[4:5], off
	s_or_b64 exec, exec, s[10:11]
	s_and_saveexec_b64 s[10:11], s[6:7]
	s_cbranch_execnz .LBB151_62
	s_branch .LBB151_63
.LBB151_81:
                                        ; implicit-def: $vgpr2
	s_branch .LBB151_84
.LBB151_82:
	v_mov_b32_e32 v103, v123
.LBB151_83:
	s_cbranch_execnz .LBB151_132
.LBB151_84:
	s_and_b64 vcc, exec, s[4:5]
	v_mov_b32_e32 v2, 0
	s_cbranch_vccnz .LBB151_132
; %bb.85:
	v_mov_b32_e32 v1, v103
	v_and_b32_e32 v0, 0x3ff, v1
	v_add_u32_e32 v2, s33, v0
	v_mov_b32_e32 v3, 0
	v_bfe_u32 v24, v1, 10, 10
	v_lshlrev_b64 v[50:51], 2, v[2:3]
	v_lshlrev_b32_e32 v2, 6, v24
	v_lshl_add_u64 v[0:1], s[36:37], 2, v[2:3]
	v_lshl_add_u64 v[6:7], v[0:1], 0, 4
	v_mov_b64_e32 v[4:5], s[28:29]
	v_mad_u64_u32 v[8:9], s[4:5], s26, v6, v[4:5]
	v_mul_lo_u32 v2, s26, v7
	v_mul_lo_u32 v7, s27, v6
	v_add3_u32 v9, v7, v9, v2
	scratch_store_dwordx2 off, v[8:9], off  ; 8-byte Folded Spill
	v_lshl_add_u64 v[8:9], v[0:1], 0, 8
	v_mad_u64_u32 v[10:11], s[4:5], s26, v8, v[4:5]
	v_mul_lo_u32 v9, s26, v9
	v_mul_lo_u32 v20, s27, v8
	v_add3_u32 v11, v20, v11, v9
	scratch_store_dwordx2 off, v[10:11], off offset:8 ; 8-byte Folded Spill
	v_lshl_add_u64 v[10:11], v[0:1], 0, 12
	v_mad_u64_u32 v[12:13], s[4:5], s26, v10, v[4:5]
	v_mul_lo_u32 v11, s26, v11
	v_mul_lo_u32 v21, s27, v10
	v_add3_u32 v13, v21, v13, v11
	scratch_store_dwordx2 off, v[12:13], off offset:16 ; 8-byte Folded Spill
	;; [unrolled: 6-line block ×3, first 2 shown]
	v_lshl_add_u64 v[14:15], v[0:1], 0, 20
	v_mad_u64_u32 v[16:17], s[4:5], s26, v14, v[4:5]
	v_mul_lo_u32 v15, s26, v15
	v_mul_lo_u32 v23, s27, v14
	v_mov_b64_e32 v[18:19], s[30:31]
	v_add3_u32 v17, v23, v17, v15
	v_mad_u64_u32 v[26:27], s[4:5], s26, v6, v[18:19]
	scratch_store_dwordx2 off, v[16:17], off offset:32 ; 8-byte Folded Spill
	v_lshl_add_u64 v[16:17], v[0:1], 0, 24
	v_add3_u32 v27, v7, v27, v2
	scratch_store_dwordx2 off, v[26:27], off offset:40 ; 8-byte Folded Spill
	v_mad_u64_u32 v[6:7], s[4:5], s26, v16, v[4:5]
	v_mul_lo_u32 v2, s26, v17
	v_mad_u64_u32 v[26:27], s[4:5], s26, v8, v[18:19]
	v_mul_lo_u32 v8, s27, v16
	v_add3_u32 v7, v8, v7, v2
	scratch_store_dwordx2 off, v[6:7], off offset:48 ; 8-byte Folded Spill
	v_mad_u64_u32 v[6:7], s[4:5], s26, v10, v[18:19]
	v_add3_u32 v7, v21, v7, v11
	v_mad_u64_u32 v[10:11], s[4:5], s26, v12, v[18:19]
	v_add3_u32 v11, v22, v11, v13
	scratch_store_dwordx2 off, v[10:11], off offset:72 ; 8-byte Folded Spill
	v_mad_u64_u32 v[10:11], s[4:5], s26, v14, v[18:19]
	scratch_store_dwordx2 off, v[6:7], off offset:64 ; 8-byte Folded Spill
	v_lshl_add_u64 v[6:7], v[0:1], 0, 28
	v_add3_u32 v11, v23, v11, v15
	v_mad_u64_u32 v[12:13], s[4:5], s26, v6, v[4:5]
	v_mul_lo_u32 v7, s26, v7
	scratch_store_dwordx2 off, v[10:11], off offset:88 ; 8-byte Folded Spill
	v_mul_lo_u32 v10, s27, v6
	v_add3_u32 v13, v10, v13, v7
	scratch_store_dwordx2 off, v[12:13], off offset:80 ; 8-byte Folded Spill
	v_mad_u64_u32 v[12:13], s[4:5], s26, v16, v[18:19]
	v_add3_u32 v13, v8, v13, v2
	v_add3_u32 v27, v20, v27, v9
	scratch_store_dwordx2 off, v[12:13], off offset:96 ; 8-byte Folded Spill
	v_lshl_add_u64 v[8:9], v[0:1], 0, 32
	v_mad_u64_u32 v[12:13], s[4:5], s26, v6, v[18:19]
	v_add3_u32 v13, v10, v13, v7
	v_mad_u64_u32 v[10:11], s[4:5], s26, v8, v[4:5]
	v_mul_lo_u32 v2, s26, v9
	v_mul_lo_u32 v6, s27, v8
	v_mad_u64_u32 v[8:9], s[4:5], s26, v8, v[18:19]
	v_add3_u32 v11, v6, v11, v2
	v_add3_u32 v9, v6, v9, v2
	v_lshl_add_u64 v[6:7], v[0:1], 0, 36
	scratch_store_dwordx2 off, v[8:9], off offset:120 ; 8-byte Folded Spill
	v_mul_lo_u32 v2, s26, v7
	v_mul_lo_u32 v7, s27, v6
	v_mad_u64_u32 v[8:9], s[4:5], s26, v6, v[4:5]
	v_add3_u32 v9, v7, v9, v2
	scratch_store_dwordx2 off, v[8:9], off offset:128 ; 8-byte Folded Spill
	v_mad_u64_u32 v[8:9], s[4:5], s26, v6, v[18:19]
	v_add3_u32 v9, v7, v9, v2
	v_lshl_add_u64 v[6:7], v[0:1], 0, 40
	scratch_store_dwordx2 off, v[8:9], off offset:136 ; 8-byte Folded Spill
	v_mul_lo_u32 v2, s26, v7
	v_mul_lo_u32 v7, s27, v6
	v_mad_u64_u32 v[8:9], s[4:5], s26, v6, v[4:5]
	v_add3_u32 v9, v7, v9, v2
	scratch_store_dwordx2 off, v[8:9], off offset:144 ; 8-byte Folded Spill
	v_mad_u64_u32 v[8:9], s[4:5], s26, v6, v[18:19]
	;; [unrolled: 9-line block ×5, first 2 shown]
	v_add3_u32 v9, v7, v9, v2
	v_lshl_add_u64 v[6:7], v[0:1], 0, 56
	v_lshl_add_u64 v[0:1], v[0:1], 0, 60
	v_mad_u64_u32 v[108:109], s[4:5], s26, v0, v[4:5]
	v_mad_u64_u32 v[110:111], s[4:5], s26, v0, v[18:19]
	v_mul_lo_u32 v1, s26, v1
	v_mul_lo_u32 v0, s27, v0
	;; [unrolled: 1-line block ×4, first 2 shown]
	v_mad_u64_u32 v[104:105], s[4:5], s26, v6, v[4:5]
	v_mad_u64_u32 v[106:107], s[4:5], s26, v6, v[18:19]
	v_add3_u32 v109, v0, v109, v1
	v_add3_u32 v111, v0, v111, v1
	v_lshlrev_b32_e32 v0, 4, v24
	v_mov_b32_e32 v1, v3
	v_add3_u32 v105, v7, v105, v2
	v_add3_u32 v107, v7, v107, v2
	v_lshl_add_u64 v[6:7], v[0:1], 0, s[36:37]
	scratch_store_dwordx2 off, v[0:1], off offset:212 ; 8-byte Folded Spill
	v_lshl_add_u64 v[0:1], v[6:7], 0, 15
	v_mul_lo_u32 v2, s27, v0
	v_mul_lo_u32 v4, s26, v1
	v_mad_u64_u32 v[0:1], s[4:5], s26, v0, 0
	v_add3_u32 v1, v1, v4, v2
	v_lshl_add_u64 v[4:5], v[6:7], 0, 14
	scratch_store_dwordx2 off, v[8:9], off offset:200 ; 8-byte Folded Spill
	v_mul_lo_u32 v2, s27, v4
	v_mul_lo_u32 v8, s26, v5
	v_mad_u64_u32 v[4:5], s[4:5], s26, v4, 0
	v_add3_u32 v5, v5, v8, v2
	v_lshl_add_u64 v[8:9], v[6:7], 0, 13
	scratch_store_dwordx2 off, v[10:11], off offset:112 ; 8-byte Folded Spill
	;; [unrolled: 6-line block ×3, first 2 shown]
	v_mul_lo_u32 v2, s27, v10
	v_mul_lo_u32 v12, s26, v11
	v_mad_u64_u32 v[10:11], s[4:5], s26, v10, 0
	v_add3_u32 v11, v11, v12, v2
	v_lshl_add_u64 v[12:13], v[6:7], 0, 11
	v_mul_lo_u32 v2, s27, v12
	v_mul_lo_u32 v14, s26, v13
	v_mad_u64_u32 v[12:13], s[4:5], s26, v12, 0
	v_add3_u32 v13, v13, v14, v2
	v_lshl_add_u64 v[14:15], v[6:7], 0, 10
	;; [unrolled: 5-line block ×6, first 2 shown]
	v_lshlrev_b64 v[0:1], 2, v[0:1]
	scratch_store_dword off, v24, off offset:208 ; 4-byte Folded Spill
	v_mul_lo_u32 v2, s27, v22
	v_mul_lo_u32 v24, s26, v23
	v_mad_u64_u32 v[22:23], s[4:5], s26, v22, 0
	v_lshl_add_u64 v[118:119], s[28:29], 0, v[0:1]
	v_lshl_add_u64 v[120:121], s[30:31], 0, v[0:1]
	v_lshlrev_b64 v[0:1], 2, v[4:5]
	v_add3_u32 v23, v23, v24, v2
	v_lshl_add_u64 v[24:25], v[6:7], 0, 5
	v_lshl_add_u64 v[122:123], s[28:29], 0, v[0:1]
	;; [unrolled: 1-line block ×3, first 2 shown]
	v_lshlrev_b64 v[0:1], 2, v[8:9]
	v_lshlrev_b64 v[4:5], 2, v[10:11]
	scratch_store_dwordx2 off, v[26:27], off offset:56 ; 8-byte Folded Spill
	v_mul_lo_u32 v2, s27, v24
	v_mul_lo_u32 v26, s26, v25
	v_mad_u64_u32 v[24:25], s[4:5], s26, v24, 0
	v_lshl_add_u64 v[126:127], s[28:29], 0, v[0:1]
	v_lshl_add_u64 v[112:113], s[30:31], 0, v[0:1]
	;; [unrolled: 1-line block ×4, first 2 shown]
	v_lshlrev_b64 v[4:5], 2, v[12:13]
	v_add3_u32 v25, v25, v26, v2
	v_lshl_add_u64 v[26:27], v[6:7], 0, 4
	v_lshl_add_u64 v[54:55], s[28:29], 0, v[4:5]
	;; [unrolled: 1-line block ×3, first 2 shown]
	v_lshlrev_b64 v[4:5], 2, v[14:15]
	v_mul_lo_u32 v2, s27, v26
	v_mul_lo_u32 v28, s26, v27
	v_mad_u64_u32 v[26:27], s[4:5], s26, v26, 0
	v_lshl_add_u64 v[58:59], s[28:29], 0, v[4:5]
	v_lshl_add_u64 v[60:61], s[30:31], 0, v[4:5]
	v_lshlrev_b64 v[4:5], 2, v[16:17]
	v_add3_u32 v27, v27, v28, v2
	v_lshl_add_u64 v[28:29], v[6:7], 0, 3
	v_lshl_add_u64 v[62:63], s[28:29], 0, v[4:5]
	;; [unrolled: 1-line block ×3, first 2 shown]
	v_lshlrev_b64 v[4:5], 2, v[18:19]
	v_mul_lo_u32 v2, s27, v28
	v_mul_lo_u32 v30, s26, v29
	v_mad_u64_u32 v[28:29], s[4:5], s26, v28, 0
	s_load_dword s3, s[0:1], 0x44
	v_lshl_add_u64 v[66:67], s[28:29], 0, v[4:5]
	v_lshl_add_u64 v[68:69], s[30:31], 0, v[4:5]
	v_lshlrev_b64 v[4:5], 2, v[20:21]
	v_add3_u32 v29, v29, v30, v2
	v_lshl_add_u64 v[30:31], v[6:7], 0, 2
	v_lshl_add_u64 v[70:71], s[28:29], 0, v[4:5]
	;; [unrolled: 1-line block ×3, first 2 shown]
	v_lshlrev_b64 v[4:5], 2, v[22:23]
	v_mul_lo_u32 v2, s27, v30
	v_mul_lo_u32 v32, s26, v31
	v_mad_u64_u32 v[30:31], s[4:5], s26, v30, 0
	v_lshl_add_u64 v[74:75], s[28:29], 0, v[4:5]
	v_lshl_add_u64 v[76:77], s[30:31], 0, v[4:5]
	v_lshlrev_b64 v[4:5], 2, v[24:25]
	v_add3_u32 v31, v31, v32, v2
	v_mov_b64_e32 v[32:33], s[26:27]
	v_lshl_add_u64 v[78:79], s[28:29], 0, v[4:5]
	v_lshl_add_u64 v[80:81], s[30:31], 0, v[4:5]
	v_lshlrev_b64 v[4:5], 2, v[26:27]
	v_mad_u64_u32 v[32:33], s[4:5], s26, v6, v[32:33]
	v_mul_lo_u32 v2, s27, v6
	v_mul_lo_u32 v34, s26, v7
	v_mad_u64_u32 v[6:7], s[4:5], s26, v6, 0
	s_add_u32 s20, s0, 64
	v_lshl_add_u64 v[82:83], s[28:29], 0, v[4:5]
	v_lshl_add_u64 v[84:85], s[30:31], 0, v[4:5]
	v_lshlrev_b64 v[4:5], 2, v[28:29]
	v_add3_u32 v7, v7, v34, v2
	v_add3_u32 v33, v2, v33, v34
	s_addc_u32 s21, s1, 0
	s_waitcnt lgkmcnt(0)
	s_lshl_b32 s3, s3, 8
	v_lshl_add_u64 v[86:87], s[28:29], 0, v[4:5]
	v_lshl_add_u64 v[88:89], s[30:31], 0, v[4:5]
	v_lshlrev_b64 v[4:5], 2, v[30:31]
	v_mbcnt_lo_u32_b32 v2, -1, 0
	s_add_u32 s22, s36, 0xff
	s_mul_i32 s5, s27, s3
	s_mul_hi_u32 s6, s26, s3
	v_lshlrev_b64 v[6:7], 2, v[6:7]
	v_lshl_add_u64 v[90:91], s[28:29], 0, v[4:5]
	v_lshl_add_u64 v[92:93], s[30:31], 0, v[4:5]
	v_lshlrev_b64 v[4:5], 2, v[32:33]
	v_mbcnt_hi_u32_b32 v2, -1, v2
	s_addc_u32 s23, 0, 0
	s_add_i32 s7, s6, s5
	s_mul_i32 s6, s26, s3
	v_lshl_add_u64 v[114:115], s[28:29], 0, v[6:7]
	v_lshl_add_u64 v[116:117], s[30:31], 0, v[6:7]
	v_lshl_add_u64 v[94:95], s[28:29], 0, v[4:5]
	v_lshl_add_u64 v[96:97], s[30:31], 0, v[4:5]
	s_movk_i32 s28, 0xff01
	s_movk_i32 s30, 0xff02
	;; [unrolled: 1-line block ×16, first 2 shown]
	v_lshlrev_b32_e32 v2, 2, v2
	s_mov_b32 s4, 0
	s_lshl_b64 s[38:39], s[6:7], 2
	s_mov_b32 s29, -1
	s_mov_b32 s31, -1
	;; [unrolled: 1-line block ×16, first 2 shown]
	v_and_b32_e32 v100, 0x100, v2
	v_mov_b32_e32 v101, 0
.LBB151_86:                             ; =>This Inner Loop Header: Depth=1
	v_mov_b64_e32 v[4:5], s[24:25]
	v_cmp_ge_i64_e32 vcc, s[22:23], v[4:5]
	scratch_load_dwordx2 v[4:5], off, off offset:212 ; 8-byte Folded Reload
	s_waitcnt vmcnt(0)
	v_lshl_add_u64 v[98:99], v[4:5], 0, s[22:23]
	s_cbranch_vccz .LBB151_124
; %bb.87:                               ;   in Loop: Header=BB151_86 Depth=1
	scratch_load_dword v4, off, off offset:208 ; 4-byte Folded Reload
	s_load_dword s5, s[20:21], 0xc
	v_mov_b32_e32 v2, v103
	v_and_b32_e32 v2, 0x3ff, v2
	v_mov_b32_e32 v102, 0
	s_waitcnt lgkmcnt(0)
	s_and_b32 s5, s5, 0xffff
	s_waitcnt vmcnt(0)
	v_mad_u32_u24 v2, v4, s5, v2
	v_and_b32_e32 v2, 63, v2
	v_cmp_gt_u32_e32 vcc, 16, v2
	s_and_saveexec_b64 s[6:7], vcc
	s_cbranch_execz .LBB151_91
; %bb.88:                               ;   in Loop: Header=BB151_86 Depth=1
	v_lshl_add_u64 v[4:5], v[98:99], 0, v[2:3]
	v_lshl_add_u64 v[4:5], v[4:5], 0, s[28:29]
	v_cmp_gt_i64_e32 vcc, s[24:25], v[4:5]
	v_mov_b32_e32 v102, 0
	s_and_saveexec_b64 s[8:9], vcc
	s_cbranch_execz .LBB151_90
; %bb.89:                               ;   in Loop: Header=BB151_86 Depth=1
	v_lshl_add_u64 v[4:5], v[4:5], 2, s[34:35]
	global_load_dword v102, v[4:5], off
.LBB151_90:                             ;   in Loop: Header=BB151_86 Depth=1
	s_or_b64 exec, exec, s[8:9]
.LBB151_91:                             ;   in Loop: Header=BB151_86 Depth=1
	s_or_b64 exec, exec, s[6:7]
	s_mov_b32 s18, s4
	s_mov_b32 s19, s4
	;; [unrolled: 1-line block ×15, first 2 shown]
	v_mov_b64_e32 v[32:33], s[18:19]
	v_lshl_add_u64 v[4:5], v[98:99], 0, s[28:29]
	v_mov_b64_e32 v[30:31], s[16:17]
	v_mov_b64_e32 v[28:29], s[14:15]
	;; [unrolled: 1-line block ×8, first 2 shown]
	v_cmp_gt_i64_e32 vcc, s[24:25], v[4:5]
	v_mov_b64_e32 v[46:47], v[30:31]
	v_mov_b64_e32 v[44:45], v[28:29]
	;; [unrolled: 1-line block ×7, first 2 shown]
	s_and_saveexec_b64 s[6:7], vcc
	s_cbranch_execz .LBB151_93
; %bb.92:                               ;   in Loop: Header=BB151_86 Depth=1
	v_lshl_add_u64 v[4:5], v[114:115], 0, v[50:51]
	global_load_dword v2, v[4:5], off
	v_lshl_add_u64 v[4:5], v[116:117], 0, v[50:51]
	global_load_dword v18, v[4:5], off
	v_mov_b32_e32 v16, v3
	v_mov_b32_e32 v17, v3
	;; [unrolled: 1-line block ×14, first 2 shown]
	s_waitcnt vmcnt(1)
	v_mov_b64_e32 v[48:49], v[16:17]
	v_mov_b32_e32 v19, v3
	v_mov_b32_e32 v20, v3
	;; [unrolled: 1-line block ×15, first 2 shown]
	v_mov_b64_e32 v[46:47], v[14:15]
	v_mov_b64_e32 v[44:45], v[12:13]
	v_mov_b64_e32 v[42:43], v[10:11]
	v_mov_b64_e32 v[40:41], v[8:9]
	v_mov_b64_e32 v[38:39], v[6:7]
	v_mov_b64_e32 v[36:37], v[4:5]
	v_mov_b64_e32 v[34:35], v[2:3]
.LBB151_93:                             ;   in Loop: Header=BB151_86 Depth=1
	s_or_b64 exec, exec, s[6:7]
	v_lshl_add_u64 v[4:5], v[98:99], 0, s[30:31]
	v_cmp_gt_i64_e32 vcc, s[24:25], v[4:5]
	s_and_saveexec_b64 s[6:7], vcc
	s_cbranch_execz .LBB151_95
; %bb.94:                               ;   in Loop: Header=BB151_86 Depth=1
	v_lshl_add_u64 v[4:5], v[94:95], 0, v[50:51]
	global_load_dword v35, v[4:5], off
	v_lshl_add_u64 v[4:5], v[96:97], 0, v[50:51]
	global_load_dword v19, v[4:5], off
.LBB151_95:                             ;   in Loop: Header=BB151_86 Depth=1
	s_or_b64 exec, exec, s[6:7]
	v_lshl_add_u64 v[4:5], v[98:99], 0, s[40:41]
	v_cmp_gt_i64_e32 vcc, s[24:25], v[4:5]
	s_and_saveexec_b64 s[6:7], vcc
	s_cbranch_execz .LBB151_97
; %bb.96:                               ;   in Loop: Header=BB151_86 Depth=1
	v_lshl_add_u64 v[4:5], v[90:91], 0, v[50:51]
	global_load_dword v36, v[4:5], off
	v_lshl_add_u64 v[4:5], v[92:93], 0, v[50:51]
	global_load_dword v20, v[4:5], off
.LBB151_97:                             ;   in Loop: Header=BB151_86 Depth=1
	s_or_b64 exec, exec, s[6:7]
	v_lshl_add_u64 v[4:5], v[98:99], 0, s[42:43]
	v_cmp_gt_i64_e32 vcc, s[24:25], v[4:5]
	s_and_saveexec_b64 s[6:7], vcc
	s_cbranch_execz .LBB151_99
; %bb.98:                               ;   in Loop: Header=BB151_86 Depth=1
	v_lshl_add_u64 v[4:5], v[86:87], 0, v[50:51]
	global_load_dword v37, v[4:5], off
	v_lshl_add_u64 v[4:5], v[88:89], 0, v[50:51]
	global_load_dword v21, v[4:5], off
.LBB151_99:                             ;   in Loop: Header=BB151_86 Depth=1
	s_or_b64 exec, exec, s[6:7]
	v_lshl_add_u64 v[4:5], v[98:99], 0, s[44:45]
	v_cmp_gt_i64_e32 vcc, s[24:25], v[4:5]
	s_and_saveexec_b64 s[6:7], vcc
	s_cbranch_execz .LBB151_101
; %bb.100:                              ;   in Loop: Header=BB151_86 Depth=1
	v_lshl_add_u64 v[4:5], v[82:83], 0, v[50:51]
	global_load_dword v38, v[4:5], off
	v_lshl_add_u64 v[4:5], v[84:85], 0, v[50:51]
	global_load_dword v22, v[4:5], off
.LBB151_101:                            ;   in Loop: Header=BB151_86 Depth=1
	s_or_b64 exec, exec, s[6:7]
	v_lshl_add_u64 v[4:5], v[98:99], 0, s[46:47]
	v_cmp_gt_i64_e32 vcc, s[24:25], v[4:5]
	s_and_saveexec_b64 s[6:7], vcc
	s_cbranch_execz .LBB151_103
; %bb.102:                              ;   in Loop: Header=BB151_86 Depth=1
	v_lshl_add_u64 v[4:5], v[78:79], 0, v[50:51]
	global_load_dword v39, v[4:5], off
	v_lshl_add_u64 v[4:5], v[80:81], 0, v[50:51]
	global_load_dword v23, v[4:5], off
.LBB151_103:                            ;   in Loop: Header=BB151_86 Depth=1
	;; [unrolled: 11-line block ×12, first 2 shown]
	s_or_b64 exec, exec, s[6:7]
	s_waitcnt vmcnt(0)
	ds_bpermute_b32 v2, v100, v102
	v_mul_f32_e32 v4, v18, v34
	v_mul_f32_e32 v5, v19, v35
	ds_bpermute_b32 v6, v100, v102 offset:16
	ds_bpermute_b32 v7, v100, v102 offset:20
	s_waitcnt lgkmcnt(2)
	v_fma_f32 v2, v4, v2, v101
	ds_bpermute_b32 v4, v100, v102 offset:4
	v_pk_mul_f32 v[16:17], v[22:23], v[38:39]
	v_pk_mul_f32 v[14:15], v[24:25], v[40:41]
	s_waitcnt lgkmcnt(1)
	v_pk_mul_f32 v[6:7], v[16:17], v[6:7]
	v_pk_mul_f32 v[12:13], v[26:27], v[42:43]
	s_waitcnt lgkmcnt(0)
	v_fmac_f32_e32 v2, v5, v4
	ds_bpermute_b32 v4, v100, v102 offset:8
	v_mul_f32_e32 v5, v20, v36
	v_pk_mul_f32 v[10:11], v[28:29], v[44:45]
	v_pk_mul_f32 v[8:9], v[30:31], v[46:47]
	s_waitcnt lgkmcnt(0)
	v_fmac_f32_e32 v2, v5, v4
	ds_bpermute_b32 v4, v100, v102 offset:12
	v_mul_f32_e32 v5, v21, v37
	s_waitcnt lgkmcnt(0)
	v_fmac_f32_e32 v2, v5, v4
	v_add_f32_e32 v2, v2, v6
	v_add_f32_e32 v2, v2, v7
	ds_bpermute_b32 v6, v100, v102 offset:24
	ds_bpermute_b32 v7, v100, v102 offset:28
	v_pk_mul_f32 v[4:5], v[32:33], v[48:49]
	s_waitcnt lgkmcnt(0)
	v_pk_mul_f32 v[6:7], v[14:15], v[6:7]
	s_nop 0
	v_add_f32_e32 v2, v2, v6
	v_add_f32_e32 v2, v2, v7
	ds_bpermute_b32 v6, v100, v102 offset:32
	ds_bpermute_b32 v7, v100, v102 offset:36
	s_waitcnt lgkmcnt(0)
	v_pk_mul_f32 v[6:7], v[12:13], v[6:7]
	s_nop 0
	v_add_f32_e32 v2, v2, v6
	v_add_f32_e32 v2, v2, v7
	ds_bpermute_b32 v6, v100, v102 offset:40
	ds_bpermute_b32 v7, v100, v102 offset:44
	;; [unrolled: 7-line block ×4, first 2 shown]
	s_waitcnt lgkmcnt(0)
	v_pk_mul_f32 v[4:5], v[4:5], v[6:7]
	s_nop 0
	v_add_f32_e32 v2, v2, v4
	v_add_f32_e32 v2, v2, v5
	s_branch .LBB151_130
.LBB151_124:                            ;   in Loop: Header=BB151_86 Depth=1
                                        ; implicit-def: $vgpr2
	s_cbranch_execz .LBB151_130
; %bb.125:                              ;   in Loop: Header=BB151_86 Depth=1
	s_load_dword s5, s[20:21], 0x0
	scratch_load_dword v5, off, off offset:208 ; 4-byte Folded Reload
	v_mov_b32_e32 v4, v103
	v_and_b32_e32 v4, 0x3ff, v4
	v_mov_b32_e32 v20, 0
	s_waitcnt lgkmcnt(0)
	s_cmp_lt_u32 s2, s5
	s_cselect_b32 s5, 12, 18
	s_add_u32 s6, s20, s5
	s_addc_u32 s7, s21, 0
	global_load_ushort v2, v3, s[6:7]
	s_waitcnt vmcnt(0)
	v_mad_u32_u24 v2, v5, v2, v4
	v_and_b32_e32 v2, 63, v2
	v_cmp_gt_u32_e32 vcc, 16, v2
	s_and_saveexec_b64 s[6:7], vcc
	s_cbranch_execz .LBB151_129
; %bb.126:                              ;   in Loop: Header=BB151_86 Depth=1
	v_lshl_add_u64 v[4:5], v[98:99], 0, v[2:3]
	v_lshl_add_u64 v[4:5], v[4:5], 0, s[28:29]
	v_cmp_gt_i64_e32 vcc, s[24:25], v[4:5]
	v_mov_b32_e32 v20, 0
	s_and_saveexec_b64 s[8:9], vcc
	s_cbranch_execz .LBB151_128
; %bb.127:                              ;   in Loop: Header=BB151_86 Depth=1
	v_lshl_add_u64 v[4:5], v[4:5], 2, s[34:35]
	global_load_dword v20, v[4:5], off
.LBB151_128:                            ;   in Loop: Header=BB151_86 Depth=1
	s_or_b64 exec, exec, s[8:9]
.LBB151_129:                            ;   in Loop: Header=BB151_86 Depth=1
	s_or_b64 exec, exec, s[6:7]
	v_lshl_add_u64 v[4:5], v[114:115], 0, v[50:51]
	global_load_dword v2, v[4:5], off
	v_lshl_add_u64 v[4:5], v[116:117], 0, v[50:51]
	global_load_dword v21, v[4:5], off
	s_nop 0
	scratch_load_dwordx2 v[4:5], off, off   ; 8-byte Folded Reload
	v_lshl_add_u64 v[30:31], v[108:109], 0, v[50:51]
	v_lshl_add_u64 v[6:7], v[106:107], 0, v[50:51]
	s_waitcnt vmcnt(1)
	v_mul_f32_e32 v2, v2, v21
	s_waitcnt vmcnt(0)
	v_lshl_add_u64 v[4:5], v[4:5], 0, v[50:51]
	global_load_dword v32, v[4:5], off
	s_nop 0
	scratch_load_dwordx2 v[4:5], off, off offset:40 ; 8-byte Folded Reload
	s_waitcnt vmcnt(0)
	v_lshl_add_u64 v[4:5], v[4:5], 0, v[50:51]
	global_load_dword v33, v[4:5], off
	s_nop 0
	scratch_load_dwordx2 v[4:5], off, off offset:8 ; 8-byte Folded Reload
	s_waitcnt vmcnt(1)
	v_mul_f32_e32 v21, v32, v33
	s_waitcnt vmcnt(0)
	v_lshl_add_u64 v[4:5], v[4:5], 0, v[50:51]
	global_load_dword v34, v[4:5], off
	s_nop 0
	scratch_load_dwordx2 v[4:5], off, off offset:56 ; 8-byte Folded Reload
	s_waitcnt vmcnt(0)
	v_lshl_add_u64 v[4:5], v[4:5], 0, v[50:51]
	global_load_dword v35, v[4:5], off
	s_nop 0
	scratch_load_dwordx2 v[4:5], off, off offset:16 ; 8-byte Folded Reload
	;; [unrolled: 5-line block ×8, first 2 shown]
	s_waitcnt vmcnt(1)
	v_pk_mul_f32 v[22:23], v[22:23], v[24:25]
	s_waitcnt vmcnt(0)
	v_lshl_add_u64 v[4:5], v[4:5], 0, v[50:51]
	global_load_dword v26, v[4:5], off
	s_nop 0
	scratch_load_dwordx2 v[4:5], off, off offset:96 ; 8-byte Folded Reload
	s_waitcnt vmcnt(0)
	v_lshl_add_u64 v[4:5], v[4:5], 0, v[50:51]
	global_load_dword v28, v[4:5], off
	s_nop 0
	scratch_load_dwordx2 v[4:5], off, off offset:80 ; 8-byte Folded Reload
	s_waitcnt vmcnt(0)
	v_lshl_add_u64 v[4:5], v[4:5], 0, v[50:51]
	global_load_dword v27, v[4:5], off
	s_nop 0
	scratch_load_dwordx2 v[4:5], off, off offset:104 ; 8-byte Folded Reload
	s_waitcnt vmcnt(0)
	v_lshl_add_u64 v[4:5], v[4:5], 0, v[50:51]
	global_load_dword v29, v[4:5], off
	s_nop 0
	scratch_load_dwordx2 v[4:5], off, off offset:112 ; 8-byte Folded Reload
	s_waitcnt vmcnt(1)
	v_pk_mul_f32 v[24:25], v[26:27], v[28:29]
	s_waitcnt vmcnt(0)
	v_lshl_add_u64 v[4:5], v[4:5], 0, v[50:51]
	global_load_dword v16, v[4:5], off
	s_nop 0
	scratch_load_dwordx2 v[4:5], off, off offset:120 ; 8-byte Folded Reload
	s_waitcnt vmcnt(0)
	v_lshl_add_u64 v[4:5], v[4:5], 0, v[50:51]
	global_load_dword v18, v[4:5], off
	s_nop 0
	scratch_load_dwordx2 v[4:5], off, off offset:128 ; 8-byte Folded Reload
	s_waitcnt vmcnt(0)
	v_lshl_add_u64 v[4:5], v[4:5], 0, v[50:51]
	global_load_dword v17, v[4:5], off
	s_nop 0
	scratch_load_dwordx2 v[4:5], off, off offset:136 ; 8-byte Folded Reload
	s_waitcnt vmcnt(0)
	v_lshl_add_u64 v[4:5], v[4:5], 0, v[50:51]
	global_load_dword v19, v[4:5], off
	s_nop 0
	scratch_load_dwordx2 v[4:5], off, off offset:144 ; 8-byte Folded Reload
	;; [unrolled: 22-line block ×3, first 2 shown]
	s_waitcnt vmcnt(1)
	v_pk_mul_f32 v[12:13], v[12:13], v[14:15]
	s_waitcnt vmcnt(0)
	v_lshl_add_u64 v[4:5], v[4:5], 0, v[50:51]
	global_load_dword v8, v[4:5], off
	s_nop 0
	scratch_load_dwordx2 v[4:5], off, off offset:184 ; 8-byte Folded Reload
	s_waitcnt vmcnt(0)
	v_lshl_add_u64 v[4:5], v[4:5], 0, v[50:51]
	global_load_dword v10, v[4:5], off
	s_nop 0
	scratch_load_dwordx2 v[4:5], off, off offset:192 ; 8-byte Folded Reload
	;; [unrolled: 5-line block ×3, first 2 shown]
	s_waitcnt vmcnt(0)
	v_lshl_add_u64 v[4:5], v[4:5], 0, v[50:51]
	global_load_dword v11, v[4:5], off
	v_lshl_add_u64 v[4:5], v[104:105], 0, v[50:51]
	global_load_dword v4, v[4:5], off
	s_waitcnt vmcnt(1)
	v_pk_mul_f32 v[8:9], v[8:9], v[10:11]
	global_load_dword v5, v[30:31], off
	v_lshl_add_u64 v[30:31], v[110:111], 0, v[50:51]
	global_load_dword v6, v[6:7], off
	s_nop 0
	global_load_dword v7, v[30:31], off
	ds_bpermute_b32 v30, v100, v20
	ds_bpermute_b32 v31, v100, v20 offset:20
	s_waitcnt lgkmcnt(1)
	v_fmac_f32_e32 v101, v2, v30
	ds_bpermute_b32 v2, v100, v20 offset:4
	ds_bpermute_b32 v30, v100, v20 offset:16
	s_waitcnt lgkmcnt(1)
	v_fmac_f32_e32 v101, v21, v2
	ds_bpermute_b32 v2, v100, v20 offset:8
	v_mul_f32_e32 v21, v34, v35
	s_waitcnt lgkmcnt(1)
	v_pk_mul_f32 v[22:23], v[22:23], v[30:31]
	s_waitcnt lgkmcnt(0)
	v_fmac_f32_e32 v101, v21, v2
	ds_bpermute_b32 v2, v100, v20 offset:12
	v_mul_f32_e32 v21, v36, v37
	s_waitcnt lgkmcnt(0)
	v_fmac_f32_e32 v101, v21, v2
	v_add_f32_e32 v2, v101, v22
	v_add_f32_e32 v2, v2, v23
	ds_bpermute_b32 v22, v100, v20 offset:24
	ds_bpermute_b32 v23, v100, v20 offset:28
	s_waitcnt lgkmcnt(0)
	v_pk_mul_f32 v[22:23], v[24:25], v[22:23]
	s_nop 0
	v_add_f32_e32 v2, v2, v22
	v_add_f32_e32 v2, v2, v23
	ds_bpermute_b32 v22, v100, v20 offset:32
	ds_bpermute_b32 v23, v100, v20 offset:36
	s_waitcnt lgkmcnt(0)
	v_pk_mul_f32 v[16:17], v[16:17], v[22:23]
	s_nop 0
	;; [unrolled: 7-line block ×4, first 2 shown]
	v_add_f32_e32 v2, v2, v8
	v_add_f32_e32 v2, v2, v9
	ds_bpermute_b32 v8, v100, v20 offset:56
	ds_bpermute_b32 v9, v100, v20 offset:60
	s_waitcnt vmcnt(0)
	v_pk_mul_f32 v[4:5], v[4:5], v[6:7]
	s_waitcnt lgkmcnt(0)
	v_pk_mul_f32 v[4:5], v[4:5], v[8:9]
	s_nop 0
	v_add_f32_e32 v2, v2, v4
	v_add_f32_e32 v2, v2, v5
.LBB151_130:                            ;   in Loop: Header=BB151_86 Depth=1
	s_add_u32 s36, s36, s3
	s_addc_u32 s37, s37, 0
	v_mov_b64_e32 v[4:5], s[24:25]
	v_cmp_ge_i64_e32 vcc, s[36:37], v[4:5]
	scratch_load_dwordx2 v[4:5], off, off   ; 8-byte Folded Reload
	s_add_u32 s22, s22, s3
	s_addc_u32 s23, s23, 0
	v_lshl_add_u64 v[104:105], v[104:105], 0, s[38:39]
	v_lshl_add_u64 v[108:109], v[108:109], 0, s[38:39]
	;; [unrolled: 1-line block ×36, first 2 shown]
	s_and_b64 vcc, exec, vcc
	s_waitcnt vmcnt(0)
	v_lshl_add_u64 v[4:5], v[4:5], 0, s[38:39]
	scratch_store_dwordx2 off, v[4:5], off  ; 8-byte Folded Spill
	scratch_load_dwordx2 v[4:5], off, off offset:8 ; 8-byte Folded Reload
	s_waitcnt vmcnt(0)
	v_lshl_add_u64 v[4:5], v[4:5], 0, s[38:39]
	scratch_store_dwordx2 off, v[4:5], off offset:8 ; 8-byte Folded Spill
	scratch_load_dwordx2 v[4:5], off, off offset:16 ; 8-byte Folded Reload
	s_waitcnt vmcnt(0)
	v_lshl_add_u64 v[4:5], v[4:5], 0, s[38:39]
	scratch_store_dwordx2 off, v[4:5], off offset:16 ; 8-byte Folded Spill
	;; [unrolled: 4-line block ×25, first 2 shown]
	s_cbranch_vccnz .LBB151_132
; %bb.131:                              ;   in Loop: Header=BB151_86 Depth=1
	v_mov_b32_e32 v101, v2
	s_branch .LBB151_86
.LBB151_132:
	v_bfe_u32 v0, v103, 10, 10
	v_and_b32_e32 v4, 0x3ff, v103
	s_movk_i32 s3, 0x41
	v_mad_u32_u24 v1, v0, s3, v4
	v_lshl_add_u32 v1, v1, 2, 0
	ds_write_b32 v1, v2
	v_mov_b32_e32 v3, 0
	v_lshrrev_b32_e32 v2, 6, v4
	ds_write_b32 v1, v3 offset:4160
	v_add_u32_e32 v1, v2, v0
	s_mov_b32 s3, 0
	v_cmp_gt_u32_e32 vcc, 64, v1
	s_waitcnt lgkmcnt(0)
	s_barrier
	s_and_saveexec_b64 s[4:5], vcc
	s_cbranch_execz .LBB151_139
; %bb.133:
	v_mbcnt_lo_u32_b32 v6, -1, 0
	v_mbcnt_hi_u32_b32 v7, -1, v6
	v_and_b32_e32 v6, 64, v7
	s_load_dwordx2 s[10:11], s[0:1], 0x30
	v_and_b32_e32 v5, 63, v4
	v_add_u32_e32 v8, 64, v6
	v_cmp_ne_u32_e64 s[0:1], 0, v4
	v_xor_b32_e32 v4, 8, v7
	v_cmp_gt_u32_e32 vcc, 16, v5
	s_lshl_b64 s[4:5], s[2:3], 6
	v_mul_u32_u24_e32 v9, 0x104, v5
	v_cmp_lt_i32_e64 s[2:3], v4, v8
	v_xor_b32_e32 v5, 4, v7
	v_xor_b32_e32 v6, 2, v7
	v_cndmask_b32_e64 v4, v7, v4, s[2:3]
	v_cmp_lt_i32_e64 s[2:3], v5, v8
	v_xor_b32_e32 v10, 1, v7
	v_lshlrev_b32_e32 v1, 2, v1
	v_cndmask_b32_e64 v5, v7, v5, s[2:3]
	v_cmp_lt_i32_e64 s[2:3], v6, v8
	s_waitcnt lgkmcnt(0)
	s_cmp_eq_u64 s[10:11], 0
	s_mov_b64 s[6:7], 0
	v_cndmask_b32_e64 v6, v7, v6, s[2:3]
	v_cmp_lt_i32_e64 s[2:3], v10, v8
	v_add3_u32 v8, v9, v1, 0
	v_mov_b32_e32 v1, v3
	v_lshl_add_u64 v[0:1], v[2:3], 0, v[0:1]
	v_cndmask_b32_e64 v7, v7, v10, s[2:3]
	v_lshl_add_u64 v[2:3], v[0:1], 0, s[4:5]
	s_cselect_b64 s[8:9], -1, 0
	v_lshlrev_b32_e32 v4, 2, v4
	v_lshlrev_b32_e32 v5, 2, v5
	;; [unrolled: 1-line block ×4, first 2 shown]
	v_lshl_add_u64 v[2:3], v[2:3], 2, s[10:11]
                                        ; implicit-def: $vgpr9
	s_branch .LBB151_135
.LBB151_134:                            ;   in Loop: Header=BB151_135 Depth=1
	s_or_b64 exec, exec, s[2:3]
	v_lshl_add_u64 v[0:1], v[0:1], 0, 16
	v_add_u32_e32 v10, -16, v0
	v_cmp_lt_u32_e64 s[2:3], 47, v10
	v_add_u32_e32 v8, 64, v8
	s_or_b64 s[6:7], s[2:3], s[6:7]
	v_lshl_add_u64 v[2:3], v[2:3], 0, 64
	s_andn2_b64 exec, exec, s[6:7]
	s_cbranch_execz .LBB151_139
.LBB151_135:                            ; =>This Inner Loop Header: Depth=1
	s_and_saveexec_b64 s[2:3], vcc
	s_cbranch_execz .LBB151_137
; %bb.136:                              ;   in Loop: Header=BB151_135 Depth=1
	ds_read_b32 v9, v8
.LBB151_137:                            ;   in Loop: Header=BB151_135 Depth=1
	s_or_b64 exec, exec, s[2:3]
	s_waitcnt lgkmcnt(0)
	ds_bpermute_b32 v10, v4, v9
	s_waitcnt lgkmcnt(0)
	v_add_f32_e32 v9, v9, v10
	ds_bpermute_b32 v10, v5, v9
	s_waitcnt lgkmcnt(0)
	v_add_f32_e32 v9, v9, v10
	;; [unrolled: 3-line block ×3, first 2 shown]
	ds_bpermute_b32 v12, v7, v9
	v_lshl_add_u64 v[10:11], s[4:5], 0, v[0:1]
	v_cmp_le_i64_e64 s[2:3], s[26:27], v[10:11]
	s_or_b64 s[2:3], s[0:1], s[2:3]
	s_or_b64 s[2:3], s[8:9], s[2:3]
	s_waitcnt lgkmcnt(0)
	v_add_f32_e32 v9, v9, v12
	s_xor_b64 s[10:11], s[2:3], -1
	s_and_saveexec_b64 s[2:3], s[10:11]
	s_cbranch_execz .LBB151_134
; %bb.138:                              ;   in Loop: Header=BB151_135 Depth=1
	global_store_dword v[2:3], v9, off
	s_branch .LBB151_134
.LBB151_139:
	s_endpgm
	.section	.rodata,"a",@progbits
	.p2align	6, 0x0
	.amdhsa_kernel _ZN2at6native12_GLOBAL__N_135GammaBetaBackwardCUDAKernelTemplateIffLj64ELj16ELj256ELb0ELb0ELb1EEEvllPKT_S5_PKT0_S8_PS3_S9_
		.amdhsa_group_segment_fixed_size 0
		.amdhsa_private_segment_fixed_size 224
		.amdhsa_kernarg_size 320
		.amdhsa_user_sgpr_count 2
		.amdhsa_user_sgpr_dispatch_ptr 0
		.amdhsa_user_sgpr_queue_ptr 0
		.amdhsa_user_sgpr_kernarg_segment_ptr 1
		.amdhsa_user_sgpr_dispatch_id 0
		.amdhsa_user_sgpr_kernarg_preload_length 0
		.amdhsa_user_sgpr_kernarg_preload_offset 0
		.amdhsa_user_sgpr_private_segment_size 0
		.amdhsa_uses_dynamic_stack 0
		.amdhsa_enable_private_segment 1
		.amdhsa_system_sgpr_workgroup_id_x 1
		.amdhsa_system_sgpr_workgroup_id_y 1
		.amdhsa_system_sgpr_workgroup_id_z 0
		.amdhsa_system_sgpr_workgroup_info 0
		.amdhsa_system_vgpr_workitem_id 1
		.amdhsa_next_free_vgpr 128
		.amdhsa_next_free_sgpr 80
		.amdhsa_accum_offset 128
		.amdhsa_reserve_vcc 1
		.amdhsa_float_round_mode_32 0
		.amdhsa_float_round_mode_16_64 0
		.amdhsa_float_denorm_mode_32 3
		.amdhsa_float_denorm_mode_16_64 3
		.amdhsa_dx10_clamp 1
		.amdhsa_ieee_mode 1
		.amdhsa_fp16_overflow 0
		.amdhsa_tg_split 0
		.amdhsa_exception_fp_ieee_invalid_op 0
		.amdhsa_exception_fp_denorm_src 0
		.amdhsa_exception_fp_ieee_div_zero 0
		.amdhsa_exception_fp_ieee_overflow 0
		.amdhsa_exception_fp_ieee_underflow 0
		.amdhsa_exception_fp_ieee_inexact 0
		.amdhsa_exception_int_div_zero 0
	.end_amdhsa_kernel
	.section	.text._ZN2at6native12_GLOBAL__N_135GammaBetaBackwardCUDAKernelTemplateIffLj64ELj16ELj256ELb0ELb0ELb1EEEvllPKT_S5_PKT0_S8_PS3_S9_,"axG",@progbits,_ZN2at6native12_GLOBAL__N_135GammaBetaBackwardCUDAKernelTemplateIffLj64ELj16ELj256ELb0ELb0ELb1EEEvllPKT_S5_PKT0_S8_PS3_S9_,comdat
.Lfunc_end151:
	.size	_ZN2at6native12_GLOBAL__N_135GammaBetaBackwardCUDAKernelTemplateIffLj64ELj16ELj256ELb0ELb0ELb1EEEvllPKT_S5_PKT0_S8_PS3_S9_, .Lfunc_end151-_ZN2at6native12_GLOBAL__N_135GammaBetaBackwardCUDAKernelTemplateIffLj64ELj16ELj256ELb0ELb0ELb1EEEvllPKT_S5_PKT0_S8_PS3_S9_
                                        ; -- End function
	.section	.AMDGPU.csdata,"",@progbits
; Kernel info:
; codeLenInByte = 12232
; NumSgprs: 86
; NumVgprs: 128
; NumAgprs: 0
; TotalNumVgprs: 128
; ScratchSize: 224
; MemoryBound: 0
; FloatMode: 240
; IeeeMode: 1
; LDSByteSize: 0 bytes/workgroup (compile time only)
; SGPRBlocks: 10
; VGPRBlocks: 15
; NumSGPRsForWavesPerEU: 86
; NumVGPRsForWavesPerEU: 128
; AccumOffset: 128
; Occupancy: 4
; WaveLimiterHint : 0
; COMPUTE_PGM_RSRC2:SCRATCH_EN: 1
; COMPUTE_PGM_RSRC2:USER_SGPR: 2
; COMPUTE_PGM_RSRC2:TRAP_HANDLER: 0
; COMPUTE_PGM_RSRC2:TGID_X_EN: 1
; COMPUTE_PGM_RSRC2:TGID_Y_EN: 1
; COMPUTE_PGM_RSRC2:TGID_Z_EN: 0
; COMPUTE_PGM_RSRC2:TIDIG_COMP_CNT: 1
; COMPUTE_PGM_RSRC3_GFX90A:ACCUM_OFFSET: 31
; COMPUTE_PGM_RSRC3_GFX90A:TG_SPLIT: 0
	.section	.text._ZN2at6native12_GLOBAL__N_135GammaBetaBackwardCUDAKernelTemplateIffLj32ELj1ELj32ELb1ELb1ELb1EEEvllPKT_S5_PKT0_S8_PS3_S9_,"axG",@progbits,_ZN2at6native12_GLOBAL__N_135GammaBetaBackwardCUDAKernelTemplateIffLj32ELj1ELj32ELb1ELb1ELb1EEEvllPKT_S5_PKT0_S8_PS3_S9_,comdat
	.globl	_ZN2at6native12_GLOBAL__N_135GammaBetaBackwardCUDAKernelTemplateIffLj32ELj1ELj32ELb1ELb1ELb1EEEvllPKT_S5_PKT0_S8_PS3_S9_ ; -- Begin function _ZN2at6native12_GLOBAL__N_135GammaBetaBackwardCUDAKernelTemplateIffLj32ELj1ELj32ELb1ELb1ELb1EEEvllPKT_S5_PKT0_S8_PS3_S9_
	.p2align	8
	.type	_ZN2at6native12_GLOBAL__N_135GammaBetaBackwardCUDAKernelTemplateIffLj32ELj1ELj32ELb1ELb1ELb1EEEvllPKT_S5_PKT0_S8_PS3_S9_,@function
_ZN2at6native12_GLOBAL__N_135GammaBetaBackwardCUDAKernelTemplateIffLj32ELj1ELj32ELb1ELb1ELb1EEEvllPKT_S5_PKT0_S8_PS3_S9_: ; @_ZN2at6native12_GLOBAL__N_135GammaBetaBackwardCUDAKernelTemplateIffLj32ELj1ELj32ELb1ELb1ELb1EEEvllPKT_S5_PKT0_S8_PS3_S9_
; %bb.0:
	s_load_dwordx4 s[8:11], s[0:1], 0x0
	s_load_dwordx2 s[16:17], s[0:1], 0x30
	s_lshl_b32 s18, s3, 5
	s_mov_b32 s19, 0
	s_mov_b32 s6, s3
	s_waitcnt lgkmcnt(0)
	v_mov_b64_e32 v[2:3], s[8:9]
	v_cmp_ge_i64_e32 vcc, s[18:19], v[2:3]
	v_mov_b32_e32 v11, 0
	v_bfe_u32 v2, v0, 10, 10
	s_cbranch_vccnz .LBB152_7
; %bb.1:
	s_load_dword s3, s[0:1], 0x4c
	s_load_dword s7, s[0:1], 0x44
	s_load_dwordx4 s[12:15], s[0:1], 0x10
	s_load_dwordx2 s[22:23], s[0:1], 0x28
	v_and_b32_e32 v1, 0x3ff, v0
	s_waitcnt lgkmcnt(0)
	s_and_b32 s3, s3, 0xffff
	v_mad_u32_u24 v3, v2, s3, v1
	v_lshlrev_b32_e32 v10, 5, v2
	v_mov_b32_e32 v11, 0
	v_lshl_or_b32 v8, s2, 5, v1
	v_mbcnt_lo_u32_b32 v1, -1, 0
	v_and_b32_e32 v4, 63, v3
	v_mov_b32_e32 v5, v11
	v_mbcnt_hi_u32_b32 v1, -1, v1
	s_lshl_b32 s20, s7, 5
	v_lshl_add_u64 v[12:13], v[10:11], 0, s[18:19]
	v_cmp_gt_u32_e64 s[4:5], 32, v4
	v_mov_b32_e32 v9, v11
	v_lshlrev_b32_e32 v1, 2, v1
	v_lshl_add_u64 v[4:5], v[12:13], 0, v[4:5]
	v_mul_lo_u32 v10, s11, v12
	v_mul_lo_u32 v14, s10, v13
	v_mad_u64_u32 v[12:13], s[24:25], s10, v12, 0
	s_mul_i32 s3, s11, s20
	s_mul_hi_u32 s7, s10, s20
	v_and_b32_e32 v1, 0x100, v1
	s_mov_b32 s21, s19
	v_add3_u32 v13, v13, v14, v10
	v_lshlrev_b64 v[8:9], 2, v[8:9]
	s_add_i32 s25, s7, s3
	s_mul_i32 s24, s10, s20
	v_or_b32_e32 v3, 4, v1
	v_or_b32_e32 v38, 8, v1
	;; [unrolled: 1-line block ×31, first 2 shown]
	v_lshl_add_u64 v[6:7], v[4:5], 2, s[22:23]
	s_lshl_b64 s[22:23], s[20:21], 2
	v_lshl_add_u64 v[8:9], v[12:13], 2, v[8:9]
	s_lshl_b64 s[24:25], s[24:25], 2
	s_lshl_b64 s[26:27], s[10:11], 2
	v_mov_b64_e32 v[12:13], s[8:9]
	s_branch .LBB152_4
.LBB152_2:                              ;   in Loop: Header=BB152_4 Depth=1
	s_or_b64 exec, exec, s[30:31]
.LBB152_3:                              ;   in Loop: Header=BB152_4 Depth=1
	s_or_b64 exec, exec, s[28:29]
	v_lshl_add_u64 v[14:15], s[12:13], 0, v[8:9]
	v_lshl_add_u64 v[16:17], s[14:15], 0, v[8:9]
	global_load_dword v72, v[14:15], off
	global_load_dword v73, v[16:17], off
	v_lshl_add_u64 v[14:15], v[14:15], 0, s[26:27]
	v_lshl_add_u64 v[16:17], v[16:17], 0, s[26:27]
	global_load_dword v74, v[14:15], off
	global_load_dword v75, v[16:17], off
	;; [unrolled: 4-line block ×30, first 2 shown]
	v_lshl_add_u64 v[68:69], v[14:15], 0, s[26:27]
	global_load_dword v14, v[68:69], off
	v_lshl_add_u64 v[70:71], v[16:17], 0, s[26:27]
	v_lshl_add_u64 v[68:69], v[68:69], 0, s[26:27]
	global_load_dword v15, v[68:69], off
	v_lshl_add_u64 v[68:69], v[70:71], 0, s[26:27]
	global_load_dword v16, v[70:71], off
	global_load_dword v17, v[68:69], off
	s_waitcnt vmcnt(62)
	ds_bpermute_b32 v112, v1, v10
	ds_bpermute_b32 v68, v3, v10
	v_mul_f32_e32 v69, v72, v73
	s_waitcnt vmcnt(60)
	v_mul_f32_e32 v70, v74, v75
	s_add_u32 s18, s18, s20
	s_waitcnt lgkmcnt(1)
	v_fmac_f32_e32 v11, v69, v112
	ds_bpermute_b32 v69, v38, v10
	s_waitcnt lgkmcnt(1)
	v_fmac_f32_e32 v11, v70, v68
	ds_bpermute_b32 v68, v39, v10
	s_waitcnt vmcnt(58)
	v_mul_f32_e32 v70, v76, v77
	s_addc_u32 s19, s19, 0
	s_waitcnt lgkmcnt(1)
	v_fmac_f32_e32 v11, v70, v69
	ds_bpermute_b32 v69, v40, v10
	s_waitcnt vmcnt(56)
	v_mul_f32_e32 v70, v78, v79
	s_waitcnt lgkmcnt(1)
	v_fmac_f32_e32 v11, v70, v68
	ds_bpermute_b32 v68, v41, v10
	s_waitcnt vmcnt(54)
	v_mul_f32_e32 v70, v80, v81
	;; [unrolled: 5-line block ×15, first 2 shown]
	s_waitcnt lgkmcnt(1)
	v_fmac_f32_e32 v11, v70, v68
	s_waitcnt vmcnt(26)
	v_mul_f32_e32 v68, v108, v109
	ds_bpermute_b32 v70, v55, v10
	s_waitcnt lgkmcnt(1)
	v_fmac_f32_e32 v11, v68, v69
	ds_bpermute_b32 v68, v56, v10
	ds_bpermute_b32 v69, v57, v10
	s_waitcnt vmcnt(20)
	v_pk_mul_f32 v[34:35], v[34:35], v[36:37]
	ds_bpermute_b32 v36, v58, v10
	ds_bpermute_b32 v37, v59, v10
	v_mul_f32_e32 v71, v110, v111
	s_waitcnt lgkmcnt(4)
	v_fmac_f32_e32 v11, v71, v70
	s_waitcnt lgkmcnt(2)
	v_pk_mul_f32 v[34:35], v[34:35], v[68:69]
	s_waitcnt vmcnt(16)
	v_pk_mul_f32 v[28:29], v[28:29], v[32:33]
	v_add_f32_e32 v11, v11, v34
	v_add_f32_e32 v11, v11, v35
	s_waitcnt lgkmcnt(0)
	v_pk_mul_f32 v[28:29], v[28:29], v[36:37]
	ds_bpermute_b32 v32, v60, v10
	ds_bpermute_b32 v33, v61, v10
	v_add_f32_e32 v11, v11, v28
	v_add_f32_e32 v11, v11, v29
	ds_bpermute_b32 v28, v62, v10
	ds_bpermute_b32 v29, v63, v10
	s_waitcnt vmcnt(12)
	v_pk_mul_f32 v[26:27], v[26:27], v[30:31]
	s_waitcnt vmcnt(8)
	v_pk_mul_f32 v[20:21], v[20:21], v[24:25]
	s_waitcnt lgkmcnt(2)
	v_pk_mul_f32 v[26:27], v[26:27], v[32:33]
	ds_bpermute_b32 v24, v64, v10
	v_add_f32_e32 v11, v11, v26
	ds_bpermute_b32 v25, v65, v10
	v_add_f32_e32 v11, v11, v27
	s_waitcnt lgkmcnt(2)
	v_pk_mul_f32 v[20:21], v[20:21], v[28:29]
	s_waitcnt vmcnt(4)
	v_pk_mul_f32 v[18:19], v[18:19], v[22:23]
	v_add_f32_e32 v11, v11, v20
	v_add_f32_e32 v26, v11, v21
	ds_bpermute_b32 v20, v66, v10
	ds_bpermute_b32 v21, v67, v10
	s_waitcnt lgkmcnt(2)
	v_pk_mul_f32 v[10:11], v[18:19], v[24:25]
	v_cmp_lt_i64_e32 vcc, s[18:19], v[12:13]
	v_add_f32_e32 v10, v26, v10
	v_add_f32_e32 v18, v10, v11
	s_waitcnt vmcnt(0)
	v_pk_mul_f32 v[10:11], v[14:15], v[16:17]
	v_lshl_add_u64 v[6:7], v[6:7], 0, s[22:23]
	s_waitcnt lgkmcnt(0)
	v_pk_mul_f32 v[10:11], v[10:11], v[20:21]
	v_lshl_add_u64 v[4:5], v[4:5], 0, s[20:21]
	v_add_f32_e32 v10, v18, v10
	v_add_f32_e32 v11, v10, v11
	v_lshl_add_u64 v[8:9], v[8:9], 0, s[24:25]
	s_cbranch_vccz .LBB152_7
.LBB152_4:                              ; =>This Inner Loop Header: Depth=1
	v_mov_b32_e32 v10, 0
	s_and_saveexec_b64 s[28:29], s[4:5]
	s_cbranch_execz .LBB152_3
; %bb.5:                                ;   in Loop: Header=BB152_4 Depth=1
	v_cmp_gt_i64_e32 vcc, s[8:9], v[4:5]
	v_mov_b32_e32 v10, 0
	s_and_saveexec_b64 s[30:31], vcc
	s_cbranch_execz .LBB152_2
; %bb.6:                                ;   in Loop: Header=BB152_4 Depth=1
	global_load_dword v10, v[6:7], off
	s_branch .LBB152_2
.LBB152_7:
	s_cmp_eq_u64 s[16:17], 0
	s_cbranch_scc1 .LBB152_9
; %bb.8:
	s_load_dword s0, s[0:1], 0x4c
	v_mov_b32_e32 v3, 0
	v_mov_b32_e32 v1, s6
	s_mov_b32 s3, 0
	v_and_b32_e32 v0, 0x3ff, v0
	s_waitcnt lgkmcnt(0)
	s_lshr_b32 s0, s0, 16
	v_mad_u64_u32 v[4:5], s[0:1], s0, v1, v[2:3]
	v_mul_lo_u32 v1, v5, s10
	v_mul_lo_u32 v2, v4, s11
	v_mad_u64_u32 v[4:5], s[0:1], v4, s10, 0
	s_lshl_b64 s[0:1], s[2:3], 7
	s_add_u32 s0, s0, s16
	v_add3_u32 v5, v5, v2, v1
	s_addc_u32 s1, s1, s17
	v_lshl_add_u64 v[4:5], v[4:5], 2, s[0:1]
	v_lshlrev_b32_e32 v2, 2, v0
	v_lshl_add_u64 v[0:1], v[4:5], 0, v[2:3]
	global_store_dword v[0:1], v11, off
.LBB152_9:
	s_endpgm
	.section	.rodata,"a",@progbits
	.p2align	6, 0x0
	.amdhsa_kernel _ZN2at6native12_GLOBAL__N_135GammaBetaBackwardCUDAKernelTemplateIffLj32ELj1ELj32ELb1ELb1ELb1EEEvllPKT_S5_PKT0_S8_PS3_S9_
		.amdhsa_group_segment_fixed_size 0
		.amdhsa_private_segment_fixed_size 0
		.amdhsa_kernarg_size 320
		.amdhsa_user_sgpr_count 2
		.amdhsa_user_sgpr_dispatch_ptr 0
		.amdhsa_user_sgpr_queue_ptr 0
		.amdhsa_user_sgpr_kernarg_segment_ptr 1
		.amdhsa_user_sgpr_dispatch_id 0
		.amdhsa_user_sgpr_kernarg_preload_length 0
		.amdhsa_user_sgpr_kernarg_preload_offset 0
		.amdhsa_user_sgpr_private_segment_size 0
		.amdhsa_uses_dynamic_stack 0
		.amdhsa_enable_private_segment 0
		.amdhsa_system_sgpr_workgroup_id_x 1
		.amdhsa_system_sgpr_workgroup_id_y 1
		.amdhsa_system_sgpr_workgroup_id_z 0
		.amdhsa_system_sgpr_workgroup_info 0
		.amdhsa_system_vgpr_workitem_id 1
		.amdhsa_next_free_vgpr 113
		.amdhsa_next_free_sgpr 32
		.amdhsa_accum_offset 116
		.amdhsa_reserve_vcc 1
		.amdhsa_float_round_mode_32 0
		.amdhsa_float_round_mode_16_64 0
		.amdhsa_float_denorm_mode_32 3
		.amdhsa_float_denorm_mode_16_64 3
		.amdhsa_dx10_clamp 1
		.amdhsa_ieee_mode 1
		.amdhsa_fp16_overflow 0
		.amdhsa_tg_split 0
		.amdhsa_exception_fp_ieee_invalid_op 0
		.amdhsa_exception_fp_denorm_src 0
		.amdhsa_exception_fp_ieee_div_zero 0
		.amdhsa_exception_fp_ieee_overflow 0
		.amdhsa_exception_fp_ieee_underflow 0
		.amdhsa_exception_fp_ieee_inexact 0
		.amdhsa_exception_int_div_zero 0
	.end_amdhsa_kernel
	.section	.text._ZN2at6native12_GLOBAL__N_135GammaBetaBackwardCUDAKernelTemplateIffLj32ELj1ELj32ELb1ELb1ELb1EEEvllPKT_S5_PKT0_S8_PS3_S9_,"axG",@progbits,_ZN2at6native12_GLOBAL__N_135GammaBetaBackwardCUDAKernelTemplateIffLj32ELj1ELj32ELb1ELb1ELb1EEEvllPKT_S5_PKT0_S8_PS3_S9_,comdat
.Lfunc_end152:
	.size	_ZN2at6native12_GLOBAL__N_135GammaBetaBackwardCUDAKernelTemplateIffLj32ELj1ELj32ELb1ELb1ELb1EEEvllPKT_S5_PKT0_S8_PS3_S9_, .Lfunc_end152-_ZN2at6native12_GLOBAL__N_135GammaBetaBackwardCUDAKernelTemplateIffLj32ELj1ELj32ELb1ELb1ELb1EEEvllPKT_S5_PKT0_S8_PS3_S9_
                                        ; -- End function
	.section	.AMDGPU.csdata,"",@progbits
; Kernel info:
; codeLenInByte = 2484
; NumSgprs: 38
; NumVgprs: 113
; NumAgprs: 0
; TotalNumVgprs: 113
; ScratchSize: 0
; MemoryBound: 0
; FloatMode: 240
; IeeeMode: 1
; LDSByteSize: 0 bytes/workgroup (compile time only)
; SGPRBlocks: 4
; VGPRBlocks: 14
; NumSGPRsForWavesPerEU: 38
; NumVGPRsForWavesPerEU: 113
; AccumOffset: 116
; Occupancy: 4
; WaveLimiterHint : 0
; COMPUTE_PGM_RSRC2:SCRATCH_EN: 0
; COMPUTE_PGM_RSRC2:USER_SGPR: 2
; COMPUTE_PGM_RSRC2:TRAP_HANDLER: 0
; COMPUTE_PGM_RSRC2:TGID_X_EN: 1
; COMPUTE_PGM_RSRC2:TGID_Y_EN: 1
; COMPUTE_PGM_RSRC2:TGID_Z_EN: 0
; COMPUTE_PGM_RSRC2:TIDIG_COMP_CNT: 1
; COMPUTE_PGM_RSRC3_GFX90A:ACCUM_OFFSET: 28
; COMPUTE_PGM_RSRC3_GFX90A:TG_SPLIT: 0
	.section	.text._ZN2at6native12_GLOBAL__N_135GammaBetaBackwardCUDAKernelTemplateIffLj32ELj1ELj32ELb1ELb0ELb1EEEvllPKT_S5_PKT0_S8_PS3_S9_,"axG",@progbits,_ZN2at6native12_GLOBAL__N_135GammaBetaBackwardCUDAKernelTemplateIffLj32ELj1ELj32ELb1ELb0ELb1EEEvllPKT_S5_PKT0_S8_PS3_S9_,comdat
	.globl	_ZN2at6native12_GLOBAL__N_135GammaBetaBackwardCUDAKernelTemplateIffLj32ELj1ELj32ELb1ELb0ELb1EEEvllPKT_S5_PKT0_S8_PS3_S9_ ; -- Begin function _ZN2at6native12_GLOBAL__N_135GammaBetaBackwardCUDAKernelTemplateIffLj32ELj1ELj32ELb1ELb0ELb1EEEvllPKT_S5_PKT0_S8_PS3_S9_
	.p2align	8
	.type	_ZN2at6native12_GLOBAL__N_135GammaBetaBackwardCUDAKernelTemplateIffLj32ELj1ELj32ELb1ELb0ELb1EEEvllPKT_S5_PKT0_S8_PS3_S9_,@function
_ZN2at6native12_GLOBAL__N_135GammaBetaBackwardCUDAKernelTemplateIffLj32ELj1ELj32ELb1ELb0ELb1EEEvllPKT_S5_PKT0_S8_PS3_S9_: ; @_ZN2at6native12_GLOBAL__N_135GammaBetaBackwardCUDAKernelTemplateIffLj32ELj1ELj32ELb1ELb0ELb1EEEvllPKT_S5_PKT0_S8_PS3_S9_
; %bb.0:
	s_load_dwordx8 s[12:19], s[0:1], 0x0
	s_load_dwordx2 s[10:11], s[0:1], 0x28
	s_mov_b32 s8, s3
	s_lshl_b32 s3, s2, 5
	s_or_b32 s20, s3, 31
	s_mov_b32 s21, 0
	s_waitcnt lgkmcnt(0)
	v_mov_b64_e32 v[2:3], s[14:15]
	v_cmp_ge_i64_e32 vcc, s[20:21], v[2:3]
	s_lshl_b32 s20, s8, 5
	v_mov_b64_e32 v[2:3], s[12:13]
	v_cmp_lt_i64_e64 s[4:5], s[20:21], v[2:3]
	s_nop 1
	v_cndmask_b32_e64 v1, 0, 1, s[4:5]
	v_cmp_ne_u32_e64 s[4:5], 1, v1
	s_cbranch_vccz .LBB153_145
; %bb.1:
	s_and_b64 vcc, exec, s[4:5]
	v_mov_b32_e32 v31, 0
	s_cbranch_vccnz .LBB153_147
; %bb.2:
	v_mov_b32_e32 v209, 0
	v_bfe_u32 v161, v0, 10, 10
	v_lshlrev_b32_e32 v2, 5, v161
	v_mov_b32_e32 v3, v209
	v_lshl_add_u64 v[130:131], v[2:3], 0, s[20:21]
	v_lshl_add_u64 v[6:7], v[130:131], 0, 31
	v_and_b32_e32 v160, 0x3ff, v0
	v_mov_b32_e32 v206, v0
	v_mul_lo_u32 v0, s15, v6
	v_mul_lo_u32 v8, s14, v7
	v_mad_u64_u32 v[6:7], s[28:29], s14, v6, 0
	v_lshl_add_u64 v[10:11], v[130:131], 0, 30
	v_add3_u32 v7, v7, v8, v0
	v_mul_lo_u32 v0, s15, v10
	v_mul_lo_u32 v12, s14, v11
	v_mad_u64_u32 v[10:11], s[30:31], s14, v10, 0
	v_lshl_add_u64 v[14:15], v[130:131], 0, 29
	v_add3_u32 v11, v11, v12, v0
	;; [unrolled: 5-line block ×6, first 2 shown]
	v_mul_lo_u32 v0, s15, v30
	v_mul_lo_u32 v32, s14, v31
	v_mad_u64_u32 v[30:31], s[30:31], s14, v30, 0
	v_add3_u32 v31, v31, v32, v0
	v_lshlrev_b64 v[30:31], 2, v[30:31]
	v_lshl_add_u64 v[166:167], s[16:17], 0, v[30:31]
	v_lshl_add_u64 v[32:33], s[18:19], 0, v[30:31]
	v_lshl_add_u64 v[30:31], v[130:131], 0, 24
	v_mul_lo_u32 v0, s15, v30
	v_mul_lo_u32 v34, s14, v31
	v_mad_u64_u32 v[30:31], s[30:31], s14, v30, 0
	v_add3_u32 v31, v31, v34, v0
	v_lshlrev_b64 v[30:31], 2, v[30:31]
	v_lshl_add_u64 v[34:35], s[16:17], 0, v[30:31]
	v_lshl_add_u64 v[36:37], s[18:19], 0, v[30:31]
	v_lshl_add_u64 v[30:31], v[130:131], 0, 23
	;; [unrolled: 8-line block ×23, first 2 shown]
	v_mul_lo_u32 v0, s15, v30
	v_mul_lo_u32 v122, s14, v31
	v_mad_u64_u32 v[30:31], s[30:31], s14, v30, 0
	v_add3_u32 v31, v31, v122, v0
	v_lshlrev_b64 v[30:31], 2, v[30:31]
	s_load_dword s9, s[0:1], 0x44
	v_lshl_add_u64 v[122:123], s[16:17], 0, v[30:31]
	v_lshl_add_u64 v[124:125], s[18:19], 0, v[30:31]
	v_mov_b64_e32 v[30:31], s[14:15]
	v_mad_u64_u32 v[30:31], s[30:31], s14, v130, v[30:31]
	v_mul_lo_u32 v0, s14, v131
	v_mul_lo_u32 v131, s15, v130
	v_add3_u32 v31, v131, v31, v0
	v_lshlrev_b64 v[30:31], 2, v[30:31]
	s_add_u32 s24, s0, 64
	v_lshl_add_u64 v[126:127], s[16:17], 0, v[30:31]
	v_lshl_add_u64 v[128:129], s[18:19], 0, v[30:31]
	v_mad_u64_u32 v[30:31], s[30:31], s14, v130, 0
	s_addc_u32 s25, s1, 0
	s_waitcnt lgkmcnt(0)
	s_lshl_b32 s22, s9, 5
	v_add3_u32 v31, v31, v0, v131
	v_mbcnt_lo_u32_b32 v0, -1, 0
	s_mul_i32 s9, s15, s22
	s_mul_hi_u32 s28, s14, s22
	v_mbcnt_hi_u32_b32 v0, -1, v0
	v_add_u32_e32 v208, s3, v160
	v_lshlrev_b64 v[8:9], 2, v[6:7]
	s_add_i32 s29, s28, s9
	s_mul_i32 s28, s14, s22
	v_lshlrev_b64 v[12:13], 2, v[10:11]
	v_lshlrev_b64 v[16:17], 2, v[14:15]
	;; [unrolled: 1-line block ×6, first 2 shown]
	v_lshlrev_b32_e32 v0, 2, v0
	s_mov_b32 s23, 0
	v_cmp_gt_i64_e64 s[6:7], s[14:15], v[208:209]
	v_lshlrev_b64 v[4:5], 2, v[208:209]
	s_mov_b64 s[26:27], 31
	v_lshl_add_u64 v[6:7], s[16:17], 0, v[8:9]
	s_lshl_b64 s[28:29], s[28:29], 2
	v_lshl_add_u64 v[8:9], s[18:19], 0, v[8:9]
	v_lshl_add_u64 v[10:11], s[16:17], 0, v[12:13]
	;; [unrolled: 1-line block ×13, first 2 shown]
	v_and_b32_e32 v162, 0x100, v0
	s_mov_b64 s[30:31], s[20:21]
	v_mov_b32_e32 v163, 0
.LBB153_3:                              ; =>This Inner Loop Header: Depth=1
	s_add_u32 s34, s20, s26
	s_addc_u32 s35, 0, s27
	v_mov_b64_e32 v[30:31], s[12:13]
	v_cmp_ge_i64_e32 vcc, s[34:35], v[30:31]
	v_lshl_add_u64 v[134:135], s[20:21], 0, v[2:3]
	s_cbranch_vccz .LBB153_73
; %bb.4:                                ;   in Loop: Header=BB153_3 Depth=1
	s_load_dword s9, s[24:25], 0xc
	v_mov_b32_e32 v165, 0
	v_mov_b32_e32 v164, 0
	s_waitcnt lgkmcnt(0)
	s_and_b32 s9, s9, 0xffff
	v_mad_u32_u24 v0, v161, s9, v160
	v_and_b32_e32 v208, 63, v0
	v_cmp_gt_u32_e32 vcc, 32, v208
	s_and_saveexec_b64 s[34:35], vcc
	s_cbranch_execz .LBB153_8
; %bb.5:                                ;   in Loop: Header=BB153_3 Depth=1
	v_lshl_add_u64 v[136:137], v[134:135], 0, v[208:209]
	v_cmp_gt_i64_e32 vcc, s[12:13], v[136:137]
	v_mov_b32_e32 v164, 0
	s_and_saveexec_b64 s[36:37], vcc
	s_cbranch_execz .LBB153_7
; %bb.6:                                ;   in Loop: Header=BB153_3 Depth=1
	v_lshl_add_u64 v[30:31], v[136:137], 2, s[10:11]
	global_load_dword v164, v[30:31], off
.LBB153_7:                              ;   in Loop: Header=BB153_3 Depth=1
	s_or_b64 exec, exec, s[36:37]
.LBB153_8:                              ;   in Loop: Header=BB153_3 Depth=1
	s_or_b64 exec, exec, s[34:35]
	v_cmp_gt_i64_e32 vcc, s[12:13], v[134:135]
	s_and_b64 s[36:37], s[6:7], vcc
	v_mov_b32_e32 v0, 0
	s_and_saveexec_b64 s[34:35], s[36:37]
	s_cbranch_execz .LBB153_10
; %bb.9:                                ;   in Loop: Header=BB153_3 Depth=1
	v_lshl_add_u64 v[30:31], v[130:131], 0, v[4:5]
	global_load_dword v165, v[30:31], off
	v_lshl_add_u64 v[30:31], v[132:133], 0, v[4:5]
	global_load_dword v0, v[30:31], off
.LBB153_10:                             ;   in Loop: Header=BB153_3 Depth=1
	s_or_b64 exec, exec, s[34:35]
	v_lshl_add_u64 v[30:31], v[134:135], 0, 1
	v_cmp_gt_i64_e32 vcc, s[12:13], v[30:31]
	s_and_b64 s[36:37], s[6:7], vcc
	v_mov_b32_e32 v30, 0
	v_mov_b32_e32 v31, 0
	v_mov_b32_e32 v168, 0
	s_and_saveexec_b64 s[34:35], s[36:37]
	s_cbranch_execz .LBB153_12
; %bb.11:                               ;   in Loop: Header=BB153_3 Depth=1
	v_lshl_add_u64 v[136:137], v[126:127], 0, v[4:5]
	global_load_dword v31, v[136:137], off
	v_lshl_add_u64 v[136:137], v[128:129], 0, v[4:5]
	global_load_dword v168, v[136:137], off
.LBB153_12:                             ;   in Loop: Header=BB153_3 Depth=1
	s_or_b64 exec, exec, s[34:35]
	v_lshl_add_u64 v[136:137], v[134:135], 0, 2
	v_cmp_gt_i64_e32 vcc, s[12:13], v[136:137]
	s_and_b64 s[36:37], s[6:7], vcc
	v_mov_b32_e32 v169, 0
	s_and_saveexec_b64 s[34:35], s[36:37]
	s_cbranch_execz .LBB153_14
; %bb.13:                               ;   in Loop: Header=BB153_3 Depth=1
	v_lshl_add_u64 v[136:137], v[122:123], 0, v[4:5]
	global_load_dword v30, v[136:137], off
	v_lshl_add_u64 v[136:137], v[124:125], 0, v[4:5]
	global_load_dword v169, v[136:137], off
.LBB153_14:                             ;   in Loop: Header=BB153_3 Depth=1
	s_or_b64 exec, exec, s[34:35]
	v_lshl_add_u64 v[136:137], v[134:135], 0, 3
	v_cmp_gt_i64_e32 vcc, s[12:13], v[136:137]
	s_and_b64 s[36:37], s[6:7], vcc
	v_mov_b32_e32 v170, 0
	v_mov_b32_e32 v171, 0
	v_mov_b32_e32 v172, 0
	s_and_saveexec_b64 s[34:35], s[36:37]
	s_cbranch_execz .LBB153_16
; %bb.15:                               ;   in Loop: Header=BB153_3 Depth=1
	v_lshl_add_u64 v[136:137], v[118:119], 0, v[4:5]
	global_load_dword v171, v[136:137], off
	v_lshl_add_u64 v[136:137], v[120:121], 0, v[4:5]
	global_load_dword v172, v[136:137], off
.LBB153_16:                             ;   in Loop: Header=BB153_3 Depth=1
	s_or_b64 exec, exec, s[34:35]
	v_lshl_add_u64 v[136:137], v[134:135], 0, 4
	v_cmp_gt_i64_e32 vcc, s[12:13], v[136:137]
	s_and_b64 s[36:37], s[6:7], vcc
	v_mov_b32_e32 v173, 0
	s_and_saveexec_b64 s[34:35], s[36:37]
	s_cbranch_execz .LBB153_18
; %bb.17:                               ;   in Loop: Header=BB153_3 Depth=1
	v_lshl_add_u64 v[136:137], v[114:115], 0, v[4:5]
	global_load_dword v170, v[136:137], off
	v_lshl_add_u64 v[136:137], v[116:117], 0, v[4:5]
	global_load_dword v173, v[136:137], off
.LBB153_18:                             ;   in Loop: Header=BB153_3 Depth=1
	;; [unrolled: 28-line block ×15, first 2 shown]
	s_or_b64 exec, exec, s[34:35]
	v_lshl_add_u64 v[204:205], v[134:135], 0, 31
	v_cmp_gt_i64_e32 vcc, s[12:13], v[204:205]
	s_and_b64 s[36:37], s[6:7], vcc
	v_mov_b32_e32 v194, 0
	s_and_saveexec_b64 s[34:35], s[36:37]
	s_cbranch_execz .LBB153_72
; %bb.71:                               ;   in Loop: Header=BB153_3 Depth=1
	v_lshl_add_u64 v[204:205], v[6:7], 0, v[4:5]
	global_load_dword v194, v[204:205], off
	v_lshl_add_u64 v[204:205], v[8:9], 0, v[4:5]
	global_load_dword v203, v[204:205], off
	s_waitcnt vmcnt(0)
	v_mul_f32_e32 v194, v194, v203
.LBB153_72:                             ;   in Loop: Header=BB153_3 Depth=1
	s_or_b64 exec, exec, s[34:35]
	s_waitcnt vmcnt(0)
	ds_bpermute_b32 v203, v162, v164
	ds_bpermute_b32 v204, v162, v164 offset:4
	v_mul_f32_e32 v0, v165, v0
	v_mul_f32_e32 v31, v31, v168
	ds_bpermute_b32 v165, v162, v164 offset:8
	s_waitcnt lgkmcnt(2)
	v_fma_f32 v0, v0, v203, v163
	s_waitcnt lgkmcnt(1)
	v_fmac_f32_e32 v0, v31, v204
	ds_bpermute_b32 v31, v162, v164 offset:12
	v_mul_f32_e32 v30, v30, v169
	s_waitcnt lgkmcnt(1)
	v_fmac_f32_e32 v0, v30, v165
	ds_bpermute_b32 v30, v162, v164 offset:16
	v_mul_f32_e32 v165, v171, v172
	;; [unrolled: 4-line block ×11, first 2 shown]
	s_waitcnt lgkmcnt(1)
	v_fmac_f32_e32 v0, v165, v30
	v_mul_f32_e32 v30, v191, v192
	ds_bpermute_b32 v165, v162, v164 offset:56
	s_waitcnt lgkmcnt(1)
	v_fmac_f32_e32 v0, v30, v31
	ds_bpermute_b32 v30, v162, v164 offset:60
	ds_bpermute_b32 v168, v162, v164 offset:64
	v_mul_f32_e32 v31, v190, v193
	s_waitcnt lgkmcnt(2)
	v_fmac_f32_e32 v0, v31, v165
	v_mul_f32_e32 v31, v196, v197
	s_waitcnt lgkmcnt(1)
	v_fmac_f32_e32 v0, v31, v30
	;; [unrolled: 3-line block ×3, first 2 shown]
	ds_bpermute_b32 v30, v162, v164 offset:76
	ds_bpermute_b32 v31, v162, v164 offset:80
	ds_bpermute_b32 v165, v162, v164 offset:68
	ds_bpermute_b32 v169, v162, v164 offset:72
	v_pk_mul_f32 v[136:137], v[136:137], v[138:139]
	v_mul_f32_e32 v168, v200, v201
	s_waitcnt lgkmcnt(2)
	v_pk_mul_f32 v[30:31], v[136:137], v[30:31]
	ds_bpermute_b32 v136, v162, v164 offset:84
	ds_bpermute_b32 v137, v162, v164 offset:88
	s_waitcnt lgkmcnt(3)
	v_fmac_f32_e32 v0, v168, v165
	v_mul_f32_e32 v165, v198, v202
	s_waitcnt lgkmcnt(2)
	v_fmac_f32_e32 v0, v165, v169
	v_add_f32_e32 v0, v0, v30
	ds_bpermute_b32 v138, v162, v164 offset:92
	ds_bpermute_b32 v139, v162, v164 offset:96
	v_add_f32_e32 v0, v0, v31
	v_pk_mul_f32 v[30:31], v[140:141], v[142:143]
	s_waitcnt lgkmcnt(2)
	v_pk_mul_f32 v[30:31], v[30:31], v[136:137]
	ds_bpermute_b32 v136, v162, v164 offset:100
	v_add_f32_e32 v0, v0, v30
	ds_bpermute_b32 v137, v162, v164 offset:104
	v_add_f32_e32 v0, v0, v31
	v_pk_mul_f32 v[30:31], v[144:145], v[146:147]
	s_waitcnt lgkmcnt(2)
	v_pk_mul_f32 v[30:31], v[30:31], v[138:139]
	ds_bpermute_b32 v138, v162, v164 offset:108
	v_add_f32_e32 v0, v0, v30
	;; [unrolled: 7-line block ×3, first 2 shown]
	v_add_f32_e32 v0, v0, v31
	v_pk_mul_f32 v[30:31], v[152:153], v[154:155]
	ds_bpermute_b32 v137, v162, v164 offset:120
	s_waitcnt lgkmcnt(2)
	v_pk_mul_f32 v[30:31], v[30:31], v[138:139]
	s_nop 0
	v_add_f32_e32 v0, v0, v30
	v_add_f32_e32 v138, v0, v31
	ds_bpermute_b32 v0, v162, v164 offset:124
	v_pk_mul_f32 v[30:31], v[156:157], v[158:159]
	s_waitcnt lgkmcnt(1)
	v_pk_mul_f32 v[30:31], v[30:31], v[136:137]
	s_nop 0
	v_add_f32_e32 v30, v138, v30
	v_add_f32_e32 v31, v30, v31
	s_branch .LBB153_141
.LBB153_73:                             ;   in Loop: Header=BB153_3 Depth=1
                                        ; implicit-def: $vgpr31
                                        ; implicit-def: $vgpr194
                                        ; implicit-def: $vgpr0
	s_cbranch_execz .LBB153_141
; %bb.74:                               ;   in Loop: Header=BB153_3 Depth=1
	s_load_dword s9, s[24:25], 0x0
	v_mov_b32_e32 v30, 0
	v_mov_b32_e32 v158, 0
	s_waitcnt lgkmcnt(0)
	s_cmp_lt_u32 s2, s9
	s_cselect_b32 s9, 12, 18
	s_add_u32 s34, s24, s9
	s_addc_u32 s35, s25, 0
	global_load_ushort v0, v209, s[34:35]
	s_waitcnt vmcnt(0)
	v_mad_u32_u24 v0, v161, v0, v160
	v_and_b32_e32 v208, 63, v0
	v_cmp_gt_u32_e32 vcc, 32, v208
	s_and_saveexec_b64 s[34:35], vcc
	s_cbranch_execz .LBB153_78
; %bb.75:                               ;   in Loop: Header=BB153_3 Depth=1
	v_lshl_add_u64 v[134:135], v[134:135], 0, v[208:209]
	v_cmp_gt_i64_e32 vcc, s[12:13], v[134:135]
	v_mov_b32_e32 v158, 0
	s_and_saveexec_b64 s[36:37], vcc
	s_cbranch_execz .LBB153_77
; %bb.76:                               ;   in Loop: Header=BB153_3 Depth=1
	v_lshl_add_u64 v[134:135], v[134:135], 2, s[10:11]
	global_load_dword v158, v[134:135], off
.LBB153_77:                             ;   in Loop: Header=BB153_3 Depth=1
	s_or_b64 exec, exec, s[36:37]
.LBB153_78:                             ;   in Loop: Header=BB153_3 Depth=1
	s_or_b64 exec, exec, s[34:35]
	v_mov_b32_e32 v0, 0
	s_and_saveexec_b64 s[34:35], s[6:7]
	s_cbranch_execz .LBB153_80
; %bb.79:                               ;   in Loop: Header=BB153_3 Depth=1
	v_lshl_add_u64 v[30:31], v[130:131], 0, v[4:5]
	v_lshl_add_u64 v[134:135], v[132:133], 0, v[4:5]
	global_load_dword v30, v[30:31], off
	s_nop 0
	global_load_dword v0, v[134:135], off
.LBB153_80:                             ;   in Loop: Header=BB153_3 Depth=1
	s_or_b64 exec, exec, s[34:35]
	v_mov_b32_e32 v31, 0
	v_mov_b32_e32 v159, 0
	v_mov_b32_e32 v164, 0
	s_and_saveexec_b64 s[34:35], s[6:7]
	s_cbranch_execz .LBB153_82
; %bb.81:                               ;   in Loop: Header=BB153_3 Depth=1
	v_lshl_add_u64 v[134:135], v[126:127], 0, v[4:5]
	global_load_dword v159, v[134:135], off
	v_lshl_add_u64 v[134:135], v[128:129], 0, v[4:5]
	global_load_dword v164, v[134:135], off
.LBB153_82:                             ;   in Loop: Header=BB153_3 Depth=1
	s_or_b64 exec, exec, s[34:35]
	v_mov_b32_e32 v165, 0
	s_and_saveexec_b64 s[34:35], s[6:7]
	s_cbranch_execz .LBB153_84
; %bb.83:                               ;   in Loop: Header=BB153_3 Depth=1
	v_lshl_add_u64 v[134:135], v[122:123], 0, v[4:5]
	global_load_dword v31, v[134:135], off
	v_lshl_add_u64 v[134:135], v[124:125], 0, v[4:5]
	global_load_dword v165, v[134:135], off
.LBB153_84:                             ;   in Loop: Header=BB153_3 Depth=1
	s_or_b64 exec, exec, s[34:35]
	v_mov_b32_e32 v168, 0
	v_mov_b32_e32 v169, 0
	v_mov_b32_e32 v170, 0
	s_and_saveexec_b64 s[34:35], s[6:7]
	s_cbranch_execz .LBB153_86
; %bb.85:                               ;   in Loop: Header=BB153_3 Depth=1
	v_lshl_add_u64 v[134:135], v[118:119], 0, v[4:5]
	global_load_dword v169, v[134:135], off
	v_lshl_add_u64 v[134:135], v[120:121], 0, v[4:5]
	global_load_dword v170, v[134:135], off
.LBB153_86:                             ;   in Loop: Header=BB153_3 Depth=1
	s_or_b64 exec, exec, s[34:35]
	v_mov_b32_e32 v171, 0
	s_and_saveexec_b64 s[34:35], s[6:7]
	s_cbranch_execz .LBB153_88
; %bb.87:                               ;   in Loop: Header=BB153_3 Depth=1
	v_lshl_add_u64 v[134:135], v[114:115], 0, v[4:5]
	global_load_dword v168, v[134:135], off
	v_lshl_add_u64 v[134:135], v[116:117], 0, v[4:5]
	global_load_dword v171, v[134:135], off
.LBB153_88:                             ;   in Loop: Header=BB153_3 Depth=1
	;; [unrolled: 22-line block ×4, first 2 shown]
	s_or_b64 exec, exec, s[34:35]
	v_mov_b32_e32 v180, 0
	v_mov_b32_e32 v181, 0
	v_mov_b32_e32 v182, 0
	s_and_saveexec_b64 s[34:35], s[6:7]
	s_cbranch_execz .LBB153_98
; %bb.97:                               ;   in Loop: Header=BB153_3 Depth=1
	v_lshl_add_u64 v[134:135], v[94:95], 0, v[4:5]
	global_load_dword v181, v[134:135], off
	v_lshl_add_u64 v[134:135], v[96:97], 0, v[4:5]
	global_load_dword v182, v[134:135], off
.LBB153_98:                             ;   in Loop: Header=BB153_3 Depth=1
	s_or_b64 exec, exec, s[34:35]
	v_mov_b32_e32 v183, 0
	s_and_saveexec_b64 s[34:35], s[6:7]
	s_cbranch_execz .LBB153_100
; %bb.99:                               ;   in Loop: Header=BB153_3 Depth=1
	v_lshl_add_u64 v[134:135], v[90:91], 0, v[4:5]
	global_load_dword v180, v[134:135], off
	v_lshl_add_u64 v[134:135], v[92:93], 0, v[4:5]
	global_load_dword v183, v[134:135], off
.LBB153_100:                            ;   in Loop: Header=BB153_3 Depth=1
	s_or_b64 exec, exec, s[34:35]
	v_mov_b32_e32 v184, 0
	v_mov_b32_e32 v185, 0
	v_mov_b32_e32 v186, 0
	s_and_saveexec_b64 s[34:35], s[6:7]
	s_cbranch_execz .LBB153_102
; %bb.101:                              ;   in Loop: Header=BB153_3 Depth=1
	v_lshl_add_u64 v[134:135], v[86:87], 0, v[4:5]
	global_load_dword v185, v[134:135], off
	v_lshl_add_u64 v[134:135], v[88:89], 0, v[4:5]
	global_load_dword v186, v[134:135], off
.LBB153_102:                            ;   in Loop: Header=BB153_3 Depth=1
	s_or_b64 exec, exec, s[34:35]
	v_mov_b32_e32 v187, 0
	s_and_saveexec_b64 s[34:35], s[6:7]
	s_cbranch_execz .LBB153_104
; %bb.103:                              ;   in Loop: Header=BB153_3 Depth=1
	v_lshl_add_u64 v[134:135], v[82:83], 0, v[4:5]
	global_load_dword v184, v[134:135], off
	v_lshl_add_u64 v[134:135], v[84:85], 0, v[4:5]
	global_load_dword v187, v[134:135], off
.LBB153_104:                            ;   in Loop: Header=BB153_3 Depth=1
	s_or_b64 exec, exec, s[34:35]
	v_mov_b32_e32 v188, 0
	v_mov_b32_e32 v189, 0
	v_mov_b32_e32 v190, 0
	s_and_saveexec_b64 s[34:35], s[6:7]
	s_cbranch_execz .LBB153_106
; %bb.105:                              ;   in Loop: Header=BB153_3 Depth=1
	v_lshl_add_u64 v[134:135], v[78:79], 0, v[4:5]
	global_load_dword v189, v[134:135], off
	v_lshl_add_u64 v[134:135], v[80:81], 0, v[4:5]
	global_load_dword v190, v[134:135], off
.LBB153_106:                            ;   in Loop: Header=BB153_3 Depth=1
	s_or_b64 exec, exec, s[34:35]
	v_mov_b32_e32 v191, 0
	s_and_saveexec_b64 s[34:35], s[6:7]
	s_cbranch_execz .LBB153_108
; %bb.107:                              ;   in Loop: Header=BB153_3 Depth=1
	v_lshl_add_u64 v[134:135], v[74:75], 0, v[4:5]
	global_load_dword v188, v[134:135], off
	v_lshl_add_u64 v[134:135], v[76:77], 0, v[4:5]
	global_load_dword v191, v[134:135], off
.LBB153_108:                            ;   in Loop: Header=BB153_3 Depth=1
	;; [unrolled: 22-line block ×9, first 2 shown]
	s_or_b64 exec, exec, s[34:35]
	v_mov_b32_e32 v155, 0
	v_mov_b32_e32 v154, 0
	;; [unrolled: 1-line block ×3, first 2 shown]
	s_and_saveexec_b64 s[34:35], s[6:7]
	s_cbranch_execnz .LBB153_143
; %bb.137:                              ;   in Loop: Header=BB153_3 Depth=1
	s_or_b64 exec, exec, s[34:35]
	v_mov_b32_e32 v157, 0
	s_and_saveexec_b64 s[34:35], s[6:7]
	s_cbranch_execnz .LBB153_144
.LBB153_138:                            ;   in Loop: Header=BB153_3 Depth=1
	s_or_b64 exec, exec, s[34:35]
	v_mov_b32_e32 v194, 0
	s_and_saveexec_b64 s[34:35], s[6:7]
	s_cbranch_execz .LBB153_140
.LBB153_139:                            ;   in Loop: Header=BB153_3 Depth=1
	v_lshl_add_u64 v[202:203], v[6:7], 0, v[4:5]
	global_load_dword v194, v[202:203], off
	v_lshl_add_u64 v[202:203], v[8:9], 0, v[4:5]
	global_load_dword v201, v[202:203], off
	s_waitcnt vmcnt(0)
	v_mul_f32_e32 v194, v194, v201
.LBB153_140:                            ;   in Loop: Header=BB153_3 Depth=1
	s_or_b64 exec, exec, s[34:35]
	s_waitcnt vmcnt(0)
	ds_bpermute_b32 v201, v162, v158
	ds_bpermute_b32 v202, v162, v158 offset:4
	v_mul_f32_e32 v0, v30, v0
	v_mul_f32_e32 v30, v159, v164
	ds_bpermute_b32 v159, v162, v158 offset:8
	s_waitcnt lgkmcnt(2)
	v_fmac_f32_e32 v163, v0, v201
	ds_bpermute_b32 v0, v162, v158 offset:12
	s_waitcnt lgkmcnt(2)
	v_fmac_f32_e32 v163, v30, v202
	v_mul_f32_e32 v30, v31, v165
	s_waitcnt lgkmcnt(1)
	v_fmac_f32_e32 v163, v30, v159
	ds_bpermute_b32 v30, v162, v158 offset:16
	v_mul_f32_e32 v31, v169, v170
	s_waitcnt lgkmcnt(1)
	v_fmac_f32_e32 v163, v31, v0
	ds_bpermute_b32 v0, v162, v158 offset:20
	v_mul_f32_e32 v31, v168, v171
	s_waitcnt lgkmcnt(1)
	v_fmac_f32_e32 v163, v31, v30
	ds_bpermute_b32 v30, v162, v158 offset:24
	v_mul_f32_e32 v31, v173, v174
	s_waitcnt lgkmcnt(1)
	v_fmac_f32_e32 v163, v31, v0
	ds_bpermute_b32 v0, v162, v158 offset:28
	v_mul_f32_e32 v31, v172, v175
	s_waitcnt lgkmcnt(1)
	v_fmac_f32_e32 v163, v31, v30
	ds_bpermute_b32 v30, v162, v158 offset:32
	v_mul_f32_e32 v31, v177, v178
	s_waitcnt lgkmcnt(1)
	v_fmac_f32_e32 v163, v31, v0
	ds_bpermute_b32 v0, v162, v158 offset:36
	v_mul_f32_e32 v31, v176, v179
	s_waitcnt lgkmcnt(1)
	v_fmac_f32_e32 v163, v31, v30
	ds_bpermute_b32 v30, v162, v158 offset:40
	v_mul_f32_e32 v31, v181, v182
	s_waitcnt lgkmcnt(1)
	v_fmac_f32_e32 v163, v31, v0
	ds_bpermute_b32 v0, v162, v158 offset:44
	v_mul_f32_e32 v31, v180, v183
	s_waitcnt lgkmcnt(1)
	v_fmac_f32_e32 v163, v31, v30
	ds_bpermute_b32 v30, v162, v158 offset:48
	v_mul_f32_e32 v31, v185, v186
	s_waitcnt lgkmcnt(1)
	v_fmac_f32_e32 v163, v31, v0
	ds_bpermute_b32 v0, v162, v158 offset:52
	v_mul_f32_e32 v31, v184, v187
	s_waitcnt lgkmcnt(1)
	v_fmac_f32_e32 v163, v31, v30
	v_mul_f32_e32 v30, v189, v190
	ds_bpermute_b32 v31, v162, v158 offset:56
	s_waitcnt lgkmcnt(1)
	v_fmac_f32_e32 v163, v30, v0
	ds_bpermute_b32 v0, v162, v158 offset:60
	ds_bpermute_b32 v159, v162, v158 offset:64
	v_mul_f32_e32 v30, v188, v191
	s_waitcnt lgkmcnt(2)
	v_fmac_f32_e32 v163, v30, v31
	v_mul_f32_e32 v30, v193, v195
	s_waitcnt lgkmcnt(1)
	v_fmac_f32_e32 v163, v30, v0
	v_mul_f32_e32 v0, v192, v197
	ds_bpermute_b32 v30, v162, v158 offset:76
	ds_bpermute_b32 v31, v162, v158 offset:80
	s_waitcnt lgkmcnt(2)
	v_fmac_f32_e32 v163, v0, v159
	ds_bpermute_b32 v0, v162, v158 offset:68
	ds_bpermute_b32 v164, v162, v158 offset:72
	v_pk_mul_f32 v[134:135], v[134:135], v[136:137]
	v_mul_f32_e32 v159, v198, v199
	s_waitcnt lgkmcnt(2)
	v_pk_mul_f32 v[30:31], v[134:135], v[30:31]
	ds_bpermute_b32 v134, v162, v158 offset:84
	ds_bpermute_b32 v135, v162, v158 offset:88
	s_waitcnt lgkmcnt(3)
	v_fmac_f32_e32 v163, v159, v0
	v_mul_f32_e32 v0, v196, v200
	s_waitcnt lgkmcnt(2)
	v_fmac_f32_e32 v163, v0, v164
	v_add_f32_e32 v0, v163, v30
	ds_bpermute_b32 v136, v162, v158 offset:92
	ds_bpermute_b32 v137, v162, v158 offset:96
	v_add_f32_e32 v0, v0, v31
	v_pk_mul_f32 v[30:31], v[138:139], v[140:141]
	s_waitcnt lgkmcnt(2)
	v_pk_mul_f32 v[30:31], v[30:31], v[134:135]
	ds_bpermute_b32 v134, v162, v158 offset:100
	v_add_f32_e32 v0, v0, v30
	ds_bpermute_b32 v135, v162, v158 offset:104
	v_add_f32_e32 v0, v0, v31
	v_pk_mul_f32 v[30:31], v[142:143], v[144:145]
	s_waitcnt lgkmcnt(2)
	v_pk_mul_f32 v[30:31], v[30:31], v[136:137]
	ds_bpermute_b32 v136, v162, v158 offset:108
	v_add_f32_e32 v0, v0, v30
	;; [unrolled: 7-line block ×3, first 2 shown]
	ds_bpermute_b32 v135, v162, v158 offset:120
	v_add_f32_e32 v0, v0, v31
	v_pk_mul_f32 v[30:31], v[150:151], v[152:153]
	s_waitcnt lgkmcnt(2)
	v_pk_mul_f32 v[30:31], v[30:31], v[136:137]
	s_nop 0
	v_add_f32_e32 v0, v0, v30
	v_add_f32_e32 v136, v0, v31
	v_pk_mul_f32 v[30:31], v[154:155], v[156:157]
	ds_bpermute_b32 v0, v162, v158 offset:124
	s_waitcnt lgkmcnt(1)
	v_pk_mul_f32 v[30:31], v[30:31], v[134:135]
	s_nop 0
	v_add_f32_e32 v30, v136, v30
	v_add_f32_e32 v31, v30, v31
.LBB153_141:                            ;   in Loop: Header=BB153_3 Depth=1
	s_add_u32 s30, s30, s22
	s_addc_u32 s31, s31, 0
	v_mov_b64_e32 v[134:135], s[12:13]
	s_add_u32 s26, s26, s22
	v_cmp_lt_i64_e32 vcc, s[30:31], v[134:135]
	s_waitcnt lgkmcnt(0)
	v_fmac_f32_e32 v31, v194, v0
	v_lshl_add_u64 v[6:7], v[6:7], 0, s[28:29]
	v_lshl_add_u64 v[8:9], v[8:9], 0, s[28:29]
	;; [unrolled: 1-line block ×65, first 2 shown]
	s_addc_u32 s27, s27, 0
	s_cbranch_vccz .LBB153_146
; %bb.142:                              ;   in Loop: Header=BB153_3 Depth=1
	v_mov_b32_e32 v163, v31
	s_branch .LBB153_3
.LBB153_143:                            ;   in Loop: Header=BB153_3 Depth=1
	v_lshl_add_u64 v[156:157], v[14:15], 0, v[4:5]
	global_load_dword v154, v[156:157], off
	v_lshl_add_u64 v[156:157], v[16:17], 0, v[4:5]
	global_load_dword v156, v[156:157], off
	s_or_b64 exec, exec, s[34:35]
	v_mov_b32_e32 v157, 0
	s_and_saveexec_b64 s[34:35], s[6:7]
	s_cbranch_execz .LBB153_138
.LBB153_144:                            ;   in Loop: Header=BB153_3 Depth=1
	v_lshl_add_u64 v[202:203], v[10:11], 0, v[4:5]
	global_load_dword v155, v[202:203], off
	v_lshl_add_u64 v[202:203], v[12:13], 0, v[4:5]
	global_load_dword v157, v[202:203], off
	s_or_b64 exec, exec, s[34:35]
	v_mov_b32_e32 v194, 0
	s_and_saveexec_b64 s[34:35], s[6:7]
	s_cbranch_execnz .LBB153_139
	s_branch .LBB153_140
.LBB153_145:
                                        ; implicit-def: $vgpr31
	s_load_dwordx2 s[6:7], s[0:1], 0x30
	s_branch .LBB153_148
.LBB153_146:
	v_mov_b32_e32 v0, v206
.LBB153_147:
	s_load_dwordx2 s[6:7], s[0:1], 0x30
	s_cbranch_execnz .LBB153_229
.LBB153_148:
	s_and_b64 vcc, exec, s[4:5]
	v_mov_b32_e32 v31, 0
	s_cbranch_vccnz .LBB153_229
; %bb.149:
	v_and_b32_e32 v1, 0x3ff, v0
	v_add_u32_e32 v130, s3, v1
	v_mov_b32_e32 v131, 0
	v_bfe_u32 v31, v0, 10, 10
	v_lshlrev_b64 v[4:5], 2, v[130:131]
	v_lshlrev_b32_e32 v130, 7, v31
	v_accvgpr_write_b32 a0, v1
	v_accvgpr_write_b32 a74, v0
	v_lshl_add_u64 v[0:1], s[20:21], 2, v[130:131]
	v_mov_b64_e32 v[2:3], s[16:17]
	v_lshl_add_u64 v[10:11], v[0:1], 0, 8
	v_mov_b64_e32 v[8:9], s[18:19]
	v_mad_u64_u32 v[50:51], s[4:5], s14, v10, v[2:3]
	v_mul_lo_u32 v11, s14, v11
	v_mul_lo_u32 v25, s15, v10
	v_lshl_add_u64 v[12:13], v[0:1], 0, 12
	v_lshl_add_u64 v[16:17], v[0:1], 0, 20
	v_mad_u64_u32 v[66:67], s[4:5], s14, v10, v[8:9]
	v_add3_u32 v51, v25, v51, v11
	v_mad_u64_u32 v[52:53], s[4:5], s14, v12, v[2:3]
	v_mul_lo_u32 v13, s14, v13
	v_mul_lo_u32 v26, s15, v12
	;; [unrolled: 1-line block ×4, first 2 shown]
	v_lshl_add_u64 v[18:19], v[0:1], 0, 24
	v_add3_u32 v67, v25, v67, v11
	v_mad_u64_u32 v[68:69], s[4:5], s14, v12, v[8:9]
	v_mad_u64_u32 v[10:11], s[4:5], s14, v16, v[8:9]
	v_add3_u32 v53, v26, v53, v13
	v_mul_lo_u32 v19, s14, v19
	v_mul_lo_u32 v29, s15, v18
	v_add3_u32 v69, v26, v69, v13
	v_add3_u32 v11, v28, v11, v17
	v_mad_u64_u32 v[12:13], s[4:5], s14, v18, v[8:9]
	v_lshl_add_u64 v[14:15], v[0:1], 0, 16
	v_accvgpr_write_b32 a31, v11
	v_add3_u32 v13, v29, v13, v19
	v_mad_u64_u32 v[54:55], s[4:5], s14, v14, v[2:3]
	v_mul_lo_u32 v15, s14, v15
	v_mul_lo_u32 v27, s15, v14
	v_mad_u64_u32 v[72:73], s[4:5], s14, v14, v[8:9]
	v_accvgpr_write_b32 a30, v10
	v_lshl_add_u64 v[10:11], v[0:1], 0, 40
	v_accvgpr_write_b32 a33, v13
	v_add3_u32 v55, v27, v55, v15
	v_add3_u32 v73, v27, v73, v15
	v_accvgpr_write_b32 a32, v12
	v_mad_u64_u32 v[12:13], s[4:5], s14, v10, v[2:3]
	v_mul_lo_u32 v11, s14, v11
	v_mul_lo_u32 v15, s15, v10
	v_lshl_add_u64 v[6:7], v[0:1], 0, 4
	v_mad_u64_u32 v[56:57], s[4:5], s14, v16, v[2:3]
	v_lshl_add_u64 v[20:21], v[0:1], 0, 28
	v_add3_u32 v13, v15, v13, v11
	v_mad_u64_u32 v[48:49], s[4:5], s14, v6, v[2:3]
	v_mul_lo_u32 v7, s14, v7
	v_mul_lo_u32 v24, s15, v6
	v_add3_u32 v57, v28, v57, v17
	v_mul_lo_u32 v21, s14, v21
	v_mul_lo_u32 v30, s15, v20
	v_lshl_add_u64 v[22:23], v[0:1], 0, 32
	v_mad_u64_u32 v[64:65], s[4:5], s14, v6, v[8:9]
	v_mad_u64_u32 v[16:17], s[4:5], s14, v20, v[8:9]
	v_accvgpr_write_b32 a35, v13
	v_add3_u32 v49, v24, v49, v7
	v_mul_lo_u32 v23, s14, v23
	v_add3_u32 v65, v24, v65, v7
	v_mul_lo_u32 v24, s15, v22
	v_add3_u32 v17, v30, v17, v21
	v_accvgpr_write_b32 a34, v12
	v_mad_u64_u32 v[12:13], s[4:5], s14, v22, v[8:9]
	v_lshl_add_u64 v[6:7], v[0:1], 0, 36
	v_accvgpr_write_b32 a37, v17
	v_add3_u32 v13, v24, v13, v23
	v_mad_u64_u32 v[58:59], s[4:5], s14, v18, v[2:3]
	v_mul_lo_u32 v7, s14, v7
	v_mul_lo_u32 v14, s15, v6
	v_accvgpr_write_b32 a36, v16
	v_accvgpr_write_b32 a39, v13
	v_mad_u64_u32 v[16:17], s[4:5], s14, v6, v[8:9]
	v_add3_u32 v59, v29, v59, v19
	v_mad_u64_u32 v[70:71], s[4:5], s14, v6, v[2:3]
	v_accvgpr_write_b32 a38, v12
	v_lshl_add_u64 v[12:13], v[0:1], 0, 44
	v_add3_u32 v17, v14, v17, v7
	v_mad_u64_u32 v[18:19], s[4:5], s14, v10, v[8:9]
	v_add3_u32 v71, v14, v71, v7
	v_accvgpr_write_b32 a41, v17
	v_mul_lo_u32 v6, s14, v13
	v_add3_u32 v19, v15, v19, v11
	v_mul_lo_u32 v7, s15, v12
	v_mad_u64_u32 v[10:11], s[4:5], s14, v12, v[8:9]
	v_accvgpr_write_b32 a40, v16
	v_mad_u64_u32 v[16:17], s[4:5], s14, v12, v[2:3]
	v_add3_u32 v11, v7, v11, v6
	v_add3_u32 v17, v7, v17, v6
	v_accvgpr_write_b32 a47, v11
	v_lshl_add_u64 v[6:7], v[0:1], 0, 48
	v_accvgpr_write_b32 a46, v10
	v_mul_lo_u32 v7, s14, v7
	v_mul_lo_u32 v10, s15, v6
	v_mad_u64_u32 v[12:13], s[4:5], s14, v6, v[2:3]
	v_add3_u32 v13, v10, v13, v7
	v_accvgpr_write_b32 a49, v13
	v_accvgpr_write_b32 a48, v12
	v_mad_u64_u32 v[12:13], s[4:5], s14, v6, v[8:9]
	v_add3_u32 v13, v10, v13, v7
	v_accvgpr_write_b32 a51, v13
	v_lshl_add_u64 v[6:7], v[0:1], 0, 52
	v_accvgpr_write_b32 a50, v12
	v_mul_lo_u32 v7, s14, v7
	v_mul_lo_u32 v10, s15, v6
	v_mad_u64_u32 v[12:13], s[4:5], s14, v6, v[2:3]
	v_add3_u32 v13, v10, v13, v7
	v_accvgpr_write_b32 a53, v13
	v_accvgpr_write_b32 a52, v12
	v_mad_u64_u32 v[12:13], s[4:5], s14, v6, v[8:9]
	v_add3_u32 v13, v10, v13, v7
	v_accvgpr_write_b32 a55, v13
	v_lshl_add_u64 v[6:7], v[0:1], 0, 56
	v_accvgpr_write_b32 a54, v12
	v_mul_lo_u32 v7, s14, v7
	v_mul_lo_u32 v10, s15, v6
	v_mad_u64_u32 v[12:13], s[4:5], s14, v6, v[2:3]
	v_add3_u32 v13, v10, v13, v7
	v_accvgpr_write_b32 a57, v13
	v_accvgpr_write_b32 a56, v12
	v_mad_u64_u32 v[12:13], s[4:5], s14, v6, v[8:9]
	v_add3_u32 v13, v10, v13, v7
	v_accvgpr_write_b32 a59, v13
	v_lshl_add_u64 v[6:7], v[0:1], 0, 60
	v_accvgpr_write_b32 a58, v12
	v_mul_lo_u32 v7, s14, v7
	v_mul_lo_u32 v10, s15, v6
	v_mad_u64_u32 v[12:13], s[4:5], s14, v6, v[2:3]
	v_add3_u32 v13, v10, v13, v7
	v_accvgpr_write_b32 a61, v13
	v_accvgpr_write_b32 a60, v12
	v_mad_u64_u32 v[12:13], s[4:5], s14, v6, v[8:9]
	v_add3_u32 v13, v10, v13, v7
	v_accvgpr_write_b32 a63, v13
	v_lshl_add_u64 v[6:7], v[0:1], 0, 64
	v_accvgpr_write_b32 a62, v12
	v_mul_lo_u32 v7, s14, v7
	v_mul_lo_u32 v10, s15, v6
	v_mad_u64_u32 v[12:13], s[4:5], s14, v6, v[2:3]
	v_add3_u32 v13, v10, v13, v7
	v_accvgpr_write_b32 a65, v13
	v_mad_u64_u32 v[60:61], s[4:5], s14, v20, v[2:3]
	v_mad_u64_u32 v[62:63], s[4:5], s14, v22, v[2:3]
	v_accvgpr_write_b32 a64, v12
	v_mad_u64_u32 v[12:13], s[4:5], s14, v6, v[8:9]
	v_add3_u32 v13, v10, v13, v7
	s_mov_b64 s[4:5], 0x44
	v_accvgpr_write_b32 a67, v13
	v_lshl_add_u64 v[6:7], v[0:1], 0, s[4:5]
	v_accvgpr_write_b32 a66, v12
	v_mul_lo_u32 v7, s14, v7
	v_mul_lo_u32 v10, s15, v6
	v_mad_u64_u32 v[12:13], s[4:5], s14, v6, v[2:3]
	v_add3_u32 v13, v10, v13, v7
	v_accvgpr_write_b32 a69, v13
	v_accvgpr_write_b32 a68, v12
	v_mad_u64_u32 v[12:13], s[4:5], s14, v6, v[8:9]
	v_add3_u32 v13, v10, v13, v7
	s_mov_b64 s[4:5], 0x48
	v_accvgpr_write_b32 a71, v13
	v_lshl_add_u64 v[6:7], v[0:1], 0, s[4:5]
	v_accvgpr_write_b32 a70, v12
	v_mul_lo_u32 v7, s14, v7
	v_mul_lo_u32 v10, s15, v6
	v_mad_u64_u32 v[12:13], s[4:5], s14, v6, v[2:3]
	v_add3_u32 v13, v10, v13, v7
	v_accvgpr_write_b32 a73, v13
	v_accvgpr_write_b32 a72, v12
	v_mad_u64_u32 v[12:13], s[4:5], s14, v6, v[8:9]
	s_mov_b64 s[4:5], 0x4c
	v_add3_u32 v13, v10, v13, v7
	v_lshl_add_u64 v[6:7], v[0:1], 0, s[4:5]
	v_mad_u64_u32 v[78:79], s[4:5], s14, v6, v[2:3]
	v_mad_u64_u32 v[80:81], s[4:5], s14, v6, v[8:9]
	v_mul_lo_u32 v7, s14, v7
	v_mul_lo_u32 v10, s15, v6
	s_mov_b64 s[4:5], 0x50
	v_add3_u32 v79, v10, v79, v7
	v_add3_u32 v81, v10, v81, v7
	v_lshl_add_u64 v[6:7], v[0:1], 0, s[4:5]
	v_mad_u64_u32 v[82:83], s[4:5], s14, v6, v[2:3]
	v_mad_u64_u32 v[84:85], s[4:5], s14, v6, v[8:9]
	v_mul_lo_u32 v7, s14, v7
	v_mul_lo_u32 v10, s15, v6
	s_mov_b64 s[4:5], 0x54
	v_add3_u32 v83, v10, v83, v7
	;; [unrolled: 8-line block ×11, first 2 shown]
	v_add3_u32 v121, v10, v121, v7
	v_lshl_add_u64 v[6:7], v[0:1], 0, s[4:5]
	v_mad_u64_u32 v[122:123], s[4:5], s14, v6, v[2:3]
	v_mad_u64_u32 v[124:125], s[4:5], s14, v6, v[8:9]
	s_mov_b64 s[4:5], 0x7c
	v_mul_lo_u32 v7, s14, v7
	v_mul_lo_u32 v10, s15, v6
	v_lshl_add_u64 v[0:1], v[0:1], 0, s[4:5]
	v_lshlrev_b32_e32 v130, 5, v31
	v_add3_u32 v123, v10, v123, v7
	v_add3_u32 v125, v10, v125, v7
	v_mad_u64_u32 v[126:127], s[4:5], s14, v0, v[2:3]
	v_mad_u64_u32 v[128:129], s[4:5], s14, v0, v[8:9]
	v_mul_lo_u32 v1, s14, v1
	v_mul_lo_u32 v0, s15, v0
	v_lshl_add_u64 v[6:7], v[130:131], 0, s[20:21]
	v_add3_u32 v127, v0, v127, v1
	v_add3_u32 v129, v0, v129, v1
	v_lshl_add_u64 v[0:1], v[6:7], 0, 31
	v_mul_lo_u32 v2, s15, v0
	v_mul_lo_u32 v1, s14, v1
	v_mad_u64_u32 v[136:137], s[4:5], s14, v0, 0
	v_add3_u32 v137, v137, v1, v2
	v_lshl_add_u64 v[2:3], v[6:7], 0, 30
	v_mul_lo_u32 v0, s15, v2
	v_mul_lo_u32 v1, s14, v3
	v_mad_u64_u32 v[2:3], s[4:5], s14, v2, 0
	v_lshl_add_u64 v[8:9], v[6:7], 0, 29
	v_accvgpr_write_b32 a77, v13
	v_add3_u32 v3, v3, v1, v0
	v_mul_lo_u32 v0, s15, v8
	v_mul_lo_u32 v1, s14, v9
	v_mad_u64_u32 v[8:9], s[4:5], s14, v8, 0
	v_lshl_add_u64 v[10:11], v[6:7], 0, 28
	v_accvgpr_write_b32 a76, v12
	v_add3_u32 v9, v9, v1, v0
	;; [unrolled: 6-line block ×3, first 2 shown]
	v_mul_lo_u32 v0, s15, v12
	v_mul_lo_u32 v1, s14, v13
	v_mad_u64_u32 v[12:13], s[4:5], s14, v12, 0
	v_lshl_add_u64 v[14:15], v[6:7], 0, 26
	v_accvgpr_write_b32 a45, v19
	v_accvgpr_write_b32 a42, v16
	v_add3_u32 v13, v13, v1, v0
	v_mul_lo_u32 v0, s15, v14
	v_mul_lo_u32 v1, s14, v15
	v_mad_u64_u32 v[14:15], s[4:5], s14, v14, 0
	v_lshl_add_u64 v[16:17], v[6:7], 0, 25
	v_accvgpr_write_b32 a44, v18
	v_add3_u32 v15, v15, v1, v0
	v_mul_lo_u32 v0, s15, v16
	v_mul_lo_u32 v1, s14, v17
	v_mad_u64_u32 v[16:17], s[4:5], s14, v16, 0
	v_lshl_add_u64 v[18:19], v[6:7], 0, 24
	v_add3_u32 v61, v30, v61, v21
	v_add3_u32 v17, v17, v1, v0
	v_mul_lo_u32 v0, s15, v18
	v_mul_lo_u32 v1, s14, v19
	v_mad_u64_u32 v[18:19], s[4:5], s14, v18, 0
	v_lshl_add_u64 v[20:21], v[6:7], 0, 23
	v_add3_u32 v63, v24, v63, v23
	v_add3_u32 v19, v19, v1, v0
	v_mul_lo_u32 v0, s15, v20
	v_mul_lo_u32 v1, s14, v21
	v_mad_u64_u32 v[20:21], s[4:5], s14, v20, 0
	v_lshl_add_u64 v[22:23], v[6:7], 0, 22
	v_lshlrev_b64 v[2:3], 2, v[2:3]
	v_add3_u32 v21, v21, v1, v0
	v_mul_lo_u32 v0, s15, v22
	v_mul_lo_u32 v1, s14, v23
	v_mad_u64_u32 v[22:23], s[4:5], s14, v22, 0
	v_lshl_add_u64 v[24:25], v[6:7], 0, 21
	v_lshl_add_u64 v[140:141], s[16:17], 0, v[2:3]
	v_lshl_add_u64 v[142:143], s[18:19], 0, v[2:3]
	v_lshlrev_b64 v[2:3], 2, v[8:9]
	v_add3_u32 v23, v23, v1, v0
	v_mul_lo_u32 v0, s15, v24
	v_mul_lo_u32 v1, s14, v25
	v_mad_u64_u32 v[24:25], s[4:5], s14, v24, 0
	v_lshl_add_u64 v[26:27], v[6:7], 0, 20
	v_lshl_add_u64 v[144:145], s[16:17], 0, v[2:3]
	;; [unrolled: 8-line block ×3, first 2 shown]
	v_lshl_add_u64 v[150:151], s[18:19], 0, v[2:3]
	v_lshlrev_b64 v[2:3], 2, v[12:13]
	v_accvgpr_write_b32 a1, v31
	v_add3_u32 v27, v27, v1, v0
	v_mul_lo_u32 v0, s15, v28
	v_mul_lo_u32 v1, s14, v29
	v_mad_u64_u32 v[28:29], s[4:5], s14, v28, 0
	v_lshl_add_u64 v[30:31], v[6:7], 0, 18
	v_lshl_add_u64 v[152:153], s[16:17], 0, v[2:3]
	v_lshl_add_u64 v[154:155], s[18:19], 0, v[2:3]
	v_lshlrev_b64 v[2:3], 2, v[14:15]
	v_add3_u32 v29, v29, v1, v0
	v_mul_lo_u32 v0, s15, v30
	v_mul_lo_u32 v1, s14, v31
	v_mad_u64_u32 v[30:31], s[4:5], s14, v30, 0
	v_lshl_add_u64 v[32:33], v[6:7], 0, 17
	v_lshl_add_u64 v[156:157], s[16:17], 0, v[2:3]
	v_lshl_add_u64 v[158:159], s[18:19], 0, v[2:3]
	v_lshlrev_b64 v[2:3], 2, v[16:17]
	;; [unrolled: 8-line block ×17, first 2 shown]
	v_add3_u32 v249, v249, v1, v0
	v_mul_lo_u32 v0, s15, v132
	v_mul_lo_u32 v1, s14, v133
	v_mad_u64_u32 v[252:253], s[4:5], s14, v132, 0
	v_mov_b64_e32 v[132:133], s[14:15]
	s_load_dword s3, s[0:1], 0x44
	v_lshl_add_u64 v[220:221], s[16:17], 0, v[2:3]
	v_lshl_add_u64 v[222:223], s[18:19], 0, v[2:3]
	v_lshlrev_b64 v[2:3], 2, v[224:225]
	v_add3_u32 v253, v253, v1, v0
	v_mad_u64_u32 v[0:1], s[4:5], s14, v6, v[132:133]
	v_mul_lo_u32 v44, s15, v6
	v_mul_lo_u32 v45, s14, v7
	v_mad_u64_u32 v[6:7], s[4:5], s14, v6, 0
	v_lshl_add_u64 v[224:225], s[16:17], 0, v[2:3]
	v_lshl_add_u64 v[226:227], s[18:19], 0, v[2:3]
	v_lshlrev_b64 v[2:3], 2, v[228:229]
	v_add3_u32 v7, v7, v45, v44
	v_lshl_add_u64 v[228:229], s[16:17], 0, v[2:3]
	v_lshl_add_u64 v[230:231], s[18:19], 0, v[2:3]
	v_lshlrev_b64 v[2:3], 2, v[232:233]
	v_lshlrev_b64 v[6:7], 2, v[6:7]
	v_lshl_add_u64 v[232:233], s[16:17], 0, v[2:3]
	v_lshl_add_u64 v[234:235], s[18:19], 0, v[2:3]
	v_lshlrev_b64 v[2:3], 2, v[236:237]
	s_add_u32 s22, s0, 64
	v_lshl_add_u64 v[132:133], s[16:17], 0, v[6:7]
	v_lshl_add_u64 v[134:135], s[18:19], 0, v[6:7]
	v_lshlrev_b64 v[6:7], 2, v[136:137]
	v_lshl_add_u64 v[236:237], s[16:17], 0, v[2:3]
	v_lshl_add_u64 v[238:239], s[18:19], 0, v[2:3]
	v_lshlrev_b64 v[2:3], 2, v[240:241]
	s_addc_u32 s23, s1, 0
	s_waitcnt lgkmcnt(0)
	s_lshl_b32 s4, s3, 5
	v_lshl_add_u64 v[136:137], s[16:17], 0, v[6:7]
	v_lshl_add_u64 v[138:139], s[18:19], 0, v[6:7]
	;; [unrolled: 1-line block ×4, first 2 shown]
	v_lshlrev_b64 v[2:3], 2, v[244:245]
	v_mbcnt_lo_u32_b32 v6, -1, 0
	v_add3_u32 v1, v44, v1, v45
	s_mul_i32 s3, s15, s4
	s_mul_hi_u32 s9, s14, s4
	v_lshl_add_u64 v[244:245], s[16:17], 0, v[2:3]
	v_lshl_add_u64 v[246:247], s[18:19], 0, v[2:3]
	v_lshlrev_b64 v[2:3], 2, v[248:249]
	v_mbcnt_hi_u32_b32 v6, -1, v6
	s_add_i32 s25, s9, s3
	s_mul_i32 s24, s14, s4
	v_lshl_add_u64 v[248:249], s[16:17], 0, v[2:3]
	v_lshl_add_u64 v[250:251], s[18:19], 0, v[2:3]
	v_lshlrev_b64 v[2:3], 2, v[252:253]
	v_lshlrev_b64 v[0:1], 2, v[0:1]
	v_lshlrev_b32_e32 v6, 2, v6
	v_accvgpr_write_b32 a3, v131
	s_mov_b32 s5, 0
	s_lshl_b64 s[24:25], s[24:25], 2
	s_mov_b64 s[26:27], 31
	v_lshl_add_u64 v[252:253], s[16:17], 0, v[2:3]
	v_lshl_add_u64 v[254:255], s[18:19], 0, v[2:3]
	;; [unrolled: 1-line block ×4, first 2 shown]
	v_and_b32_e32 v30, 0x100, v6
	s_mov_b64 s[16:17], s[20:21]
	v_mov_b32_e32 v33, 0
.LBB153_150:                            ; =>This Inner Loop Header: Depth=1
	s_add_u32 s18, s20, s26
	s_addc_u32 s19, 0, s27
	v_mov_b64_e32 v[6:7], s[12:13]
	v_cmp_ge_i64_e32 vcc, s[18:19], v[6:7]
	v_lshl_add_u64 v[6:7], s[20:21], 0, v[130:131]
	s_cbranch_vccz .LBB153_220
; %bb.151:                              ;   in Loop: Header=BB153_150 Depth=1
	s_load_dword s3, s[22:23], 0xc
	v_mov_b32_e32 v8, 0
	v_accvgpr_write_b32 a75, v8             ;  Reload Reuse
	v_accvgpr_read_b32 v8, a0
	v_accvgpr_read_b32 v9, a1
	s_waitcnt lgkmcnt(0)
	s_and_b32 s3, s3, 0xffff
	v_mad_u32_u24 v8, v9, s3, v8
	v_and_b32_e32 v8, 63, v8
	v_accvgpr_read_b32 v9, a3
	v_accvgpr_write_b32 a2, v8
	v_accvgpr_write_b32 a3, v9
	v_cmp_gt_u32_e32 vcc, 32, v8
	v_mov_b32_e32 v32, 0
	s_and_saveexec_b64 s[18:19], vcc
	s_cbranch_execz .LBB153_155
; %bb.152:                              ;   in Loop: Header=BB153_150 Depth=1
	v_accvgpr_read_b32 v9, a3
	v_accvgpr_read_b32 v8, a2
	v_lshl_add_u64 v[8:9], v[6:7], 0, v[8:9]
	v_cmp_gt_i64_e32 vcc, s[12:13], v[8:9]
	v_mov_b32_e32 v32, 0
	s_and_saveexec_b64 s[28:29], vcc
	s_cbranch_execz .LBB153_154
; %bb.153:                              ;   in Loop: Header=BB153_150 Depth=1
	v_lshl_add_u64 v[8:9], v[8:9], 2, s[10:11]
	global_load_dword v32, v[8:9], off
.LBB153_154:                            ;   in Loop: Header=BB153_150 Depth=1
	s_or_b64 exec, exec, s[28:29]
.LBB153_155:                            ;   in Loop: Header=BB153_150 Depth=1
	s_or_b64 exec, exec, s[18:19]
	v_cmp_gt_i64_e32 vcc, s[12:13], v[6:7]
	v_mov_b32_e32 v46, 0
	s_and_saveexec_b64 s[18:19], vcc
	s_cbranch_execz .LBB153_157
; %bb.156:                              ;   in Loop: Header=BB153_150 Depth=1
	v_lshl_add_u64 v[8:9], v[132:133], 0, v[4:5]
	global_load_dword v8, v[8:9], off
	s_waitcnt vmcnt(0)
	v_accvgpr_write_b32 a75, v8             ;  Reload Reuse
	v_lshl_add_u64 v[8:9], v[134:135], 0, v[4:5]
	global_load_dword v46, v[8:9], off
.LBB153_157:                            ;   in Loop: Header=BB153_150 Depth=1
	s_or_b64 exec, exec, s[18:19]
	v_lshl_add_u64 v[8:9], v[6:7], 0, 1
	v_cmp_gt_i64_e32 vcc, s[12:13], v[8:9]
	v_mov_b32_e32 v8, 0
	v_mov_b32_e32 v74, 0
	;; [unrolled: 1-line block ×3, first 2 shown]
	v_accvgpr_write_b32 a78, v8             ;  Reload Reuse
	s_and_saveexec_b64 s[18:19], vcc
	s_cbranch_execz .LBB153_159
; %bb.158:                              ;   in Loop: Header=BB153_150 Depth=1
	v_lshl_add_u64 v[8:9], v[2:3], 0, v[4:5]
	global_load_dword v75, v[8:9], off
	v_lshl_add_u64 v[8:9], v[0:1], 0, v[4:5]
	global_load_dword v8, v[8:9], off
	s_waitcnt vmcnt(0)
	v_accvgpr_write_b32 a78, v8             ;  Reload Reuse
.LBB153_159:                            ;   in Loop: Header=BB153_150 Depth=1
	s_or_b64 exec, exec, s[18:19]
	v_lshl_add_u64 v[8:9], v[6:7], 0, 2
	v_cmp_gt_i64_e32 vcc, s[12:13], v[8:9]
	v_mov_b32_e32 v8, 0
	v_accvgpr_write_b32 a79, v8             ;  Reload Reuse
	s_and_saveexec_b64 s[18:19], vcc
	s_cbranch_execz .LBB153_161
; %bb.160:                              ;   in Loop: Header=BB153_150 Depth=1
	v_lshl_add_u64 v[8:9], v[252:253], 0, v[4:5]
	global_load_dword v74, v[8:9], off
	v_lshl_add_u64 v[8:9], v[254:255], 0, v[4:5]
	global_load_dword v8, v[8:9], off
	s_waitcnt vmcnt(0)
	v_accvgpr_write_b32 a79, v8             ;  Reload Reuse
.LBB153_161:                            ;   in Loop: Header=BB153_150 Depth=1
	s_or_b64 exec, exec, s[18:19]
	v_lshl_add_u64 v[8:9], v[6:7], 0, 3
	v_cmp_gt_i64_e32 vcc, s[12:13], v[8:9]
	v_mov_b32_e32 v8, 0
	v_accvgpr_write_b32 a80, v8             ;  Reload Reuse
	v_mov_b32_e32 v8, 0
	v_mov_b32_e32 v47, 0
	v_accvgpr_write_b32 a81, v8             ;  Reload Reuse
	s_and_saveexec_b64 s[18:19], vcc
	s_cbranch_execz .LBB153_163
; %bb.162:                              ;   in Loop: Header=BB153_150 Depth=1
	v_lshl_add_u64 v[8:9], v[248:249], 0, v[4:5]
	global_load_dword v8, v[8:9], off
	s_waitcnt vmcnt(0)
	v_accvgpr_write_b32 a80, v8             ;  Reload Reuse
	v_lshl_add_u64 v[8:9], v[250:251], 0, v[4:5]
	global_load_dword v8, v[8:9], off
	s_waitcnt vmcnt(0)
	v_accvgpr_write_b32 a81, v8             ;  Reload Reuse
.LBB153_163:                            ;   in Loop: Header=BB153_150 Depth=1
	s_or_b64 exec, exec, s[18:19]
	v_lshl_add_u64 v[8:9], v[6:7], 0, 4
	v_cmp_gt_i64_e32 vcc, s[12:13], v[8:9]
	v_mov_b32_e32 v8, 0
	v_accvgpr_write_b32 a82, v8             ;  Reload Reuse
	s_and_saveexec_b64 s[18:19], vcc
	s_cbranch_execz .LBB153_165
; %bb.164:                              ;   in Loop: Header=BB153_150 Depth=1
	v_lshl_add_u64 v[8:9], v[244:245], 0, v[4:5]
	global_load_dword v47, v[8:9], off
	v_lshl_add_u64 v[8:9], v[246:247], 0, v[4:5]
	global_load_dword v8, v[8:9], off
	s_waitcnt vmcnt(0)
	v_accvgpr_write_b32 a82, v8             ;  Reload Reuse
.LBB153_165:                            ;   in Loop: Header=BB153_150 Depth=1
	s_or_b64 exec, exec, s[18:19]
	v_lshl_add_u64 v[8:9], v[6:7], 0, 5
	v_cmp_gt_i64_e32 vcc, s[12:13], v[8:9]
	v_mov_b32_e32 v8, 0
	v_accvgpr_write_b32 a83, v8             ;  Reload Reuse
	v_mov_b32_e32 v8, 0
	v_accvgpr_write_b32 a84, v8             ;  Reload Reuse
	v_mov_b32_e32 v8, 0
	v_accvgpr_write_b32 a85, v8             ;  Reload Reuse
	s_and_saveexec_b64 s[18:19], vcc
	s_cbranch_execz .LBB153_167
; %bb.166:                              ;   in Loop: Header=BB153_150 Depth=1
	v_lshl_add_u64 v[8:9], v[240:241], 0, v[4:5]
	global_load_dword v8, v[8:9], off
	s_waitcnt vmcnt(0)
	v_accvgpr_write_b32 a84, v8             ;  Reload Reuse
	v_lshl_add_u64 v[8:9], v[242:243], 0, v[4:5]
	global_load_dword v8, v[8:9], off
	s_waitcnt vmcnt(0)
	v_accvgpr_write_b32 a85, v8             ;  Reload Reuse
.LBB153_167:                            ;   in Loop: Header=BB153_150 Depth=1
	s_or_b64 exec, exec, s[18:19]
	v_lshl_add_u64 v[8:9], v[6:7], 0, 6
	v_cmp_gt_i64_e32 vcc, s[12:13], v[8:9]
	v_mov_b32_e32 v8, 0
	v_accvgpr_write_b32 a86, v8             ;  Reload Reuse
	s_and_saveexec_b64 s[18:19], vcc
	s_cbranch_execz .LBB153_169
; %bb.168:                              ;   in Loop: Header=BB153_150 Depth=1
	v_lshl_add_u64 v[8:9], v[236:237], 0, v[4:5]
	global_load_dword v8, v[8:9], off
	s_waitcnt vmcnt(0)
	v_accvgpr_write_b32 a83, v8             ;  Reload Reuse
	v_lshl_add_u64 v[8:9], v[238:239], 0, v[4:5]
	global_load_dword v8, v[8:9], off
	s_waitcnt vmcnt(0)
	v_accvgpr_write_b32 a86, v8             ;  Reload Reuse
.LBB153_169:                            ;   in Loop: Header=BB153_150 Depth=1
	s_or_b64 exec, exec, s[18:19]
	v_lshl_add_u64 v[8:9], v[6:7], 0, 7
	v_cmp_gt_i64_e32 vcc, s[12:13], v[8:9]
	v_mov_b32_e32 v8, 0
	v_accvgpr_write_b32 a87, v8             ;  Reload Reuse
	v_mov_b32_e32 v8, 0
	v_accvgpr_write_b32 a88, v8             ;  Reload Reuse
	v_mov_b32_e32 v8, 0
	v_accvgpr_write_b32 a89, v8             ;  Reload Reuse
	s_and_saveexec_b64 s[18:19], vcc
	s_cbranch_execz .LBB153_171
; %bb.170:                              ;   in Loop: Header=BB153_150 Depth=1
	v_lshl_add_u64 v[8:9], v[232:233], 0, v[4:5]
	global_load_dword v8, v[8:9], off
	s_waitcnt vmcnt(0)
	v_accvgpr_write_b32 a88, v8             ;  Reload Reuse
	v_lshl_add_u64 v[8:9], v[234:235], 0, v[4:5]
	global_load_dword v8, v[8:9], off
	s_waitcnt vmcnt(0)
	v_accvgpr_write_b32 a89, v8             ;  Reload Reuse
.LBB153_171:                            ;   in Loop: Header=BB153_150 Depth=1
	s_or_b64 exec, exec, s[18:19]
	v_lshl_add_u64 v[8:9], v[6:7], 0, 8
	v_cmp_gt_i64_e32 vcc, s[12:13], v[8:9]
	v_mov_b32_e32 v8, 0
	v_accvgpr_write_b32 a90, v8             ;  Reload Reuse
	s_and_saveexec_b64 s[18:19], vcc
	s_cbranch_execz .LBB153_173
; %bb.172:                              ;   in Loop: Header=BB153_150 Depth=1
	v_lshl_add_u64 v[8:9], v[228:229], 0, v[4:5]
	global_load_dword v8, v[8:9], off
	s_waitcnt vmcnt(0)
	v_accvgpr_write_b32 a87, v8             ;  Reload Reuse
	v_lshl_add_u64 v[8:9], v[230:231], 0, v[4:5]
	global_load_dword v8, v[8:9], off
	s_waitcnt vmcnt(0)
	v_accvgpr_write_b32 a90, v8             ;  Reload Reuse
.LBB153_173:                            ;   in Loop: Header=BB153_150 Depth=1
	;; [unrolled: 38-line block ×3, first 2 shown]
	s_or_b64 exec, exec, s[18:19]
	v_lshl_add_u64 v[8:9], v[6:7], 0, 11
	v_cmp_gt_i64_e32 vcc, s[12:13], v[8:9]
	v_mov_b32_e32 v8, 0
	v_accvgpr_write_b32 a95, v8             ;  Reload Reuse
	v_mov_b32_e32 v8, 0
	v_accvgpr_write_b32 a96, v8             ;  Reload Reuse
	;; [unrolled: 2-line block ×3, first 2 shown]
	s_and_saveexec_b64 s[18:19], vcc
	s_cbranch_execz .LBB153_179
; %bb.178:                              ;   in Loop: Header=BB153_150 Depth=1
	v_lshl_add_u64 v[8:9], v[216:217], 0, v[4:5]
	global_load_dword v8, v[8:9], off
	s_waitcnt vmcnt(0)
	v_accvgpr_write_b32 a96, v8             ;  Reload Reuse
	v_lshl_add_u64 v[8:9], v[218:219], 0, v[4:5]
	global_load_dword v8, v[8:9], off
	s_waitcnt vmcnt(0)
	v_accvgpr_write_b32 a97, v8             ;  Reload Reuse
.LBB153_179:                            ;   in Loop: Header=BB153_150 Depth=1
	s_or_b64 exec, exec, s[18:19]
	v_lshl_add_u64 v[8:9], v[6:7], 0, 12
	v_cmp_gt_i64_e32 vcc, s[12:13], v[8:9]
	v_mov_b32_e32 v34, 0
	s_and_saveexec_b64 s[18:19], vcc
	s_cbranch_execz .LBB153_181
; %bb.180:                              ;   in Loop: Header=BB153_150 Depth=1
	v_lshl_add_u64 v[8:9], v[212:213], 0, v[4:5]
	global_load_dword v8, v[8:9], off
	s_waitcnt vmcnt(0)
	v_accvgpr_write_b32 a95, v8             ;  Reload Reuse
	v_lshl_add_u64 v[8:9], v[214:215], 0, v[4:5]
	global_load_dword v34, v[8:9], off
.LBB153_181:                            ;   in Loop: Header=BB153_150 Depth=1
	s_or_b64 exec, exec, s[18:19]
	v_lshl_add_u64 v[8:9], v[6:7], 0, 13
	v_cmp_gt_i64_e32 vcc, s[12:13], v[8:9]
	v_mov_b32_e32 v8, 0
	v_accvgpr_write_b32 a98, v8             ;  Reload Reuse
	v_mov_b32_e32 v35, 0
	v_mov_b32_e32 v36, 0
	s_and_saveexec_b64 s[18:19], vcc
	s_cbranch_execz .LBB153_183
; %bb.182:                              ;   in Loop: Header=BB153_150 Depth=1
	v_lshl_add_u64 v[8:9], v[208:209], 0, v[4:5]
	global_load_dword v35, v[8:9], off
	v_lshl_add_u64 v[8:9], v[210:211], 0, v[4:5]
	global_load_dword v36, v[8:9], off
.LBB153_183:                            ;   in Loop: Header=BB153_150 Depth=1
	s_or_b64 exec, exec, s[18:19]
	v_lshl_add_u64 v[8:9], v[6:7], 0, 14
	v_cmp_gt_i64_e32 vcc, s[12:13], v[8:9]
	v_mov_b32_e32 v37, 0
	s_and_saveexec_b64 s[18:19], vcc
	s_cbranch_execz .LBB153_185
; %bb.184:                              ;   in Loop: Header=BB153_150 Depth=1
	v_lshl_add_u64 v[8:9], v[204:205], 0, v[4:5]
	global_load_dword v8, v[8:9], off
	s_waitcnt vmcnt(0)
	v_accvgpr_write_b32 a98, v8             ;  Reload Reuse
	v_lshl_add_u64 v[8:9], v[206:207], 0, v[4:5]
	global_load_dword v37, v[8:9], off
.LBB153_185:                            ;   in Loop: Header=BB153_150 Depth=1
	s_or_b64 exec, exec, s[18:19]
	v_lshl_add_u64 v[8:9], v[6:7], 0, 15
	v_cmp_gt_i64_e32 vcc, s[12:13], v[8:9]
	v_mov_b32_e32 v8, 0
	v_accvgpr_write_b32 a99, v8             ;  Reload Reuse
	v_mov_b32_e32 v28, 0
	v_mov_b32_e32 v76, 0
	s_and_saveexec_b64 s[18:19], vcc
	s_cbranch_execz .LBB153_187
; %bb.186:                              ;   in Loop: Header=BB153_150 Depth=1
	v_lshl_add_u64 v[8:9], v[200:201], 0, v[4:5]
	global_load_dword v28, v[8:9], off
	v_lshl_add_u64 v[8:9], v[202:203], 0, v[4:5]
	global_load_dword v76, v[8:9], off
.LBB153_187:                            ;   in Loop: Header=BB153_150 Depth=1
	s_or_b64 exec, exec, s[18:19]
	v_lshl_add_u64 v[8:9], v[6:7], 0, 16
	v_cmp_gt_i64_e32 vcc, s[12:13], v[8:9]
	v_mov_b32_e32 v77, 0
	s_and_saveexec_b64 s[18:19], vcc
	s_cbranch_execz .LBB153_189
; %bb.188:                              ;   in Loop: Header=BB153_150 Depth=1
	v_lshl_add_u64 v[8:9], v[196:197], 0, v[4:5]
	global_load_dword v8, v[8:9], off
	s_waitcnt vmcnt(0)
	v_accvgpr_write_b32 a99, v8             ;  Reload Reuse
	v_lshl_add_u64 v[8:9], v[198:199], 0, v[4:5]
	global_load_dword v77, v[8:9], off
.LBB153_189:                            ;   in Loop: Header=BB153_150 Depth=1
	s_or_b64 exec, exec, s[18:19]
	v_lshl_add_u64 v[8:9], v[6:7], 0, 17
	v_cmp_gt_i64_e32 vcc, s[12:13], v[8:9]
	v_mov_b32_e32 v8, 0
	v_accvgpr_write_b32 a100, v8            ;  Reload Reuse
	v_mov_b32_e32 v38, 0
	v_mov_b32_e32 v31, 0
	s_and_saveexec_b64 s[18:19], vcc
	s_cbranch_execz .LBB153_191
; %bb.190:                              ;   in Loop: Header=BB153_150 Depth=1
	v_lshl_add_u64 v[8:9], v[192:193], 0, v[4:5]
	global_load_dword v38, v[8:9], off
	v_lshl_add_u64 v[8:9], v[194:195], 0, v[4:5]
	global_load_dword v31, v[8:9], off
.LBB153_191:                            ;   in Loop: Header=BB153_150 Depth=1
	s_or_b64 exec, exec, s[18:19]
	v_lshl_add_u64 v[8:9], v[6:7], 0, 18
	v_cmp_gt_i64_e32 vcc, s[12:13], v[8:9]
	v_mov_b32_e32 v39, 0
	s_and_saveexec_b64 s[18:19], vcc
	s_cbranch_execz .LBB153_193
; %bb.192:                              ;   in Loop: Header=BB153_150 Depth=1
	v_lshl_add_u64 v[8:9], v[188:189], 0, v[4:5]
	global_load_dword v8, v[8:9], off
	s_waitcnt vmcnt(0)
	v_accvgpr_write_b32 a100, v8            ;  Reload Reuse
	v_lshl_add_u64 v[8:9], v[190:191], 0, v[4:5]
	global_load_dword v39, v[8:9], off
.LBB153_193:                            ;   in Loop: Header=BB153_150 Depth=1
	s_or_b64 exec, exec, s[18:19]
	v_lshl_add_u64 v[8:9], v[6:7], 0, 19
	v_cmp_gt_i64_e32 vcc, s[12:13], v[8:9]
	v_mov_b32_e32 v8, 0
	v_mov_b32_e32 v40, 0
	v_mov_b32_e32 v41, 0
	s_and_saveexec_b64 s[18:19], vcc
	s_cbranch_execz .LBB153_195
; %bb.194:                              ;   in Loop: Header=BB153_150 Depth=1
	v_lshl_add_u64 v[10:11], v[184:185], 0, v[4:5]
	global_load_dword v40, v[10:11], off
	v_lshl_add_u64 v[10:11], v[186:187], 0, v[4:5]
	global_load_dword v41, v[10:11], off
.LBB153_195:                            ;   in Loop: Header=BB153_150 Depth=1
	s_or_b64 exec, exec, s[18:19]
	v_lshl_add_u64 v[10:11], v[6:7], 0, 20
	v_cmp_gt_i64_e32 vcc, s[12:13], v[10:11]
	v_mov_b32_e32 v14, 0
	s_and_saveexec_b64 s[18:19], vcc
	s_cbranch_execz .LBB153_197
; %bb.196:                              ;   in Loop: Header=BB153_150 Depth=1
	v_lshl_add_u64 v[8:9], v[180:181], 0, v[4:5]
	v_lshl_add_u64 v[10:11], v[182:183], 0, v[4:5]
	global_load_dword v8, v[8:9], off
	s_nop 0
	global_load_dword v14, v[10:11], off
.LBB153_197:                            ;   in Loop: Header=BB153_150 Depth=1
	s_or_b64 exec, exec, s[18:19]
	v_lshl_add_u64 v[10:11], v[6:7], 0, 21
	v_cmp_gt_i64_e32 vcc, s[12:13], v[10:11]
	v_mov_b32_e32 v10, 0
	v_mov_b32_e32 v9, 0
	v_mov_b32_e32 v15, 0
	s_and_saveexec_b64 s[18:19], vcc
	s_cbranch_execz .LBB153_199
; %bb.198:                              ;   in Loop: Header=BB153_150 Depth=1
	v_lshl_add_u64 v[12:13], v[176:177], 0, v[4:5]
	global_load_dword v9, v[12:13], off
	v_lshl_add_u64 v[12:13], v[178:179], 0, v[4:5]
	global_load_dword v15, v[12:13], off
.LBB153_199:                            ;   in Loop: Header=BB153_150 Depth=1
	s_or_b64 exec, exec, s[18:19]
	v_lshl_add_u64 v[12:13], v[6:7], 0, 22
	v_cmp_gt_i64_e32 vcc, s[12:13], v[12:13]
	v_mov_b32_e32 v18, 0
	s_and_saveexec_b64 s[18:19], vcc
	s_cbranch_execz .LBB153_201
; %bb.200:                              ;   in Loop: Header=BB153_150 Depth=1
	v_lshl_add_u64 v[10:11], v[172:173], 0, v[4:5]
	v_lshl_add_u64 v[12:13], v[174:175], 0, v[4:5]
	global_load_dword v10, v[10:11], off
	s_nop 0
	global_load_dword v18, v[12:13], off
.LBB153_201:                            ;   in Loop: Header=BB153_150 Depth=1
	;; [unrolled: 27-line block ×6, first 2 shown]
	s_or_b64 exec, exec, s[18:19]
	v_lshl_add_u64 v[44:45], v[6:7], 0, 31
	v_cmp_gt_i64_e32 vcc, s[12:13], v[44:45]
	v_mov_b32_e32 v29, 0
	s_and_saveexec_b64 s[18:19], vcc
	s_cbranch_execz .LBB153_219
; %bb.218:                              ;   in Loop: Header=BB153_150 Depth=1
	v_lshl_add_u64 v[44:45], v[136:137], 0, v[4:5]
	global_load_dword v29, v[44:45], off
	v_lshl_add_u64 v[44:45], v[138:139], 0, v[4:5]
	global_load_dword v44, v[44:45], off
	s_waitcnt vmcnt(0)
	v_mul_f32_e32 v29, v29, v44
.LBB153_219:                            ;   in Loop: Header=BB153_150 Depth=1
	s_or_b64 exec, exec, s[18:19]
	s_waitcnt vmcnt(0)
	ds_bpermute_b32 v44, v30, v32
	v_accvgpr_read_b32 v45, a75             ;  Reload Reuse
	v_mul_f32_e32 v45, v45, v46
	v_accvgpr_read_b32 v46, a78             ;  Reload Reuse
	v_mul_f32_e32 v46, v75, v46
	s_waitcnt lgkmcnt(0)
	v_fma_f32 v44, v45, v44, v33
	ds_bpermute_b32 v45, v30, v32 offset:4
	v_mul_f32_e32 v31, v38, v31
	v_pk_mul_f32 v[8:9], v[8:9], v[14:15]
	v_pk_mul_f32 v[10:11], v[10:11], v[18:19]
	s_waitcnt lgkmcnt(0)
	v_fmac_f32_e32 v44, v46, v45
	ds_bpermute_b32 v45, v30, v32 offset:8
	v_accvgpr_read_b32 v46, a79             ;  Reload Reuse
	v_mul_f32_e32 v46, v74, v46
	v_accvgpr_read_b32 v74, a81             ;  Reload Reuse
	s_waitcnt lgkmcnt(0)
	v_fmac_f32_e32 v44, v46, v45
	ds_bpermute_b32 v45, v30, v32 offset:12
	v_accvgpr_read_b32 v46, a80             ;  Reload Reuse
	v_mul_f32_e32 v46, v46, v74
	s_waitcnt lgkmcnt(0)
	v_fmac_f32_e32 v44, v46, v45
	ds_bpermute_b32 v45, v30, v32 offset:16
	v_accvgpr_read_b32 v46, a82             ;  Reload Reuse
	v_mul_f32_e32 v46, v47, v46
	v_accvgpr_read_b32 v47, a85             ;  Reload Reuse
	s_waitcnt lgkmcnt(0)
	v_fmac_f32_e32 v44, v46, v45
	ds_bpermute_b32 v45, v30, v32 offset:20
	v_accvgpr_read_b32 v46, a84             ;  Reload Reuse
	v_mul_f32_e32 v46, v46, v47
	v_accvgpr_read_b32 v47, a86             ;  Reload Reuse
	s_waitcnt lgkmcnt(0)
	v_fmac_f32_e32 v44, v46, v45
	ds_bpermute_b32 v45, v30, v32 offset:24
	v_accvgpr_read_b32 v46, a83             ;  Reload Reuse
	v_mul_f32_e32 v46, v46, v47
	v_accvgpr_read_b32 v47, a89             ;  Reload Reuse
	s_waitcnt lgkmcnt(0)
	v_fmac_f32_e32 v44, v46, v45
	ds_bpermute_b32 v45, v30, v32 offset:28
	v_accvgpr_read_b32 v46, a88             ;  Reload Reuse
	v_mul_f32_e32 v46, v46, v47
	v_accvgpr_read_b32 v47, a90             ;  Reload Reuse
	s_waitcnt lgkmcnt(0)
	v_fmac_f32_e32 v44, v46, v45
	ds_bpermute_b32 v45, v30, v32 offset:32
	v_accvgpr_read_b32 v46, a87             ;  Reload Reuse
	v_mul_f32_e32 v46, v46, v47
	v_accvgpr_read_b32 v47, a93             ;  Reload Reuse
	s_waitcnt lgkmcnt(0)
	v_fmac_f32_e32 v44, v46, v45
	ds_bpermute_b32 v45, v30, v32 offset:36
	v_accvgpr_read_b32 v46, a92             ;  Reload Reuse
	v_mul_f32_e32 v46, v46, v47
	v_accvgpr_read_b32 v47, a94             ;  Reload Reuse
	s_waitcnt lgkmcnt(0)
	v_fmac_f32_e32 v44, v46, v45
	ds_bpermute_b32 v45, v30, v32 offset:40
	v_accvgpr_read_b32 v46, a91             ;  Reload Reuse
	v_mul_f32_e32 v46, v46, v47
	v_accvgpr_read_b32 v47, a97             ;  Reload Reuse
	s_waitcnt lgkmcnt(0)
	v_fmac_f32_e32 v44, v46, v45
	ds_bpermute_b32 v45, v30, v32 offset:44
	v_accvgpr_read_b32 v46, a96             ;  Reload Reuse
	v_mul_f32_e32 v46, v46, v47
	s_waitcnt lgkmcnt(0)
	v_fmac_f32_e32 v44, v46, v45
	ds_bpermute_b32 v45, v30, v32 offset:48
	v_accvgpr_read_b32 v46, a95             ;  Reload Reuse
	v_mul_f32_e32 v46, v46, v34
	v_mul_f32_e32 v34, v35, v36
	s_waitcnt lgkmcnt(0)
	v_fmac_f32_e32 v44, v46, v45
	ds_bpermute_b32 v45, v30, v32 offset:52
	s_waitcnt lgkmcnt(0)
	v_fmac_f32_e32 v44, v34, v45
	ds_bpermute_b32 v34, v30, v32 offset:56
	v_accvgpr_read_b32 v45, a98             ;  Reload Reuse
	v_mul_f32_e32 v35, v45, v37
	s_waitcnt lgkmcnt(0)
	v_fmac_f32_e32 v44, v35, v34
	ds_bpermute_b32 v34, v30, v32 offset:60
	v_mul_f32_e32 v35, v28, v76
	s_waitcnt lgkmcnt(0)
	v_fmac_f32_e32 v44, v35, v34
	ds_bpermute_b32 v34, v30, v32 offset:64
	v_accvgpr_read_b32 v35, a99             ;  Reload Reuse
	v_mul_f32_e32 v28, v35, v77
	ds_bpermute_b32 v35, v30, v32 offset:84
	s_waitcnt lgkmcnt(1)
	v_fmac_f32_e32 v44, v28, v34
	ds_bpermute_b32 v28, v30, v32 offset:68
	ds_bpermute_b32 v34, v30, v32 offset:80
	s_waitcnt lgkmcnt(1)
	v_fmac_f32_e32 v44, v31, v28
	ds_bpermute_b32 v28, v30, v32 offset:72
	v_accvgpr_read_b32 v31, a100            ;  Reload Reuse
	v_mul_f32_e32 v31, v31, v39
	s_waitcnt lgkmcnt(1)
	v_pk_mul_f32 v[8:9], v[8:9], v[34:35]
	s_waitcnt lgkmcnt(0)
	v_fmac_f32_e32 v44, v31, v28
	ds_bpermute_b32 v28, v30, v32 offset:76
	v_mul_f32_e32 v31, v40, v41
	s_waitcnt lgkmcnt(0)
	v_fmac_f32_e32 v44, v31, v28
	v_add_f32_e32 v8, v44, v8
	v_add_f32_e32 v14, v8, v9
	ds_bpermute_b32 v8, v30, v32 offset:88
	ds_bpermute_b32 v9, v30, v32 offset:92
	v_mul_f32_e32 v28, v42, v43
	s_waitcnt lgkmcnt(0)
	v_pk_mul_f32 v[8:9], v[10:11], v[8:9]
	s_nop 0
	v_add_f32_e32 v8, v14, v8
	v_add_f32_e32 v14, v8, v9
	ds_bpermute_b32 v8, v30, v32 offset:96
	ds_bpermute_b32 v9, v30, v32 offset:100
	v_pk_mul_f32 v[10:11], v[12:13], v[22:23]
	s_waitcnt lgkmcnt(0)
	v_pk_mul_f32 v[8:9], v[10:11], v[8:9]
	s_nop 0
	v_add_f32_e32 v8, v14, v8
	v_add_f32_e32 v12, v8, v9
	ds_bpermute_b32 v8, v30, v32 offset:104
	ds_bpermute_b32 v9, v30, v32 offset:108
	v_pk_mul_f32 v[10:11], v[16:17], v[24:25]
	;; [unrolled: 8-line block ×3, first 2 shown]
	s_waitcnt lgkmcnt(0)
	v_pk_mul_f32 v[8:9], v[10:11], v[8:9]
	s_nop 0
	v_add_f32_e32 v8, v12, v8
	v_add_f32_e32 v10, v8, v9
	ds_bpermute_b32 v8, v30, v32 offset:120
	ds_bpermute_b32 v9, v30, v32 offset:124
	s_waitcnt lgkmcnt(0)
	v_pk_mul_f32 v[8:9], v[28:29], v[8:9]
	s_nop 0
	v_add_f32_e32 v8, v10, v8
	v_add_f32_e32 v31, v8, v9
	s_branch .LBB153_226
.LBB153_220:                            ;   in Loop: Header=BB153_150 Depth=1
                                        ; implicit-def: $vgpr31
	s_cbranch_execz .LBB153_226
; %bb.221:                              ;   in Loop: Header=BB153_150 Depth=1
	s_load_dword s3, s[22:23], 0x0
	v_accvgpr_read_b32 v11, a3
	v_accvgpr_read_b32 v9, a0
	;; [unrolled: 1-line block ×3, first 2 shown]
	v_mov_b32_e32 v31, 0
	s_waitcnt lgkmcnt(0)
	s_cmp_lt_u32 s2, s3
	s_cselect_b32 s3, 12, 18
	s_add_u32 s18, s22, s3
	s_addc_u32 s19, s23, 0
	global_load_ushort v8, v11, s[18:19]
	s_waitcnt vmcnt(0)
	v_mad_u32_u24 v8, v10, v8, v9
	v_and_b32_e32 v10, 63, v8
	v_accvgpr_write_b32 a2, v10
	v_accvgpr_write_b32 a3, v11
	v_cmp_gt_u32_e32 vcc, 32, v10
	s_and_saveexec_b64 s[18:19], vcc
	s_cbranch_execz .LBB153_225
; %bb.222:                              ;   in Loop: Header=BB153_150 Depth=1
	v_accvgpr_read_b32 v9, a3
	v_accvgpr_read_b32 v8, a2
	v_lshl_add_u64 v[6:7], v[6:7], 0, v[8:9]
	v_cmp_gt_i64_e32 vcc, s[12:13], v[6:7]
	v_mov_b32_e32 v31, 0
	s_and_saveexec_b64 s[28:29], vcc
	s_cbranch_execz .LBB153_224
; %bb.223:                              ;   in Loop: Header=BB153_150 Depth=1
	v_lshl_add_u64 v[6:7], v[6:7], 2, s[10:11]
	global_load_dword v31, v[6:7], off
.LBB153_224:                            ;   in Loop: Header=BB153_150 Depth=1
	s_or_b64 exec, exec, s[28:29]
.LBB153_225:                            ;   in Loop: Header=BB153_150 Depth=1
	s_or_b64 exec, exec, s[18:19]
	v_lshl_add_u64 v[6:7], v[132:133], 0, v[4:5]
	global_load_dword v32, v[6:7], off
	v_lshl_add_u64 v[6:7], v[134:135], 0, v[4:5]
	global_load_dword v36, v[6:7], off
	;; [unrolled: 2-line block ×11, first 2 shown]
	v_accvgpr_read_b32 v6, a30
	v_accvgpr_read_b32 v7, a31
	v_lshl_add_u64 v[6:7], v[6:7], 0, v[4:5]
	global_load_dword v46, v[6:7], off
	v_lshl_add_u64 v[6:7], v[58:59], 0, v[4:5]
	global_load_dword v47, v[6:7], off
	v_accvgpr_read_b32 v6, a32
	v_accvgpr_read_b32 v7, a33
	v_lshl_add_u64 v[6:7], v[6:7], 0, v[4:5]
	v_accvgpr_write_b32 a4, v48
	v_accvgpr_write_b32 a5, v49
	global_load_dword v48, v[6:7], off
	v_lshl_add_u64 v[6:7], v[60:61], 0, v[4:5]
	global_load_dword v49, v[6:7], off
	v_accvgpr_read_b32 v6, a36
	v_accvgpr_read_b32 v7, a37
	v_lshl_add_u64 v[6:7], v[6:7], 0, v[4:5]
	v_accvgpr_write_b32 a6, v50
	v_accvgpr_write_b32 a7, v51
	;; [unrolled: 8-line block ×4, first 2 shown]
	global_load_dword v54, v[6:7], off
	v_accvgpr_read_b32 v6, a34
	v_accvgpr_read_b32 v7, a35
	v_lshl_add_u64 v[6:7], v[6:7], 0, v[4:5]
	global_load_dword v55, v[6:7], off
	v_accvgpr_read_b32 v6, a44
	v_accvgpr_read_b32 v7, a45
	v_lshl_add_u64 v[6:7], v[6:7], 0, v[4:5]
	v_accvgpr_write_b32 a12, v56
	v_accvgpr_write_b32 a13, v57
	global_load_dword v56, v[6:7], off
	v_accvgpr_read_b32 v6, a42
	v_accvgpr_read_b32 v7, a43
	v_lshl_add_u64 v[6:7], v[6:7], 0, v[4:5]
	global_load_dword v57, v[6:7], off
	v_accvgpr_read_b32 v6, a46
	v_accvgpr_read_b32 v7, a47
	v_lshl_add_u64 v[6:7], v[6:7], 0, v[4:5]
	v_accvgpr_write_b32 a14, v58
	v_accvgpr_write_b32 a15, v59
	global_load_dword v58, v[6:7], off
	v_accvgpr_read_b32 v6, a48
	v_accvgpr_read_b32 v7, a49
	v_lshl_add_u64 v[6:7], v[6:7], 0, v[4:5]
	global_load_dword v59, v[6:7], off
	v_accvgpr_read_b32 v6, a50
	v_accvgpr_read_b32 v7, a51
	v_lshl_add_u64 v[6:7], v[6:7], 0, v[4:5]
	v_accvgpr_write_b32 a16, v60
	v_accvgpr_write_b32 a17, v61
	global_load_dword v60, v[6:7], off
	v_accvgpr_read_b32 v6, a52
	v_accvgpr_read_b32 v7, a53
	v_lshl_add_u64 v[6:7], v[6:7], 0, v[4:5]
	global_load_dword v61, v[6:7], off
	v_accvgpr_read_b32 v6, a54
	v_accvgpr_read_b32 v7, a55
	v_lshl_add_u64 v[6:7], v[6:7], 0, v[4:5]
	v_accvgpr_write_b32 a18, v62
	v_accvgpr_write_b32 a19, v63
	global_load_dword v62, v[6:7], off
	v_accvgpr_read_b32 v6, a56
	v_accvgpr_read_b32 v7, a57
	v_lshl_add_u64 v[6:7], v[6:7], 0, v[4:5]
	global_load_dword v63, v[6:7], off
	v_accvgpr_read_b32 v6, a58
	v_accvgpr_read_b32 v7, a59
	v_lshl_add_u64 v[6:7], v[6:7], 0, v[4:5]
	v_accvgpr_write_b32 a20, v64
	v_accvgpr_write_b32 a21, v65
	global_load_dword v64, v[6:7], off
	v_accvgpr_read_b32 v6, a60
	v_accvgpr_read_b32 v7, a61
	v_lshl_add_u64 v[6:7], v[6:7], 0, v[4:5]
	global_load_dword v65, v[6:7], off
	v_accvgpr_read_b32 v6, a62
	v_accvgpr_read_b32 v7, a63
	v_lshl_add_u64 v[6:7], v[6:7], 0, v[4:5]
	v_accvgpr_write_b32 a22, v66
	v_accvgpr_write_b32 a23, v67
	global_load_dword v66, v[6:7], off
	v_accvgpr_read_b32 v6, a64
	v_accvgpr_read_b32 v7, a65
	v_lshl_add_u64 v[6:7], v[6:7], 0, v[4:5]
	global_load_dword v67, v[6:7], off
	v_accvgpr_read_b32 v6, a66
	v_accvgpr_read_b32 v7, a67
	v_lshl_add_u64 v[6:7], v[6:7], 0, v[4:5]
	v_accvgpr_write_b32 a24, v68
	v_accvgpr_write_b32 a25, v69
	global_load_dword v68, v[6:7], off
	v_accvgpr_read_b32 v6, a68
	v_accvgpr_read_b32 v7, a69
	v_lshl_add_u64 v[6:7], v[6:7], 0, v[4:5]
	global_load_dword v69, v[6:7], off
	v_accvgpr_read_b32 v6, a70
	v_accvgpr_read_b32 v7, a71
	v_lshl_add_u64 v[6:7], v[6:7], 0, v[4:5]
	v_accvgpr_write_b32 a26, v70
	v_accvgpr_write_b32 a27, v71
	global_load_dword v70, v[6:7], off
	v_accvgpr_read_b32 v6, a72
	v_accvgpr_read_b32 v7, a73
	v_lshl_add_u64 v[6:7], v[6:7], 0, v[4:5]
	global_load_dword v71, v[6:7], off
	v_accvgpr_read_b32 v6, a76
	v_accvgpr_read_b32 v7, a77
	v_lshl_add_u64 v[6:7], v[6:7], 0, v[4:5]
	v_accvgpr_write_b32 a28, v72
	v_accvgpr_write_b32 a29, v73
	global_load_dword v72, v[6:7], off
	v_lshl_add_u64 v[6:7], v[78:79], 0, v[4:5]
	global_load_dword v73, v[6:7], off
	v_lshl_add_u64 v[6:7], v[80:81], 0, v[4:5]
	;; [unrolled: 2-line block ×23, first 2 shown]
	v_lshl_add_u64 v[34:35], v[126:127], 0, v[4:5]
	global_load_dword v6, v[6:7], off
	v_lshl_add_u64 v[8:9], v[124:125], 0, v[4:5]
	global_load_dword v7, v[34:35], off
	;; [unrolled: 2-line block ×3, first 2 shown]
	s_waitcnt vmcnt(61)
	v_mul_f32_e32 v32, v32, v36
	global_load_dword v9, v[34:35], off
	ds_bpermute_b32 v34, v30, v31
	ds_bpermute_b32 v35, v30, v31 offset:84
	s_waitcnt lgkmcnt(1)
	v_fmac_f32_e32 v33, v32, v34
	ds_bpermute_b32 v32, v30, v31 offset:4
	s_waitcnt vmcnt(60)
	v_mul_f32_e32 v34, v37, v38
	s_waitcnt lgkmcnt(0)
	v_fmac_f32_e32 v33, v34, v32
	ds_bpermute_b32 v32, v30, v31 offset:8
	s_waitcnt vmcnt(58)
	v_mul_f32_e32 v34, v39, v40
	;; [unrolled: 5-line block ×6, first 2 shown]
	s_waitcnt vmcnt(20)
	v_pk_mul_f32 v[26:27], v[26:27], v[28:29]
	s_waitcnt lgkmcnt(0)
	v_fmac_f32_e32 v33, v34, v32
	ds_bpermute_b32 v32, v30, v31 offset:28
	v_mul_f32_e32 v34, v49, v50
	v_accvgpr_read_b32 v49, a5
	v_accvgpr_read_b32 v48, a4
	s_waitcnt vmcnt(16)
	v_pk_mul_f32 v[22:23], v[22:23], v[24:25]
	s_waitcnt lgkmcnt(0)
	v_fmac_f32_e32 v33, v34, v32
	ds_bpermute_b32 v32, v30, v31 offset:32
	v_mul_f32_e32 v34, v51, v52
	v_accvgpr_read_b32 v51, a7
	v_accvgpr_read_b32 v50, a6
	s_waitcnt lgkmcnt(0)
	v_fmac_f32_e32 v33, v34, v32
	ds_bpermute_b32 v32, v30, v31 offset:36
	v_mul_f32_e32 v34, v53, v54
	s_waitcnt vmcnt(12)
	v_pk_mul_f32 v[18:19], v[18:19], v[20:21]
	v_accvgpr_read_b32 v53, a9
	v_accvgpr_read_b32 v52, a8
	s_waitcnt lgkmcnt(0)
	v_fmac_f32_e32 v33, v34, v32
	ds_bpermute_b32 v32, v30, v31 offset:40
	v_mul_f32_e32 v34, v55, v56
	s_waitcnt vmcnt(8)
	v_pk_mul_f32 v[14:15], v[14:15], v[16:17]
	v_accvgpr_read_b32 v55, a11
	v_accvgpr_read_b32 v54, a10
	s_waitcnt lgkmcnt(0)
	v_fmac_f32_e32 v33, v34, v32
	ds_bpermute_b32 v32, v30, v31 offset:44
	v_mul_f32_e32 v34, v57, v58
	v_accvgpr_read_b32 v57, a13
	v_accvgpr_read_b32 v56, a12
	s_waitcnt vmcnt(4)
	v_pk_mul_f32 v[10:11], v[10:11], v[12:13]
	s_waitcnt lgkmcnt(0)
	v_fmac_f32_e32 v33, v34, v32
	ds_bpermute_b32 v32, v30, v31 offset:48
	v_mul_f32_e32 v34, v59, v60
	v_accvgpr_read_b32 v59, a15
	v_accvgpr_read_b32 v58, a14
	s_waitcnt lgkmcnt(0)
	v_fmac_f32_e32 v33, v34, v32
	ds_bpermute_b32 v32, v30, v31 offset:52
	v_mul_f32_e32 v34, v61, v62
	s_waitcnt vmcnt(0)
	v_pk_mul_f32 v[6:7], v[6:7], v[8:9]
	v_accvgpr_read_b32 v61, a17
	v_accvgpr_read_b32 v60, a16
	s_waitcnt lgkmcnt(0)
	v_fmac_f32_e32 v33, v34, v32
	ds_bpermute_b32 v32, v30, v31 offset:56
	v_mul_f32_e32 v34, v63, v64
	v_accvgpr_read_b32 v63, a19
	v_accvgpr_read_b32 v62, a18
	s_waitcnt lgkmcnt(0)
	v_fmac_f32_e32 v33, v34, v32
	ds_bpermute_b32 v32, v30, v31 offset:60
	v_mul_f32_e32 v34, v65, v66
	;; [unrolled: 6-line block ×6, first 2 shown]
	v_accvgpr_read_b32 v73, a29
	v_accvgpr_read_b32 v72, a28
	s_waitcnt lgkmcnt(0)
	v_fmac_f32_e32 v33, v34, v32
	ds_bpermute_b32 v34, v30, v31 offset:80
	s_waitcnt lgkmcnt(0)
	v_pk_mul_f32 v[26:27], v[26:27], v[34:35]
	s_nop 0
	v_add_f32_e32 v26, v33, v26
	v_add_f32_e32 v28, v26, v27
	ds_bpermute_b32 v26, v30, v31 offset:88
	ds_bpermute_b32 v27, v30, v31 offset:92
	s_waitcnt lgkmcnt(0)
	v_pk_mul_f32 v[22:23], v[22:23], v[26:27]
	s_nop 0
	v_add_f32_e32 v22, v28, v22
	v_add_f32_e32 v24, v22, v23
	ds_bpermute_b32 v22, v30, v31 offset:96
	;; [unrolled: 7-line block ×5, first 2 shown]
	ds_bpermute_b32 v11, v30, v31 offset:124
	s_waitcnt lgkmcnt(0)
	v_pk_mul_f32 v[6:7], v[6:7], v[10:11]
	s_nop 0
	v_add_f32_e32 v6, v12, v6
	v_add_f32_e32 v31, v6, v7
.LBB153_226:                            ;   in Loop: Header=BB153_150 Depth=1
	s_add_u32 s16, s16, s4
	s_addc_u32 s17, s17, 0
	v_mov_b64_e32 v[6:7], s[12:13]
	v_cmp_ge_i64_e32 vcc, s[16:17], v[6:7]
	v_accvgpr_read_b32 v6, a34
	v_accvgpr_read_b32 v7, a35
	v_lshl_add_u64 v[6:7], v[6:7], 0, s[24:25]
	v_accvgpr_write_b32 a35, v7
	v_accvgpr_write_b32 a34, v6
	v_accvgpr_read_b32 v6, a42
	v_accvgpr_read_b32 v7, a43
	v_lshl_add_u64 v[6:7], v[6:7], 0, s[24:25]
	v_accvgpr_write_b32 a43, v7
	v_accvgpr_write_b32 a42, v6
	v_accvgpr_read_b32 v6, a48
	v_accvgpr_read_b32 v7, a49
	v_lshl_add_u64 v[6:7], v[6:7], 0, s[24:25]
	v_accvgpr_write_b32 a49, v7
	v_accvgpr_write_b32 a48, v6
	v_accvgpr_read_b32 v6, a52
	v_accvgpr_read_b32 v7, a53
	v_lshl_add_u64 v[6:7], v[6:7], 0, s[24:25]
	v_accvgpr_write_b32 a53, v7
	v_accvgpr_write_b32 a52, v6
	v_accvgpr_read_b32 v6, a56
	v_accvgpr_read_b32 v7, a57
	v_lshl_add_u64 v[6:7], v[6:7], 0, s[24:25]
	v_accvgpr_write_b32 a57, v7
	v_accvgpr_write_b32 a56, v6
	v_accvgpr_read_b32 v6, a60
	v_accvgpr_read_b32 v7, a61
	v_lshl_add_u64 v[6:7], v[6:7], 0, s[24:25]
	v_accvgpr_write_b32 a61, v7
	v_accvgpr_write_b32 a60, v6
	v_accvgpr_read_b32 v6, a64
	v_accvgpr_read_b32 v7, a65
	v_lshl_add_u64 v[6:7], v[6:7], 0, s[24:25]
	v_accvgpr_write_b32 a65, v7
	v_accvgpr_write_b32 a64, v6
	v_accvgpr_read_b32 v6, a68
	v_accvgpr_read_b32 v7, a69
	v_lshl_add_u64 v[6:7], v[6:7], 0, s[24:25]
	v_accvgpr_write_b32 a69, v7
	v_accvgpr_write_b32 a68, v6
	v_accvgpr_read_b32 v6, a72
	v_accvgpr_read_b32 v7, a73
	v_lshl_add_u64 v[6:7], v[6:7], 0, s[24:25]
	v_accvgpr_write_b32 a73, v7
	v_accvgpr_write_b32 a72, v6
	v_accvgpr_read_b32 v6, a30
	v_accvgpr_read_b32 v7, a31
	v_lshl_add_u64 v[6:7], v[6:7], 0, s[24:25]
	v_accvgpr_write_b32 a31, v7
	v_accvgpr_write_b32 a30, v6
	v_accvgpr_read_b32 v6, a32
	v_accvgpr_read_b32 v7, a33
	v_lshl_add_u64 v[6:7], v[6:7], 0, s[24:25]
	v_accvgpr_write_b32 a33, v7
	v_accvgpr_write_b32 a32, v6
	v_accvgpr_read_b32 v6, a36
	v_accvgpr_read_b32 v7, a37
	v_lshl_add_u64 v[6:7], v[6:7], 0, s[24:25]
	v_accvgpr_write_b32 a37, v7
	v_accvgpr_write_b32 a36, v6
	v_accvgpr_read_b32 v6, a38
	v_accvgpr_read_b32 v7, a39
	v_lshl_add_u64 v[6:7], v[6:7], 0, s[24:25]
	v_accvgpr_write_b32 a39, v7
	v_accvgpr_write_b32 a38, v6
	v_accvgpr_read_b32 v6, a40
	v_accvgpr_read_b32 v7, a41
	v_lshl_add_u64 v[6:7], v[6:7], 0, s[24:25]
	v_accvgpr_write_b32 a41, v7
	v_accvgpr_write_b32 a40, v6
	v_accvgpr_read_b32 v6, a44
	v_accvgpr_read_b32 v7, a45
	v_lshl_add_u64 v[6:7], v[6:7], 0, s[24:25]
	v_accvgpr_write_b32 a45, v7
	v_accvgpr_write_b32 a44, v6
	v_accvgpr_read_b32 v6, a46
	v_accvgpr_read_b32 v7, a47
	v_lshl_add_u64 v[6:7], v[6:7], 0, s[24:25]
	v_accvgpr_write_b32 a47, v7
	v_accvgpr_write_b32 a46, v6
	v_accvgpr_read_b32 v6, a50
	v_accvgpr_read_b32 v7, a51
	v_lshl_add_u64 v[6:7], v[6:7], 0, s[24:25]
	v_accvgpr_write_b32 a51, v7
	v_accvgpr_write_b32 a50, v6
	v_accvgpr_read_b32 v6, a54
	v_accvgpr_read_b32 v7, a55
	v_lshl_add_u64 v[6:7], v[6:7], 0, s[24:25]
	v_accvgpr_write_b32 a55, v7
	v_accvgpr_write_b32 a54, v6
	v_accvgpr_read_b32 v6, a58
	v_accvgpr_read_b32 v7, a59
	v_lshl_add_u64 v[6:7], v[6:7], 0, s[24:25]
	v_accvgpr_write_b32 a59, v7
	v_accvgpr_write_b32 a58, v6
	v_accvgpr_read_b32 v6, a62
	v_accvgpr_read_b32 v7, a63
	v_lshl_add_u64 v[6:7], v[6:7], 0, s[24:25]
	v_accvgpr_write_b32 a63, v7
	v_accvgpr_write_b32 a62, v6
	v_accvgpr_read_b32 v6, a66
	v_accvgpr_read_b32 v7, a67
	v_lshl_add_u64 v[6:7], v[6:7], 0, s[24:25]
	v_accvgpr_write_b32 a67, v7
	v_accvgpr_write_b32 a66, v6
	v_accvgpr_read_b32 v6, a70
	v_accvgpr_read_b32 v7, a71
	v_lshl_add_u64 v[6:7], v[6:7], 0, s[24:25]
	v_accvgpr_write_b32 a71, v7
	v_accvgpr_write_b32 a70, v6
	v_accvgpr_read_b32 v6, a76
	v_accvgpr_read_b32 v7, a77
	s_add_u32 s26, s26, s4
	v_lshl_add_u64 v[130:131], v[130:131], 0, s[4:5]
	v_lshl_add_u64 v[48:49], v[48:49], 0, s[24:25]
	;; [unrolled: 1-line block ×105, first 2 shown]
	s_addc_u32 s27, s27, 0
	s_cbranch_vccnz .LBB153_228
; %bb.227:                              ;   in Loop: Header=BB153_150 Depth=1
	v_accvgpr_write_b32 a77, v7
	v_accvgpr_write_b32 a76, v6
	v_mov_b32_e32 v33, v31
	s_branch .LBB153_150
.LBB153_228:
	v_accvgpr_read_b32 v0, a74
.LBB153_229:
	s_mov_b32 s3, 0
	s_lshl_b64 s[2:3], s[2:3], 5
	v_and_b32_e32 v1, 0x3ff, v0
	v_or_b32_e32 v6, s2, v1
	v_mov_b32_e32 v7, s3
	s_waitcnt lgkmcnt(0)
	s_cmp_lg_u64 s[6:7], 0
	v_cmp_gt_i64_e32 vcc, s[14:15], v[6:7]
	s_cselect_b64 s[2:3], -1, 0
	s_and_b64 s[2:3], vcc, s[2:3]
	s_and_saveexec_b64 s[4:5], s[2:3]
	s_cbranch_execz .LBB153_231
; %bb.230:
	s_load_dword s0, s[0:1], 0x4c
	v_bfe_u32 v2, v0, 10, 10
	v_mov_b32_e32 v3, 0
	v_mov_b32_e32 v4, s8
	s_waitcnt lgkmcnt(0)
	s_lshr_b32 s0, s0, 16
	v_mad_u64_u32 v[2:3], s[0:1], s0, v4, v[2:3]
	v_mul_lo_u32 v4, v3, s14
	v_mul_lo_u32 v5, v2, s15
	v_mad_u64_u32 v[2:3], s[0:1], v2, s14, 0
	v_add3_u32 v3, v3, v5, v4
	v_lshl_add_u64 v[2:3], v[2:3], 2, s[6:7]
	v_lshl_add_u64 v[0:1], v[6:7], 2, v[2:3]
	global_store_dword v[0:1], v31, off
.LBB153_231:
	s_endpgm
	.section	.rodata,"a",@progbits
	.p2align	6, 0x0
	.amdhsa_kernel _ZN2at6native12_GLOBAL__N_135GammaBetaBackwardCUDAKernelTemplateIffLj32ELj1ELj32ELb1ELb0ELb1EEEvllPKT_S5_PKT0_S8_PS3_S9_
		.amdhsa_group_segment_fixed_size 0
		.amdhsa_private_segment_fixed_size 0
		.amdhsa_kernarg_size 320
		.amdhsa_user_sgpr_count 2
		.amdhsa_user_sgpr_dispatch_ptr 0
		.amdhsa_user_sgpr_queue_ptr 0
		.amdhsa_user_sgpr_kernarg_segment_ptr 1
		.amdhsa_user_sgpr_dispatch_id 0
		.amdhsa_user_sgpr_kernarg_preload_length 0
		.amdhsa_user_sgpr_kernarg_preload_offset 0
		.amdhsa_user_sgpr_private_segment_size 0
		.amdhsa_uses_dynamic_stack 0
		.amdhsa_enable_private_segment 0
		.amdhsa_system_sgpr_workgroup_id_x 1
		.amdhsa_system_sgpr_workgroup_id_y 1
		.amdhsa_system_sgpr_workgroup_id_z 0
		.amdhsa_system_sgpr_workgroup_info 0
		.amdhsa_system_vgpr_workitem_id 1
		.amdhsa_next_free_vgpr 357
		.amdhsa_next_free_sgpr 38
		.amdhsa_accum_offset 256
		.amdhsa_reserve_vcc 1
		.amdhsa_float_round_mode_32 0
		.amdhsa_float_round_mode_16_64 0
		.amdhsa_float_denorm_mode_32 3
		.amdhsa_float_denorm_mode_16_64 3
		.amdhsa_dx10_clamp 1
		.amdhsa_ieee_mode 1
		.amdhsa_fp16_overflow 0
		.amdhsa_tg_split 0
		.amdhsa_exception_fp_ieee_invalid_op 0
		.amdhsa_exception_fp_denorm_src 0
		.amdhsa_exception_fp_ieee_div_zero 0
		.amdhsa_exception_fp_ieee_overflow 0
		.amdhsa_exception_fp_ieee_underflow 0
		.amdhsa_exception_fp_ieee_inexact 0
		.amdhsa_exception_int_div_zero 0
	.end_amdhsa_kernel
	.section	.text._ZN2at6native12_GLOBAL__N_135GammaBetaBackwardCUDAKernelTemplateIffLj32ELj1ELj32ELb1ELb0ELb1EEEvllPKT_S5_PKT0_S8_PS3_S9_,"axG",@progbits,_ZN2at6native12_GLOBAL__N_135GammaBetaBackwardCUDAKernelTemplateIffLj32ELj1ELj32ELb1ELb0ELb1EEEvllPKT_S5_PKT0_S8_PS3_S9_,comdat
.Lfunc_end153:
	.size	_ZN2at6native12_GLOBAL__N_135GammaBetaBackwardCUDAKernelTemplateIffLj32ELj1ELj32ELb1ELb0ELb1EEEvllPKT_S5_PKT0_S8_PS3_S9_, .Lfunc_end153-_ZN2at6native12_GLOBAL__N_135GammaBetaBackwardCUDAKernelTemplateIffLj32ELj1ELj32ELb1ELb0ELb1EEEvllPKT_S5_PKT0_S8_PS3_S9_
                                        ; -- End function
	.section	.AMDGPU.csdata,"",@progbits
; Kernel info:
; codeLenInByte = 21040
; NumSgprs: 44
; NumVgprs: 256
; NumAgprs: 101
; TotalNumVgprs: 357
; ScratchSize: 0
; MemoryBound: 0
; FloatMode: 240
; IeeeMode: 1
; LDSByteSize: 0 bytes/workgroup (compile time only)
; SGPRBlocks: 5
; VGPRBlocks: 44
; NumSGPRsForWavesPerEU: 44
; NumVGPRsForWavesPerEU: 357
; AccumOffset: 256
; Occupancy: 1
; WaveLimiterHint : 0
; COMPUTE_PGM_RSRC2:SCRATCH_EN: 0
; COMPUTE_PGM_RSRC2:USER_SGPR: 2
; COMPUTE_PGM_RSRC2:TRAP_HANDLER: 0
; COMPUTE_PGM_RSRC2:TGID_X_EN: 1
; COMPUTE_PGM_RSRC2:TGID_Y_EN: 1
; COMPUTE_PGM_RSRC2:TGID_Z_EN: 0
; COMPUTE_PGM_RSRC2:TIDIG_COMP_CNT: 1
; COMPUTE_PGM_RSRC3_GFX90A:ACCUM_OFFSET: 63
; COMPUTE_PGM_RSRC3_GFX90A:TG_SPLIT: 0
	.section	.text._ZN2at6native12_GLOBAL__N_135GammaBetaBackwardCUDAKernelTemplateIffLj32ELj1ELj8ELb1ELb1ELb1EEEvllPKT_S5_PKT0_S8_PS3_S9_,"axG",@progbits,_ZN2at6native12_GLOBAL__N_135GammaBetaBackwardCUDAKernelTemplateIffLj32ELj1ELj8ELb1ELb1ELb1EEEvllPKT_S5_PKT0_S8_PS3_S9_,comdat
	.globl	_ZN2at6native12_GLOBAL__N_135GammaBetaBackwardCUDAKernelTemplateIffLj32ELj1ELj8ELb1ELb1ELb1EEEvllPKT_S5_PKT0_S8_PS3_S9_ ; -- Begin function _ZN2at6native12_GLOBAL__N_135GammaBetaBackwardCUDAKernelTemplateIffLj32ELj1ELj8ELb1ELb1ELb1EEEvllPKT_S5_PKT0_S8_PS3_S9_
	.p2align	8
	.type	_ZN2at6native12_GLOBAL__N_135GammaBetaBackwardCUDAKernelTemplateIffLj32ELj1ELj8ELb1ELb1ELb1EEEvllPKT_S5_PKT0_S8_PS3_S9_,@function
_ZN2at6native12_GLOBAL__N_135GammaBetaBackwardCUDAKernelTemplateIffLj32ELj1ELj8ELb1ELb1ELb1EEEvllPKT_S5_PKT0_S8_PS3_S9_: ; @_ZN2at6native12_GLOBAL__N_135GammaBetaBackwardCUDAKernelTemplateIffLj32ELj1ELj8ELb1ELb1ELb1EEEvllPKT_S5_PKT0_S8_PS3_S9_
; %bb.0:
	s_load_dwordx4 s[8:11], s[0:1], 0x0
	s_load_dwordx2 s[16:17], s[0:1], 0x30
	s_lshl_b32 s18, s3, 3
	s_mov_b32 s19, 0
	s_mov_b32 s6, s3
	s_waitcnt lgkmcnt(0)
	v_mov_b64_e32 v[2:3], s[8:9]
	v_cmp_ge_i64_e32 vcc, s[18:19], v[2:3]
	v_mov_b32_e32 v5, 0
	v_bfe_u32 v2, v0, 10, 10
	s_cbranch_vccnz .LBB154_7
; %bb.1:
	s_load_dword s3, s[0:1], 0x4c
	s_load_dword s7, s[0:1], 0x44
	s_load_dwordx4 s[12:15], s[0:1], 0x10
	s_load_dwordx2 s[22:23], s[0:1], 0x28
	v_and_b32_e32 v1, 0x3ff, v0
	s_waitcnt lgkmcnt(0)
	s_and_b32 s3, s3, 0xffff
	v_mad_u32_u24 v3, v2, s3, v1
	v_lshlrev_b32_e32 v4, 3, v2
	v_mov_b32_e32 v5, 0
	v_lshl_or_b32 v10, s2, 5, v1
	v_mbcnt_lo_u32_b32 v1, -1, 0
	v_and_b32_e32 v6, 63, v3
	v_mov_b32_e32 v7, v5
	v_mbcnt_hi_u32_b32 v1, -1, v1
	s_lshl_b32 s20, s7, 3
	v_lshl_add_u64 v[12:13], v[4:5], 0, s[18:19]
	v_cmp_gt_u32_e64 s[4:5], 8, v6
	v_mov_b32_e32 v11, v5
	v_lshlrev_b32_e32 v1, 2, v1
	v_lshl_add_u64 v[6:7], v[12:13], 0, v[6:7]
	v_mul_lo_u32 v4, s11, v12
	v_mul_lo_u32 v20, s10, v13
	v_mad_u64_u32 v[12:13], s[24:25], s10, v12, 0
	s_mul_i32 s3, s11, s20
	s_mul_hi_u32 s7, s10, s20
	v_and_b32_e32 v1, 0x100, v1
	s_mov_b32 s21, s19
	v_add3_u32 v13, v13, v20, v4
	v_lshlrev_b64 v[10:11], 2, v[10:11]
	s_add_i32 s25, s7, s3
	s_mul_i32 s24, s10, s20
	v_or_b32_e32 v3, 4, v1
	v_or_b32_e32 v14, 8, v1
	;; [unrolled: 1-line block ×7, first 2 shown]
	v_lshl_add_u64 v[8:9], v[6:7], 2, s[22:23]
	s_lshl_b64 s[22:23], s[20:21], 2
	v_lshl_add_u64 v[10:11], v[12:13], 2, v[10:11]
	s_lshl_b64 s[24:25], s[24:25], 2
	s_lshl_b64 s[26:27], s[10:11], 2
	v_mov_b64_e32 v[12:13], s[8:9]
	s_branch .LBB154_4
.LBB154_2:                              ;   in Loop: Header=BB154_4 Depth=1
	s_or_b64 exec, exec, s[30:31]
.LBB154_3:                              ;   in Loop: Header=BB154_4 Depth=1
	s_or_b64 exec, exec, s[28:29]
	v_lshl_add_u64 v[20:21], s[12:13], 0, v[10:11]
	global_load_dword v22, v[20:21], off
	v_lshl_add_u64 v[24:25], s[14:15], 0, v[10:11]
	v_lshl_add_u64 v[20:21], v[20:21], 0, s[26:27]
	global_load_dword v26, v[24:25], off
	global_load_dword v23, v[20:21], off
	v_lshl_add_u64 v[24:25], v[24:25], 0, s[26:27]
	v_lshl_add_u64 v[20:21], v[20:21], 0, s[26:27]
	global_load_dword v27, v[24:25], off
	;; [unrolled: 4-line block ×7, first 2 shown]
	v_lshl_add_u64 v[20:21], v[24:25], 0, s[26:27]
	global_load_dword v38, v[24:25], off
	global_load_dword v39, v[20:21], off
	s_waitcnt vmcnt(16)
	ds_bpermute_b32 v20, v1, v4
	ds_bpermute_b32 v21, v3, v4
	;; [unrolled: 1-line block ×8, first 2 shown]
	s_add_u32 s18, s18, s20
	s_addc_u32 s19, s19, 0
	v_cmp_lt_i64_e32 vcc, s[18:19], v[12:13]
	v_lshl_add_u64 v[8:9], v[8:9], 0, s[22:23]
	v_lshl_add_u64 v[6:7], v[6:7], 0, s[20:21]
	;; [unrolled: 1-line block ×3, first 2 shown]
	s_and_b64 vcc, exec, vcc
	s_waitcnt vmcnt(12)
	v_pk_mul_f32 v[22:23], v[22:23], v[26:27]
	s_waitcnt lgkmcnt(6)
	v_pk_mul_f32 v[20:21], v[22:23], v[20:21]
	s_nop 0
	v_add_f32_e32 v20, v5, v20
	v_add_f32_e32 v20, v20, v21
	s_waitcnt vmcnt(8)
	v_pk_mul_f32 v[4:5], v[28:29], v[30:31]
	s_waitcnt lgkmcnt(4)
	v_pk_mul_f32 v[4:5], v[4:5], v[24:25]
	s_nop 0
	v_add_f32_e32 v4, v20, v4
	v_add_f32_e32 v22, v4, v5
	s_waitcnt vmcnt(4)
	v_pk_mul_f32 v[20:21], v[32:33], v[34:35]
	s_waitcnt lgkmcnt(2)
	v_pk_mul_f32 v[4:5], v[20:21], v[40:41]
	s_waitcnt vmcnt(0)
	v_pk_mul_f32 v[20:21], v[36:37], v[38:39]
	v_add_f32_e32 v4, v22, v4
	v_add_f32_e32 v22, v4, v5
	s_waitcnt lgkmcnt(0)
	v_pk_mul_f32 v[4:5], v[20:21], v[42:43]
	s_nop 0
	v_add_f32_e32 v4, v22, v4
	v_add_f32_e32 v5, v4, v5
	s_cbranch_vccz .LBB154_7
.LBB154_4:                              ; =>This Inner Loop Header: Depth=1
	v_mov_b32_e32 v4, 0
	s_and_saveexec_b64 s[28:29], s[4:5]
	s_cbranch_execz .LBB154_3
; %bb.5:                                ;   in Loop: Header=BB154_4 Depth=1
	v_cmp_gt_i64_e32 vcc, s[8:9], v[6:7]
	v_mov_b32_e32 v4, 0
	s_and_saveexec_b64 s[30:31], vcc
	s_cbranch_execz .LBB154_2
; %bb.6:                                ;   in Loop: Header=BB154_4 Depth=1
	global_load_dword v4, v[8:9], off
	s_branch .LBB154_2
.LBB154_7:
	s_cmp_eq_u64 s[16:17], 0
	s_cbranch_scc1 .LBB154_9
; %bb.8:
	s_load_dword s0, s[0:1], 0x4c
	v_mov_b32_e32 v3, 0
	v_mov_b32_e32 v1, s6
	s_mov_b32 s3, 0
	v_and_b32_e32 v0, 0x3ff, v0
	s_waitcnt lgkmcnt(0)
	s_lshr_b32 s0, s0, 16
	v_mad_u64_u32 v[6:7], s[0:1], s0, v1, v[2:3]
	v_mul_lo_u32 v1, v7, s10
	v_mul_lo_u32 v2, v6, s11
	v_mad_u64_u32 v[6:7], s[0:1], v6, s10, 0
	s_lshl_b64 s[0:1], s[2:3], 7
	s_add_u32 s0, s0, s16
	v_add3_u32 v7, v7, v2, v1
	s_addc_u32 s1, s1, s17
	v_lshl_add_u64 v[6:7], v[6:7], 2, s[0:1]
	v_lshlrev_b32_e32 v2, 2, v0
	v_lshl_add_u64 v[0:1], v[6:7], 0, v[2:3]
	global_store_dword v[0:1], v5, off
.LBB154_9:
	s_endpgm
	.section	.rodata,"a",@progbits
	.p2align	6, 0x0
	.amdhsa_kernel _ZN2at6native12_GLOBAL__N_135GammaBetaBackwardCUDAKernelTemplateIffLj32ELj1ELj8ELb1ELb1ELb1EEEvllPKT_S5_PKT0_S8_PS3_S9_
		.amdhsa_group_segment_fixed_size 0
		.amdhsa_private_segment_fixed_size 0
		.amdhsa_kernarg_size 320
		.amdhsa_user_sgpr_count 2
		.amdhsa_user_sgpr_dispatch_ptr 0
		.amdhsa_user_sgpr_queue_ptr 0
		.amdhsa_user_sgpr_kernarg_segment_ptr 1
		.amdhsa_user_sgpr_dispatch_id 0
		.amdhsa_user_sgpr_kernarg_preload_length 0
		.amdhsa_user_sgpr_kernarg_preload_offset 0
		.amdhsa_user_sgpr_private_segment_size 0
		.amdhsa_uses_dynamic_stack 0
		.amdhsa_enable_private_segment 0
		.amdhsa_system_sgpr_workgroup_id_x 1
		.amdhsa_system_sgpr_workgroup_id_y 1
		.amdhsa_system_sgpr_workgroup_id_z 0
		.amdhsa_system_sgpr_workgroup_info 0
		.amdhsa_system_vgpr_workitem_id 1
		.amdhsa_next_free_vgpr 44
		.amdhsa_next_free_sgpr 32
		.amdhsa_accum_offset 44
		.amdhsa_reserve_vcc 1
		.amdhsa_float_round_mode_32 0
		.amdhsa_float_round_mode_16_64 0
		.amdhsa_float_denorm_mode_32 3
		.amdhsa_float_denorm_mode_16_64 3
		.amdhsa_dx10_clamp 1
		.amdhsa_ieee_mode 1
		.amdhsa_fp16_overflow 0
		.amdhsa_tg_split 0
		.amdhsa_exception_fp_ieee_invalid_op 0
		.amdhsa_exception_fp_denorm_src 0
		.amdhsa_exception_fp_ieee_div_zero 0
		.amdhsa_exception_fp_ieee_overflow 0
		.amdhsa_exception_fp_ieee_underflow 0
		.amdhsa_exception_fp_ieee_inexact 0
		.amdhsa_exception_int_div_zero 0
	.end_amdhsa_kernel
	.section	.text._ZN2at6native12_GLOBAL__N_135GammaBetaBackwardCUDAKernelTemplateIffLj32ELj1ELj8ELb1ELb1ELb1EEEvllPKT_S5_PKT0_S8_PS3_S9_,"axG",@progbits,_ZN2at6native12_GLOBAL__N_135GammaBetaBackwardCUDAKernelTemplateIffLj32ELj1ELj8ELb1ELb1ELb1EEEvllPKT_S5_PKT0_S8_PS3_S9_,comdat
.Lfunc_end154:
	.size	_ZN2at6native12_GLOBAL__N_135GammaBetaBackwardCUDAKernelTemplateIffLj32ELj1ELj8ELb1ELb1ELb1EEEvllPKT_S5_PKT0_S8_PS3_S9_, .Lfunc_end154-_ZN2at6native12_GLOBAL__N_135GammaBetaBackwardCUDAKernelTemplateIffLj32ELj1ELj8ELb1ELb1ELb1EEEvllPKT_S5_PKT0_S8_PS3_S9_
                                        ; -- End function
	.section	.AMDGPU.csdata,"",@progbits
; Kernel info:
; codeLenInByte = 1008
; NumSgprs: 38
; NumVgprs: 44
; NumAgprs: 0
; TotalNumVgprs: 44
; ScratchSize: 0
; MemoryBound: 0
; FloatMode: 240
; IeeeMode: 1
; LDSByteSize: 0 bytes/workgroup (compile time only)
; SGPRBlocks: 4
; VGPRBlocks: 5
; NumSGPRsForWavesPerEU: 38
; NumVGPRsForWavesPerEU: 44
; AccumOffset: 44
; Occupancy: 8
; WaveLimiterHint : 0
; COMPUTE_PGM_RSRC2:SCRATCH_EN: 0
; COMPUTE_PGM_RSRC2:USER_SGPR: 2
; COMPUTE_PGM_RSRC2:TRAP_HANDLER: 0
; COMPUTE_PGM_RSRC2:TGID_X_EN: 1
; COMPUTE_PGM_RSRC2:TGID_Y_EN: 1
; COMPUTE_PGM_RSRC2:TGID_Z_EN: 0
; COMPUTE_PGM_RSRC2:TIDIG_COMP_CNT: 1
; COMPUTE_PGM_RSRC3_GFX90A:ACCUM_OFFSET: 10
; COMPUTE_PGM_RSRC3_GFX90A:TG_SPLIT: 0
	.section	.text._ZN2at6native12_GLOBAL__N_135GammaBetaBackwardCUDAKernelTemplateIffLj32ELj1ELj8ELb1ELb0ELb1EEEvllPKT_S5_PKT0_S8_PS3_S9_,"axG",@progbits,_ZN2at6native12_GLOBAL__N_135GammaBetaBackwardCUDAKernelTemplateIffLj32ELj1ELj8ELb1ELb0ELb1EEEvllPKT_S5_PKT0_S8_PS3_S9_,comdat
	.globl	_ZN2at6native12_GLOBAL__N_135GammaBetaBackwardCUDAKernelTemplateIffLj32ELj1ELj8ELb1ELb0ELb1EEEvllPKT_S5_PKT0_S8_PS3_S9_ ; -- Begin function _ZN2at6native12_GLOBAL__N_135GammaBetaBackwardCUDAKernelTemplateIffLj32ELj1ELj8ELb1ELb0ELb1EEEvllPKT_S5_PKT0_S8_PS3_S9_
	.p2align	8
	.type	_ZN2at6native12_GLOBAL__N_135GammaBetaBackwardCUDAKernelTemplateIffLj32ELj1ELj8ELb1ELb0ELb1EEEvllPKT_S5_PKT0_S8_PS3_S9_,@function
_ZN2at6native12_GLOBAL__N_135GammaBetaBackwardCUDAKernelTemplateIffLj32ELj1ELj8ELb1ELb0ELb1EEEvllPKT_S5_PKT0_S8_PS3_S9_: ; @_ZN2at6native12_GLOBAL__N_135GammaBetaBackwardCUDAKernelTemplateIffLj32ELj1ELj8ELb1ELb0ELb1EEEvllPKT_S5_PKT0_S8_PS3_S9_
; %bb.0:
	s_load_dwordx8 s[12:19], s[0:1], 0x0
	s_load_dwordx2 s[10:11], s[0:1], 0x28
	s_mov_b32 s8, s3
	s_lshl_b32 s3, s2, 5
	s_or_b32 s28, s3, 31
	s_mov_b32 s29, 0
	s_waitcnt lgkmcnt(0)
	v_mov_b64_e32 v[2:3], s[14:15]
	v_cmp_ge_i64_e32 vcc, s[28:29], v[2:3]
	s_lshl_b32 s28, s8, 3
	v_mov_b64_e32 v[2:3], s[12:13]
	v_cmp_lt_i64_e64 s[4:5], s[28:29], v[2:3]
	s_nop 1
	v_cndmask_b32_e64 v1, 0, 1, s[4:5]
	v_cmp_ne_u32_e64 s[4:5], 1, v1
	s_cbranch_vccz .LBB155_49
; %bb.1:
	s_and_b64 vcc, exec, s[4:5]
	v_mov_b32_e32 v4, 0
	s_cbranch_vccnz .LBB155_50
; %bb.2:
	v_mov_b32_e32 v3, 0
	v_bfe_u32 v64, v0, 10, 10
	s_load_dword s9, s[0:1], 0x44
	v_lshlrev_b32_e32 v26, 3, v64
	v_mov_b32_e32 v27, v3
	v_and_b32_e32 v1, 0x3ff, v0
	v_lshl_add_u64 v[4:5], v[26:27], 0, s[28:29]
	v_add_u32_e32 v2, s3, v1
	v_lshl_add_u64 v[6:7], v[4:5], 0, 7
	s_add_u32 s30, s0, 64
	v_cmp_gt_i64_e64 s[6:7], s[14:15], v[2:3]
	v_lshlrev_b64 v[28:29], 2, v[2:3]
	v_mul_lo_u32 v2, s15, v6
	v_mul_lo_u32 v8, s14, v7
	v_mad_u64_u32 v[6:7], s[22:23], s14, v6, 0
	s_addc_u32 s31, s1, 0
	s_waitcnt lgkmcnt(0)
	s_lshl_b32 s34, s9, 3
	v_add3_u32 v7, v7, v8, v2
	v_lshlrev_b64 v[6:7], 2, v[6:7]
	s_mul_i32 s9, s15, s34
	s_mul_hi_u32 s21, s14, s34
	v_lshl_add_u64 v[30:31], s[16:17], 0, v[6:7]
	s_add_i32 s23, s21, s9
	s_mul_i32 s22, s14, s34
	v_lshl_add_u64 v[32:33], s[18:19], 0, v[6:7]
	v_lshl_add_u64 v[6:7], v[4:5], 0, 6
	s_lshl_b64 s[38:39], s[22:23], 2
	v_mul_lo_u32 v2, s15, v6
	v_mul_lo_u32 v8, s14, v7
	v_mad_u64_u32 v[6:7], s[22:23], s14, v6, 0
	v_add3_u32 v7, v7, v8, v2
	v_lshlrev_b64 v[6:7], 2, v[6:7]
	v_lshl_add_u64 v[34:35], s[16:17], 0, v[6:7]
	v_lshl_add_u64 v[36:37], s[18:19], 0, v[6:7]
	v_lshl_add_u64 v[6:7], v[4:5], 0, 5
	v_mul_lo_u32 v2, s15, v6
	v_mul_lo_u32 v8, s14, v7
	v_mad_u64_u32 v[6:7], s[22:23], s14, v6, 0
	v_add3_u32 v7, v7, v8, v2
	v_lshlrev_b64 v[6:7], 2, v[6:7]
	v_lshl_add_u64 v[38:39], s[16:17], 0, v[6:7]
	v_lshl_add_u64 v[40:41], s[18:19], 0, v[6:7]
	v_lshl_add_u64 v[6:7], v[4:5], 0, 4
	v_mul_lo_u32 v2, s15, v6
	v_mul_lo_u32 v8, s14, v7
	v_mad_u64_u32 v[6:7], s[22:23], s14, v6, 0
	v_add3_u32 v7, v7, v8, v2
	v_lshlrev_b64 v[6:7], 2, v[6:7]
	v_lshl_add_u64 v[42:43], s[16:17], 0, v[6:7]
	v_lshl_add_u64 v[44:45], s[18:19], 0, v[6:7]
	v_lshl_add_u64 v[6:7], v[4:5], 0, 3
	v_mul_lo_u32 v2, s15, v6
	v_mul_lo_u32 v8, s14, v7
	v_mad_u64_u32 v[6:7], s[22:23], s14, v6, 0
	v_add3_u32 v7, v7, v8, v2
	v_lshlrev_b64 v[6:7], 2, v[6:7]
	v_lshl_add_u64 v[46:47], s[16:17], 0, v[6:7]
	v_lshl_add_u64 v[48:49], s[18:19], 0, v[6:7]
	v_lshl_add_u64 v[6:7], v[4:5], 0, 2
	v_mul_lo_u32 v2, s15, v6
	v_mul_lo_u32 v8, s14, v7
	v_mad_u64_u32 v[6:7], s[22:23], s14, v6, 0
	v_add3_u32 v7, v7, v8, v2
	v_lshlrev_b64 v[6:7], 2, v[6:7]
	v_lshl_add_u64 v[50:51], s[16:17], 0, v[6:7]
	v_lshl_add_u64 v[52:53], s[18:19], 0, v[6:7]
	v_mov_b64_e32 v[6:7], s[14:15]
	v_mad_u64_u32 v[6:7], s[22:23], s14, v4, v[6:7]
	v_mul_lo_u32 v2, s14, v5
	v_mul_lo_u32 v8, s15, v4
	v_mad_u64_u32 v[4:5], s[22:23], s14, v4, 0
	v_add3_u32 v7, v8, v7, v2
	v_add3_u32 v5, v5, v2, v8
	v_mbcnt_lo_u32_b32 v2, -1, 0
	v_mbcnt_hi_u32_b32 v2, -1, v2
	s_mov_b32 s20, 0
	v_lshlrev_b64 v[6:7], 2, v[6:7]
	v_lshlrev_b64 v[4:5], 2, v[4:5]
	v_lshlrev_b32_e32 v2, 2, v2
	s_mov_b32 s35, s20
	s_mov_b64 s[36:37], 7
	v_lshl_add_u64 v[54:55], s[16:17], 0, v[6:7]
	v_lshl_add_u64 v[56:57], s[18:19], 0, v[6:7]
	;; [unrolled: 1-line block ×4, first 2 shown]
	v_and_b32_e32 v65, 0x100, v2
	s_mov_b64 s[40:41], s[28:29]
	v_mov_b32_e32 v66, 0
.LBB155_3:                              ; =>This Inner Loop Header: Depth=1
	s_add_u32 s22, s28, s36
	s_addc_u32 s23, 0, s37
	v_mov_b64_e32 v[4:5], s[12:13]
	v_cmp_ge_i64_e32 vcc, s[22:23], v[4:5]
	v_lshl_add_u64 v[62:63], s[28:29], 0, v[26:27]
	s_cbranch_vccz .LBB155_25
; %bb.4:                                ;   in Loop: Header=BB155_3 Depth=1
	s_load_dword s9, s[30:31], 0xc
	v_mov_b32_e32 v67, 0
	s_waitcnt lgkmcnt(0)
	s_and_b32 s9, s9, 0xffff
	v_mad_u32_u24 v2, v64, s9, v1
	v_and_b32_e32 v2, 63, v2
	v_cmp_gt_u32_e32 vcc, 8, v2
	s_and_saveexec_b64 s[22:23], vcc
	s_cbranch_execz .LBB155_8
; %bb.5:                                ;   in Loop: Header=BB155_3 Depth=1
	v_lshl_add_u64 v[4:5], v[62:63], 0, v[2:3]
	v_cmp_gt_i64_e32 vcc, s[12:13], v[4:5]
	v_mov_b32_e32 v67, 0
	s_and_saveexec_b64 s[24:25], vcc
	s_cbranch_execz .LBB155_7
; %bb.6:                                ;   in Loop: Header=BB155_3 Depth=1
	v_lshl_add_u64 v[4:5], v[4:5], 2, s[10:11]
	global_load_dword v67, v[4:5], off
.LBB155_7:                              ;   in Loop: Header=BB155_3 Depth=1
	s_or_b64 exec, exec, s[24:25]
.LBB155_8:                              ;   in Loop: Header=BB155_3 Depth=1
	s_or_b64 exec, exec, s[22:23]
	s_mov_b32 s21, s20
	s_mov_b32 s22, s20
	;; [unrolled: 1-line block ×7, first 2 shown]
	v_mov_b64_e32 v[10:11], s[20:21]
	v_mov_b64_e32 v[16:17], s[26:27]
	v_cmp_gt_i64_e32 vcc, s[12:13], v[62:63]
	v_mov_b64_e32 v[12:13], s[22:23]
	v_mov_b64_e32 v[14:15], s[24:25]
	;; [unrolled: 1-line block ×3, first 2 shown]
	s_and_b64 s[42:43], s[6:7], vcc
	v_mov_b64_e32 v[22:23], v[14:15]
	v_mov_b64_e32 v[20:21], v[12:13]
	;; [unrolled: 1-line block ×3, first 2 shown]
	s_and_saveexec_b64 s[22:23], s[42:43]
	s_cbranch_execz .LBB155_10
; %bb.9:                                ;   in Loop: Header=BB155_3 Depth=1
	v_lshl_add_u64 v[4:5], v[58:59], 0, v[28:29]
	global_load_dword v2, v[4:5], off
	v_lshl_add_u64 v[4:5], v[60:61], 0, v[28:29]
	global_load_dword v10, v[4:5], off
	v_mov_b32_e32 v8, v3
	v_mov_b32_e32 v9, v3
	v_mov_b32_e32 v4, v3
	v_mov_b32_e32 v5, v3
	v_mov_b32_e32 v6, v3
	v_mov_b32_e32 v7, v3
	s_waitcnt vmcnt(1)
	v_mov_b64_e32 v[24:25], v[8:9]
	v_mov_b32_e32 v11, v3
	v_mov_b32_e32 v12, v3
	;; [unrolled: 1-line block ×7, first 2 shown]
	v_mov_b64_e32 v[22:23], v[6:7]
	v_mov_b64_e32 v[20:21], v[4:5]
	;; [unrolled: 1-line block ×3, first 2 shown]
.LBB155_10:                             ;   in Loop: Header=BB155_3 Depth=1
	s_or_b64 exec, exec, s[22:23]
	v_lshl_add_u64 v[4:5], v[62:63], 0, 1
	v_cmp_gt_i64_e32 vcc, s[12:13], v[4:5]
	s_and_b64 s[24:25], s[6:7], vcc
	s_and_saveexec_b64 s[22:23], s[24:25]
	s_cbranch_execz .LBB155_12
; %bb.11:                               ;   in Loop: Header=BB155_3 Depth=1
	v_lshl_add_u64 v[4:5], v[54:55], 0, v[28:29]
	global_load_dword v19, v[4:5], off
	v_lshl_add_u64 v[4:5], v[56:57], 0, v[28:29]
	global_load_dword v11, v[4:5], off
.LBB155_12:                             ;   in Loop: Header=BB155_3 Depth=1
	s_or_b64 exec, exec, s[22:23]
	v_lshl_add_u64 v[4:5], v[62:63], 0, 2
	v_cmp_gt_i64_e32 vcc, s[12:13], v[4:5]
	s_and_b64 s[24:25], s[6:7], vcc
	s_and_saveexec_b64 s[22:23], s[24:25]
	s_cbranch_execz .LBB155_14
; %bb.13:                               ;   in Loop: Header=BB155_3 Depth=1
	v_lshl_add_u64 v[4:5], v[50:51], 0, v[28:29]
	global_load_dword v20, v[4:5], off
	v_lshl_add_u64 v[4:5], v[52:53], 0, v[28:29]
	global_load_dword v12, v[4:5], off
.LBB155_14:                             ;   in Loop: Header=BB155_3 Depth=1
	;; [unrolled: 12-line block ×7, first 2 shown]
	s_or_b64 exec, exec, s[22:23]
	s_waitcnt vmcnt(0)
	ds_bpermute_b32 v4, v65, v67 offset:4
	ds_bpermute_b32 v5, v65, v67 offset:8
	ds_bpermute_b32 v2, v65, v67
	v_mul_f32_e32 v8, v10, v18
	v_pk_mul_f32 v[10:11], v[10:11], v[18:19]
	v_pk_mul_f32 v[12:13], v[12:13], v[20:21]
	v_mov_b32_e32 v10, v11
	v_mov_b32_e32 v11, v12
	s_waitcnt lgkmcnt(1)
	v_pk_mul_f32 v[4:5], v[10:11], v[4:5]
	ds_bpermute_b32 v10, v65, v67 offset:12
	ds_bpermute_b32 v11, v65, v67 offset:16
	s_waitcnt lgkmcnt(2)
	v_fma_f32 v2, v8, v2, v66
	v_pk_mul_f32 v[8:9], v[14:15], v[22:23]
	v_add_f32_e32 v2, v2, v4
	v_add_f32_e32 v2, v2, v5
	v_mov_b32_e32 v4, v13
	v_mov_b32_e32 v5, v8
	s_waitcnt lgkmcnt(0)
	v_pk_mul_f32 v[4:5], v[4:5], v[10:11]
	ds_bpermute_b32 v10, v65, v67 offset:20
	ds_bpermute_b32 v11, v65, v67 offset:24
	v_pk_mul_f32 v[6:7], v[16:17], v[24:25]
	v_add_f32_e32 v2, v2, v4
	v_add_f32_e32 v7, v2, v5
	ds_bpermute_b32 v2, v65, v67 offset:28
	v_mov_b32_e32 v4, v9
	v_mov_b32_e32 v5, v6
	s_waitcnt lgkmcnt(1)
	v_pk_mul_f32 v[4:5], v[4:5], v[10:11]
	s_nop 0
	v_add_f32_e32 v4, v7, v4
	v_add_f32_e32 v4, v4, v5
	s_branch .LBB155_40
.LBB155_25:                             ;   in Loop: Header=BB155_3 Depth=1
                                        ; implicit-def: $vgpr4
                                        ; implicit-def: $vgpr10_vgpr11_vgpr12_vgpr13_vgpr14_vgpr15_vgpr16_vgpr17
                                        ; implicit-def: $vgpr18_vgpr19_vgpr20_vgpr21_vgpr22_vgpr23_vgpr24_vgpr25
                                        ; implicit-def: $vgpr2
	s_cbranch_execz .LBB155_40
; %bb.26:                               ;   in Loop: Header=BB155_3 Depth=1
	s_load_dword s9, s[30:31], 0x0
	v_mov_b32_e32 v67, 0
	s_waitcnt lgkmcnt(0)
	s_cmp_lt_u32 s2, s9
	s_cselect_b32 s9, 12, 18
	s_add_u32 s22, s30, s9
	s_addc_u32 s23, s31, 0
	global_load_ushort v2, v3, s[22:23]
	s_waitcnt vmcnt(0)
	v_mad_u32_u24 v2, v64, v2, v1
	v_and_b32_e32 v2, 63, v2
	v_cmp_gt_u32_e32 vcc, 8, v2
	s_and_saveexec_b64 s[22:23], vcc
	s_cbranch_execz .LBB155_30
; %bb.27:                               ;   in Loop: Header=BB155_3 Depth=1
	v_lshl_add_u64 v[4:5], v[62:63], 0, v[2:3]
	v_cmp_gt_i64_e32 vcc, s[12:13], v[4:5]
	v_mov_b32_e32 v67, 0
	s_and_saveexec_b64 s[24:25], vcc
	s_cbranch_execz .LBB155_29
; %bb.28:                               ;   in Loop: Header=BB155_3 Depth=1
	v_lshl_add_u64 v[4:5], v[4:5], 2, s[10:11]
	global_load_dword v67, v[4:5], off
.LBB155_29:                             ;   in Loop: Header=BB155_3 Depth=1
	s_or_b64 exec, exec, s[24:25]
.LBB155_30:                             ;   in Loop: Header=BB155_3 Depth=1
	s_or_b64 exec, exec, s[22:23]
	s_mov_b32 s21, s20
	s_mov_b32 s22, s20
	;; [unrolled: 1-line block ×7, first 2 shown]
	v_mov_b64_e32 v[10:11], s[20:21]
	v_mov_b64_e32 v[16:17], s[26:27]
	;; [unrolled: 1-line block ×8, first 2 shown]
	s_and_saveexec_b64 s[22:23], s[6:7]
	s_cbranch_execnz .LBB155_42
; %bb.31:                               ;   in Loop: Header=BB155_3 Depth=1
	s_or_b64 exec, exec, s[22:23]
	s_and_saveexec_b64 s[22:23], s[6:7]
	s_cbranch_execnz .LBB155_43
.LBB155_32:                             ;   in Loop: Header=BB155_3 Depth=1
	s_or_b64 exec, exec, s[22:23]
	s_and_saveexec_b64 s[22:23], s[6:7]
	s_cbranch_execnz .LBB155_44
.LBB155_33:                             ;   in Loop: Header=BB155_3 Depth=1
	s_or_b64 exec, exec, s[22:23]
	s_and_saveexec_b64 s[22:23], s[6:7]
	s_cbranch_execnz .LBB155_45
.LBB155_34:                             ;   in Loop: Header=BB155_3 Depth=1
	s_or_b64 exec, exec, s[22:23]
	s_and_saveexec_b64 s[22:23], s[6:7]
	s_cbranch_execnz .LBB155_46
.LBB155_35:                             ;   in Loop: Header=BB155_3 Depth=1
	s_or_b64 exec, exec, s[22:23]
	s_and_saveexec_b64 s[22:23], s[6:7]
	s_cbranch_execnz .LBB155_47
.LBB155_36:                             ;   in Loop: Header=BB155_3 Depth=1
	s_or_b64 exec, exec, s[22:23]
	s_and_saveexec_b64 s[22:23], s[6:7]
	s_cbranch_execnz .LBB155_48
.LBB155_37:                             ;   in Loop: Header=BB155_3 Depth=1
	s_or_b64 exec, exec, s[22:23]
	s_and_saveexec_b64 s[22:23], s[6:7]
	s_cbranch_execz .LBB155_39
.LBB155_38:                             ;   in Loop: Header=BB155_3 Depth=1
	v_lshl_add_u64 v[4:5], v[30:31], 0, v[28:29]
	global_load_dword v25, v[4:5], off
	v_lshl_add_u64 v[4:5], v[32:33], 0, v[28:29]
	global_load_dword v17, v[4:5], off
.LBB155_39:                             ;   in Loop: Header=BB155_3 Depth=1
	s_or_b64 exec, exec, s[22:23]
	s_waitcnt vmcnt(0)
	ds_bpermute_b32 v4, v65, v67 offset:4
	ds_bpermute_b32 v5, v65, v67 offset:8
	ds_bpermute_b32 v2, v65, v67
	v_mul_f32_e32 v8, v10, v18
	v_pk_mul_f32 v[10:11], v[10:11], v[18:19]
	v_pk_mul_f32 v[12:13], v[12:13], v[20:21]
	v_mov_b32_e32 v10, v11
	v_mov_b32_e32 v11, v12
	s_waitcnt lgkmcnt(1)
	v_pk_mul_f32 v[4:5], v[10:11], v[4:5]
	ds_bpermute_b32 v10, v65, v67 offset:12
	ds_bpermute_b32 v11, v65, v67 offset:16
	s_waitcnt lgkmcnt(2)
	v_fmac_f32_e32 v66, v8, v2
	v_pk_mul_f32 v[8:9], v[14:15], v[22:23]
	v_add_f32_e32 v2, v66, v4
	v_add_f32_e32 v2, v2, v5
	v_mov_b32_e32 v4, v13
	v_mov_b32_e32 v5, v8
	s_waitcnt lgkmcnt(0)
	v_pk_mul_f32 v[4:5], v[4:5], v[10:11]
	ds_bpermute_b32 v10, v65, v67 offset:20
	ds_bpermute_b32 v11, v65, v67 offset:24
	v_pk_mul_f32 v[6:7], v[16:17], v[24:25]
	v_add_f32_e32 v2, v2, v4
	v_add_f32_e32 v7, v2, v5
	v_mov_b32_e32 v4, v9
	v_mov_b32_e32 v5, v6
	s_waitcnt lgkmcnt(0)
	v_pk_mul_f32 v[4:5], v[4:5], v[10:11]
	ds_bpermute_b32 v2, v65, v67 offset:28
	v_add_f32_e32 v4, v7, v4
	v_add_f32_e32 v4, v4, v5
.LBB155_40:                             ;   in Loop: Header=BB155_3 Depth=1
	s_add_u32 s40, s40, s34
	s_addc_u32 s41, s41, 0
	v_mov_b64_e32 v[6:7], s[12:13]
	v_mul_f32_e32 v5, v25, v17
	s_add_u32 s36, s36, s34
	v_cmp_lt_i64_e32 vcc, s[40:41], v[6:7]
	s_waitcnt lgkmcnt(0)
	v_fmac_f32_e32 v4, v5, v2
	v_lshl_add_u64 v[30:31], v[30:31], 0, s[38:39]
	v_lshl_add_u64 v[32:33], v[32:33], 0, s[38:39]
	;; [unrolled: 1-line block ×17, first 2 shown]
	s_addc_u32 s37, s37, 0
	s_cbranch_vccz .LBB155_50
; %bb.41:                               ;   in Loop: Header=BB155_3 Depth=1
	v_mov_b32_e32 v66, v4
	s_branch .LBB155_3
.LBB155_42:                             ;   in Loop: Header=BB155_3 Depth=1
	v_lshl_add_u64 v[4:5], v[58:59], 0, v[28:29]
	global_load_dword v2, v[4:5], off
	v_lshl_add_u64 v[4:5], v[60:61], 0, v[28:29]
	global_load_dword v10, v[4:5], off
	v_mov_b32_e32 v8, v3
	v_mov_b32_e32 v9, v3
	;; [unrolled: 1-line block ×6, first 2 shown]
	s_waitcnt vmcnt(1)
	v_mov_b64_e32 v[24:25], v[8:9]
	v_mov_b32_e32 v11, v3
	v_mov_b32_e32 v12, v3
	;; [unrolled: 1-line block ×7, first 2 shown]
	v_mov_b64_e32 v[22:23], v[6:7]
	v_mov_b64_e32 v[20:21], v[4:5]
	;; [unrolled: 1-line block ×3, first 2 shown]
	s_or_b64 exec, exec, s[22:23]
	s_and_saveexec_b64 s[22:23], s[6:7]
	s_cbranch_execz .LBB155_32
.LBB155_43:                             ;   in Loop: Header=BB155_3 Depth=1
	v_lshl_add_u64 v[4:5], v[54:55], 0, v[28:29]
	global_load_dword v19, v[4:5], off
	v_lshl_add_u64 v[4:5], v[56:57], 0, v[28:29]
	global_load_dword v11, v[4:5], off
	s_or_b64 exec, exec, s[22:23]
	s_and_saveexec_b64 s[22:23], s[6:7]
	s_cbranch_execz .LBB155_33
.LBB155_44:                             ;   in Loop: Header=BB155_3 Depth=1
	v_lshl_add_u64 v[4:5], v[50:51], 0, v[28:29]
	global_load_dword v20, v[4:5], off
	v_lshl_add_u64 v[4:5], v[52:53], 0, v[28:29]
	global_load_dword v12, v[4:5], off
	s_or_b64 exec, exec, s[22:23]
	s_and_saveexec_b64 s[22:23], s[6:7]
	s_cbranch_execz .LBB155_34
.LBB155_45:                             ;   in Loop: Header=BB155_3 Depth=1
	v_lshl_add_u64 v[4:5], v[46:47], 0, v[28:29]
	global_load_dword v21, v[4:5], off
	v_lshl_add_u64 v[4:5], v[48:49], 0, v[28:29]
	global_load_dword v13, v[4:5], off
	s_or_b64 exec, exec, s[22:23]
	s_and_saveexec_b64 s[22:23], s[6:7]
	s_cbranch_execz .LBB155_35
.LBB155_46:                             ;   in Loop: Header=BB155_3 Depth=1
	v_lshl_add_u64 v[4:5], v[42:43], 0, v[28:29]
	global_load_dword v22, v[4:5], off
	v_lshl_add_u64 v[4:5], v[44:45], 0, v[28:29]
	global_load_dword v14, v[4:5], off
	s_or_b64 exec, exec, s[22:23]
	s_and_saveexec_b64 s[22:23], s[6:7]
	s_cbranch_execz .LBB155_36
.LBB155_47:                             ;   in Loop: Header=BB155_3 Depth=1
	v_lshl_add_u64 v[4:5], v[38:39], 0, v[28:29]
	global_load_dword v23, v[4:5], off
	v_lshl_add_u64 v[4:5], v[40:41], 0, v[28:29]
	global_load_dword v15, v[4:5], off
	s_or_b64 exec, exec, s[22:23]
	s_and_saveexec_b64 s[22:23], s[6:7]
	s_cbranch_execz .LBB155_37
.LBB155_48:                             ;   in Loop: Header=BB155_3 Depth=1
	v_lshl_add_u64 v[4:5], v[34:35], 0, v[28:29]
	global_load_dword v24, v[4:5], off
	v_lshl_add_u64 v[4:5], v[36:37], 0, v[28:29]
	global_load_dword v16, v[4:5], off
	s_or_b64 exec, exec, s[22:23]
	s_and_saveexec_b64 s[22:23], s[6:7]
	s_cbranch_execnz .LBB155_38
	s_branch .LBB155_39
.LBB155_49:
                                        ; implicit-def: $vgpr4
	s_load_dwordx2 s[6:7], s[0:1], 0x30
	s_branch .LBB155_51
.LBB155_50:
	s_load_dwordx2 s[6:7], s[0:1], 0x30
	s_cbranch_execnz .LBB155_83
.LBB155_51:
	s_and_b64 vcc, exec, s[4:5]
	v_mov_b32_e32 v4, 0
	s_cbranch_vccnz .LBB155_83
; %bb.52:
	v_and_b32_e32 v1, 0x3ff, v0
	v_add_u32_e32 v2, s3, v1
	v_mov_b32_e32 v3, 0
	v_bfe_u32 v92, v0, 10, 10
	v_lshlrev_b64 v[28:29], 2, v[2:3]
	v_lshlrev_b32_e32 v2, 5, v92
	v_lshl_add_u64 v[4:5], s[28:29], 2, v[2:3]
	v_lshl_add_u64 v[6:7], v[4:5], 0, 4
	v_mov_b64_e32 v[8:9], s[16:17]
	v_lshl_add_u64 v[10:11], v[4:5], 0, 8
	v_lshl_add_u64 v[12:13], v[4:5], 0, 12
	;; [unrolled: 1-line block ×6, first 2 shown]
	v_mad_u64_u32 v[30:31], s[4:5], s14, v6, v[8:9]
	v_mad_u64_u32 v[32:33], s[4:5], s14, v10, v[8:9]
	;; [unrolled: 1-line block ×7, first 2 shown]
	v_mov_b64_e32 v[8:9], s[18:19]
	v_lshlrev_b32_e32 v26, 3, v92
	v_mov_b32_e32 v27, v3
	v_mul_lo_u32 v2, s14, v7
	v_mul_lo_u32 v7, s15, v6
	v_mad_u64_u32 v[44:45], s[4:5], s14, v6, v[8:9]
	v_add3_u32 v31, v7, v31, v2
	v_mul_lo_u32 v5, s14, v5
	v_mul_lo_u32 v25, s15, v4
	v_add3_u32 v45, v7, v45, v2
	v_lshl_add_u64 v[6:7], v[26:27], 0, s[28:29]
	v_mad_u64_u32 v[56:57], s[4:5], s14, v4, v[8:9]
	v_add3_u32 v43, v25, v43, v5
	v_add3_u32 v57, v25, v57, v5
	v_lshl_add_u64 v[4:5], v[6:7], 0, 7
	v_mad_u64_u32 v[46:47], s[4:5], s14, v10, v[8:9]
	v_mad_u64_u32 v[48:49], s[4:5], s14, v12, v[8:9]
	;; [unrolled: 1-line block ×5, first 2 shown]
	v_mul_lo_u32 v8, s15, v4
	v_mul_lo_u32 v9, s14, v5
	v_mad_u64_u32 v[4:5], s[4:5], s14, v4, 0
	v_mul_lo_u32 v11, s14, v11
	v_mul_lo_u32 v20, s15, v10
	v_add3_u32 v5, v5, v9, v8
	v_lshl_add_u64 v[8:9], v[6:7], 0, 6
	v_add3_u32 v33, v20, v33, v11
	v_add3_u32 v47, v20, v47, v11
	v_mul_lo_u32 v10, s15, v8
	v_mul_lo_u32 v11, s14, v9
	v_mad_u64_u32 v[8:9], s[4:5], s14, v8, 0
	v_mul_lo_u32 v13, s14, v13
	v_mul_lo_u32 v21, s15, v12
	v_add3_u32 v9, v9, v11, v10
	v_lshl_add_u64 v[10:11], v[6:7], 0, 5
	v_add3_u32 v35, v21, v35, v13
	v_add3_u32 v49, v21, v49, v13
	;; [unrolled: 9-line block ×4, first 2 shown]
	v_mul_lo_u32 v16, s15, v14
	v_mul_lo_u32 v17, s14, v15
	v_mad_u64_u32 v[14:15], s[4:5], s14, v14, 0
	v_mul_lo_u32 v19, s14, v19
	v_mul_lo_u32 v24, s15, v18
	v_add3_u32 v15, v15, v17, v16
	v_lshl_add_u64 v[16:17], v[6:7], 0, 2
	s_load_dword s3, s[0:1], 0x44
	v_add3_u32 v41, v24, v41, v19
	v_add3_u32 v55, v24, v55, v19
	v_mul_lo_u32 v18, s15, v16
	v_mul_lo_u32 v19, s14, v17
	v_mad_u64_u32 v[16:17], s[4:5], s14, v16, 0
	v_lshlrev_b64 v[4:5], 2, v[4:5]
	v_add3_u32 v17, v17, v19, v18
	v_mov_b64_e32 v[18:19], s[14:15]
	v_lshl_add_u64 v[62:63], s[16:17], 0, v[4:5]
	v_lshl_add_u64 v[64:65], s[18:19], 0, v[4:5]
	v_lshlrev_b64 v[4:5], 2, v[8:9]
	v_mul_lo_u32 v2, s15, v6
	v_mad_u64_u32 v[18:19], s[4:5], s14, v6, v[18:19]
	v_mul_lo_u32 v20, s14, v7
	v_mad_u64_u32 v[6:7], s[4:5], s14, v6, 0
	v_lshl_add_u64 v[66:67], s[16:17], 0, v[4:5]
	v_lshl_add_u64 v[68:69], s[18:19], 0, v[4:5]
	v_lshlrev_b64 v[4:5], 2, v[10:11]
	s_add_u32 s4, s0, 64
	v_lshl_add_u64 v[70:71], s[16:17], 0, v[4:5]
	v_lshl_add_u64 v[72:73], s[18:19], 0, v[4:5]
	v_lshlrev_b64 v[4:5], 2, v[12:13]
	v_add3_u32 v7, v7, v20, v2
	v_add3_u32 v19, v2, v19, v20
	s_addc_u32 s5, s1, 0
	s_waitcnt lgkmcnt(0)
	s_lshl_b32 s30, s3, 3
	v_lshl_add_u64 v[74:75], s[16:17], 0, v[4:5]
	v_lshl_add_u64 v[76:77], s[18:19], 0, v[4:5]
	v_lshlrev_b64 v[4:5], 2, v[14:15]
	v_mbcnt_lo_u32_b32 v2, -1, 0
	s_mul_i32 s3, s15, s30
	s_mul_hi_u32 s9, s14, s30
	v_lshl_add_u64 v[78:79], s[16:17], 0, v[4:5]
	v_lshl_add_u64 v[80:81], s[18:19], 0, v[4:5]
	v_lshlrev_b64 v[4:5], 2, v[16:17]
	v_mbcnt_hi_u32_b32 v2, -1, v2
	s_mov_b32 s20, 0
	s_add_i32 s23, s9, s3
	s_mul_i32 s22, s14, s30
	v_lshlrev_b64 v[6:7], 2, v[6:7]
	v_lshl_add_u64 v[82:83], s[16:17], 0, v[4:5]
	v_lshl_add_u64 v[84:85], s[18:19], 0, v[4:5]
	v_lshlrev_b64 v[4:5], 2, v[18:19]
	v_lshlrev_b32_e32 v2, 2, v2
	s_mov_b32 s31, s20
	s_lshl_b64 s[34:35], s[22:23], 2
	v_lshl_add_u64 v[58:59], s[16:17], 0, v[6:7]
	v_lshl_add_u64 v[60:61], s[18:19], 0, v[6:7]
	s_mov_b64 s[36:37], 7
	v_lshl_add_u64 v[86:87], s[16:17], 0, v[4:5]
	v_lshl_add_u64 v[88:89], s[18:19], 0, v[4:5]
	v_and_b32_e32 v93, 0x100, v2
	s_mov_b64 s[16:17], s[28:29]
	v_mov_b32_e32 v94, 0
.LBB155_53:                             ; =>This Inner Loop Header: Depth=1
	s_add_u32 s18, s28, s36
	s_addc_u32 s19, 0, s37
	v_mov_b64_e32 v[4:5], s[12:13]
	v_cmp_ge_i64_e32 vcc, s[18:19], v[4:5]
	v_lshl_add_u64 v[90:91], s[28:29], 0, v[26:27]
	s_cbranch_vccz .LBB155_75
; %bb.54:                               ;   in Loop: Header=BB155_53 Depth=1
	s_load_dword s3, s[4:5], 0xc
	v_mov_b32_e32 v95, 0
	s_waitcnt lgkmcnt(0)
	s_and_b32 s3, s3, 0xffff
	v_mad_u32_u24 v2, v92, s3, v1
	v_and_b32_e32 v2, 63, v2
	v_cmp_gt_u32_e32 vcc, 8, v2
	s_and_saveexec_b64 s[18:19], vcc
	s_cbranch_execz .LBB155_58
; %bb.55:                               ;   in Loop: Header=BB155_53 Depth=1
	v_lshl_add_u64 v[4:5], v[90:91], 0, v[2:3]
	v_cmp_gt_i64_e32 vcc, s[12:13], v[4:5]
	v_mov_b32_e32 v95, 0
	s_and_saveexec_b64 s[22:23], vcc
	s_cbranch_execz .LBB155_57
; %bb.56:                               ;   in Loop: Header=BB155_53 Depth=1
	v_lshl_add_u64 v[4:5], v[4:5], 2, s[10:11]
	global_load_dword v95, v[4:5], off
.LBB155_57:                             ;   in Loop: Header=BB155_53 Depth=1
	s_or_b64 exec, exec, s[22:23]
.LBB155_58:                             ;   in Loop: Header=BB155_53 Depth=1
	s_or_b64 exec, exec, s[18:19]
	s_mov_b32 s21, s20
	s_mov_b32 s22, s20
	;; [unrolled: 1-line block ×7, first 2 shown]
	v_mov_b64_e32 v[10:11], s[20:21]
	v_mov_b64_e32 v[16:17], s[26:27]
	v_mov_b64_e32 v[12:13], s[22:23]
	v_mov_b64_e32 v[14:15], s[24:25]
	v_mov_b64_e32 v[24:25], v[16:17]
	v_cmp_gt_i64_e32 vcc, s[12:13], v[90:91]
	v_mov_b64_e32 v[22:23], v[14:15]
	v_mov_b64_e32 v[20:21], v[12:13]
	v_mov_b64_e32 v[18:19], v[10:11]
	s_and_saveexec_b64 s[18:19], vcc
	s_cbranch_execz .LBB155_60
; %bb.59:                               ;   in Loop: Header=BB155_53 Depth=1
	v_lshl_add_u64 v[4:5], v[58:59], 0, v[28:29]
	global_load_dword v2, v[4:5], off
	v_lshl_add_u64 v[4:5], v[60:61], 0, v[28:29]
	global_load_dword v10, v[4:5], off
	v_mov_b32_e32 v8, v3
	v_mov_b32_e32 v9, v3
	;; [unrolled: 1-line block ×6, first 2 shown]
	s_waitcnt vmcnt(1)
	v_mov_b64_e32 v[24:25], v[8:9]
	v_mov_b32_e32 v11, v3
	v_mov_b32_e32 v12, v3
	;; [unrolled: 1-line block ×7, first 2 shown]
	v_mov_b64_e32 v[22:23], v[6:7]
	v_mov_b64_e32 v[20:21], v[4:5]
	;; [unrolled: 1-line block ×3, first 2 shown]
.LBB155_60:                             ;   in Loop: Header=BB155_53 Depth=1
	s_or_b64 exec, exec, s[18:19]
	v_lshl_add_u64 v[4:5], v[90:91], 0, 1
	v_cmp_gt_i64_e32 vcc, s[12:13], v[4:5]
	s_and_saveexec_b64 s[18:19], vcc
	s_cbranch_execz .LBB155_62
; %bb.61:                               ;   in Loop: Header=BB155_53 Depth=1
	v_lshl_add_u64 v[4:5], v[86:87], 0, v[28:29]
	global_load_dword v19, v[4:5], off
	v_lshl_add_u64 v[4:5], v[88:89], 0, v[28:29]
	global_load_dword v11, v[4:5], off
.LBB155_62:                             ;   in Loop: Header=BB155_53 Depth=1
	s_or_b64 exec, exec, s[18:19]
	v_lshl_add_u64 v[4:5], v[90:91], 0, 2
	v_cmp_gt_i64_e32 vcc, s[12:13], v[4:5]
	s_and_saveexec_b64 s[18:19], vcc
	s_cbranch_execz .LBB155_64
; %bb.63:                               ;   in Loop: Header=BB155_53 Depth=1
	v_lshl_add_u64 v[4:5], v[82:83], 0, v[28:29]
	global_load_dword v20, v[4:5], off
	v_lshl_add_u64 v[4:5], v[84:85], 0, v[28:29]
	global_load_dword v12, v[4:5], off
.LBB155_64:                             ;   in Loop: Header=BB155_53 Depth=1
	;; [unrolled: 11-line block ×7, first 2 shown]
	s_or_b64 exec, exec, s[18:19]
	s_waitcnt vmcnt(0)
	ds_bpermute_b32 v4, v93, v95
	ds_bpermute_b32 v5, v93, v95 offset:4
	v_pk_mul_f32 v[8:9], v[14:15], v[22:23]
	ds_bpermute_b32 v14, v93, v95 offset:8
	ds_bpermute_b32 v15, v93, v95 offset:12
	v_pk_mul_f32 v[10:11], v[10:11], v[18:19]
	v_pk_mul_f32 v[12:13], v[12:13], v[20:21]
	s_waitcnt lgkmcnt(2)
	v_pk_mul_f32 v[4:5], v[10:11], v[4:5]
	ds_bpermute_b32 v10, v93, v95 offset:16
	ds_bpermute_b32 v11, v93, v95 offset:20
	v_add_f32_e32 v2, v94, v4
	v_add_f32_e32 v2, v2, v5
	s_waitcnt lgkmcnt(2)
	v_pk_mul_f32 v[4:5], v[12:13], v[14:15]
	ds_bpermute_b32 v12, v93, v95 offset:24
	ds_bpermute_b32 v13, v93, v95 offset:28
	v_add_f32_e32 v2, v2, v4
	v_add_f32_e32 v2, v2, v5
	s_waitcnt lgkmcnt(2)
	v_pk_mul_f32 v[4:5], v[8:9], v[10:11]
	v_pk_mul_f32 v[6:7], v[16:17], v[24:25]
	v_add_f32_e32 v2, v2, v4
	v_add_f32_e32 v2, v2, v5
	s_waitcnt lgkmcnt(0)
	v_pk_mul_f32 v[4:5], v[6:7], v[12:13]
	s_nop 0
	v_add_f32_e32 v2, v2, v4
	v_add_f32_e32 v4, v2, v5
	s_branch .LBB155_81
.LBB155_75:                             ;   in Loop: Header=BB155_53 Depth=1
                                        ; implicit-def: $vgpr4
	s_cbranch_execz .LBB155_81
; %bb.76:                               ;   in Loop: Header=BB155_53 Depth=1
	s_load_dword s3, s[4:5], 0x0
	v_mov_b32_e32 v6, 0
	s_waitcnt lgkmcnt(0)
	s_cmp_lt_u32 s2, s3
	s_cselect_b32 s3, 12, 18
	s_add_u32 s18, s4, s3
	s_addc_u32 s19, s5, 0
	global_load_ushort v2, v3, s[18:19]
	s_waitcnt vmcnt(0)
	v_mad_u32_u24 v2, v92, v2, v1
	v_and_b32_e32 v2, 63, v2
	v_cmp_gt_u32_e32 vcc, 8, v2
	s_and_saveexec_b64 s[18:19], vcc
	s_cbranch_execz .LBB155_80
; %bb.77:                               ;   in Loop: Header=BB155_53 Depth=1
	v_lshl_add_u64 v[4:5], v[90:91], 0, v[2:3]
	v_cmp_gt_i64_e32 vcc, s[12:13], v[4:5]
	v_mov_b32_e32 v6, 0
	s_and_saveexec_b64 s[22:23], vcc
	s_cbranch_execz .LBB155_79
; %bb.78:                               ;   in Loop: Header=BB155_53 Depth=1
	v_lshl_add_u64 v[4:5], v[4:5], 2, s[10:11]
	global_load_dword v6, v[4:5], off
.LBB155_79:                             ;   in Loop: Header=BB155_53 Depth=1
	s_or_b64 exec, exec, s[22:23]
.LBB155_80:                             ;   in Loop: Header=BB155_53 Depth=1
	s_or_b64 exec, exec, s[18:19]
	v_lshl_add_u64 v[4:5], v[58:59], 0, v[28:29]
	v_lshl_add_u64 v[10:11], v[30:31], 0, v[28:29]
	global_load_dword v4, v[4:5], off
	v_lshl_add_u64 v[8:9], v[60:61], 0, v[28:29]
	global_load_dword v5, v[10:11], off
	;; [unrolled: 2-line block ×15, first 2 shown]
	s_waitcnt vmcnt(15)
	ds_bpermute_b32 v24, v93, v6 offset:8
	global_load_dword v21, v[22:23], off
	ds_bpermute_b32 v22, v93, v6
	ds_bpermute_b32 v23, v93, v6 offset:4
	ds_bpermute_b32 v25, v93, v6 offset:12
	ds_bpermute_b32 v90, v93, v6 offset:16
	ds_bpermute_b32 v91, v93, v6 offset:20
	ds_bpermute_b32 v96, v93, v6 offset:24
	ds_bpermute_b32 v97, v93, v6 offset:28
	s_waitcnt vmcnt(12)
	v_pk_mul_f32 v[4:5], v[4:5], v[8:9]
	s_waitcnt lgkmcnt(5)
	v_pk_mul_f32 v[4:5], v[4:5], v[22:23]
	s_waitcnt vmcnt(8)
	v_pk_mul_f32 v[6:7], v[10:11], v[12:13]
	v_add_f32_e32 v2, v94, v4
	s_waitcnt lgkmcnt(4)
	v_pk_mul_f32 v[6:7], v[6:7], v[24:25]
	v_add_f32_e32 v2, v2, v5
	v_add_f32_e32 v2, v2, v6
	;; [unrolled: 1-line block ×3, first 2 shown]
	s_waitcnt vmcnt(4)
	v_pk_mul_f32 v[8:9], v[14:15], v[16:17]
	s_waitcnt lgkmcnt(2)
	v_pk_mul_f32 v[8:9], v[8:9], v[90:91]
	s_waitcnt vmcnt(0)
	v_pk_mul_f32 v[10:11], v[18:19], v[20:21]
	v_add_f32_e32 v2, v2, v8
	v_add_f32_e32 v2, v2, v9
	s_waitcnt lgkmcnt(0)
	v_pk_mul_f32 v[4:5], v[10:11], v[96:97]
	s_nop 0
	v_add_f32_e32 v2, v2, v4
	v_add_f32_e32 v4, v2, v5
.LBB155_81:                             ;   in Loop: Header=BB155_53 Depth=1
	s_add_u32 s16, s16, s30
	s_addc_u32 s17, s17, 0
	v_mov_b64_e32 v[6:7], s[12:13]
	s_add_u32 s36, s36, s30
	v_cmp_ge_i64_e32 vcc, s[16:17], v[6:7]
	v_lshl_add_u64 v[26:27], v[26:27], 0, s[30:31]
	v_lshl_add_u64 v[30:31], v[30:31], 0, s[34:35]
	;; [unrolled: 1-line block ×31, first 2 shown]
	s_addc_u32 s37, s37, 0
	s_cbranch_vccnz .LBB155_83
; %bb.82:                               ;   in Loop: Header=BB155_53 Depth=1
	v_mov_b32_e32 v94, v4
	s_branch .LBB155_53
.LBB155_83:
	s_mov_b32 s3, 0
	s_lshl_b64 s[2:3], s[2:3], 5
	v_and_b32_e32 v1, 0x3ff, v0
	v_or_b32_e32 v2, s2, v1
	v_mov_b32_e32 v3, s3
	s_waitcnt lgkmcnt(0)
	s_cmp_lg_u64 s[6:7], 0
	v_cmp_gt_i64_e32 vcc, s[14:15], v[2:3]
	s_cselect_b64 s[2:3], -1, 0
	s_and_b64 s[2:3], vcc, s[2:3]
	s_and_saveexec_b64 s[4:5], s[2:3]
	s_cbranch_execz .LBB155_85
; %bb.84:
	s_load_dword s0, s[0:1], 0x4c
	v_bfe_u32 v0, v0, 10, 10
	v_mov_b32_e32 v1, 0
	v_mov_b32_e32 v5, s8
	s_waitcnt lgkmcnt(0)
	s_lshr_b32 s0, s0, 16
	v_mad_u64_u32 v[0:1], s[0:1], s0, v5, v[0:1]
	v_mul_lo_u32 v5, v1, s14
	v_mul_lo_u32 v6, v0, s15
	v_mad_u64_u32 v[0:1], s[0:1], v0, s14, 0
	v_add3_u32 v1, v1, v6, v5
	v_lshl_add_u64 v[0:1], v[0:1], 2, s[6:7]
	v_lshl_add_u64 v[0:1], v[2:3], 2, v[0:1]
	global_store_dword v[0:1], v4, off
.LBB155_85:
	s_endpgm
	.section	.rodata,"a",@progbits
	.p2align	6, 0x0
	.amdhsa_kernel _ZN2at6native12_GLOBAL__N_135GammaBetaBackwardCUDAKernelTemplateIffLj32ELj1ELj8ELb1ELb0ELb1EEEvllPKT_S5_PKT0_S8_PS3_S9_
		.amdhsa_group_segment_fixed_size 0
		.amdhsa_private_segment_fixed_size 0
		.amdhsa_kernarg_size 320
		.amdhsa_user_sgpr_count 2
		.amdhsa_user_sgpr_dispatch_ptr 0
		.amdhsa_user_sgpr_queue_ptr 0
		.amdhsa_user_sgpr_kernarg_segment_ptr 1
		.amdhsa_user_sgpr_dispatch_id 0
		.amdhsa_user_sgpr_kernarg_preload_length 0
		.amdhsa_user_sgpr_kernarg_preload_offset 0
		.amdhsa_user_sgpr_private_segment_size 0
		.amdhsa_uses_dynamic_stack 0
		.amdhsa_enable_private_segment 0
		.amdhsa_system_sgpr_workgroup_id_x 1
		.amdhsa_system_sgpr_workgroup_id_y 1
		.amdhsa_system_sgpr_workgroup_id_z 0
		.amdhsa_system_sgpr_workgroup_info 0
		.amdhsa_system_vgpr_workitem_id 1
		.amdhsa_next_free_vgpr 98
		.amdhsa_next_free_sgpr 44
		.amdhsa_accum_offset 100
		.amdhsa_reserve_vcc 1
		.amdhsa_float_round_mode_32 0
		.amdhsa_float_round_mode_16_64 0
		.amdhsa_float_denorm_mode_32 3
		.amdhsa_float_denorm_mode_16_64 3
		.amdhsa_dx10_clamp 1
		.amdhsa_ieee_mode 1
		.amdhsa_fp16_overflow 0
		.amdhsa_tg_split 0
		.amdhsa_exception_fp_ieee_invalid_op 0
		.amdhsa_exception_fp_denorm_src 0
		.amdhsa_exception_fp_ieee_div_zero 0
		.amdhsa_exception_fp_ieee_overflow 0
		.amdhsa_exception_fp_ieee_underflow 0
		.amdhsa_exception_fp_ieee_inexact 0
		.amdhsa_exception_int_div_zero 0
	.end_amdhsa_kernel
	.section	.text._ZN2at6native12_GLOBAL__N_135GammaBetaBackwardCUDAKernelTemplateIffLj32ELj1ELj8ELb1ELb0ELb1EEEvllPKT_S5_PKT0_S8_PS3_S9_,"axG",@progbits,_ZN2at6native12_GLOBAL__N_135GammaBetaBackwardCUDAKernelTemplateIffLj32ELj1ELj8ELb1ELb0ELb1EEEvllPKT_S5_PKT0_S8_PS3_S9_,comdat
.Lfunc_end155:
	.size	_ZN2at6native12_GLOBAL__N_135GammaBetaBackwardCUDAKernelTemplateIffLj32ELj1ELj8ELb1ELb0ELb1EEEvllPKT_S5_PKT0_S8_PS3_S9_, .Lfunc_end155-_ZN2at6native12_GLOBAL__N_135GammaBetaBackwardCUDAKernelTemplateIffLj32ELj1ELj8ELb1ELb0ELb1EEEvllPKT_S5_PKT0_S8_PS3_S9_
                                        ; -- End function
	.section	.AMDGPU.csdata,"",@progbits
; Kernel info:
; codeLenInByte = 5704
; NumSgprs: 50
; NumVgprs: 98
; NumAgprs: 0
; TotalNumVgprs: 98
; ScratchSize: 0
; MemoryBound: 0
; FloatMode: 240
; IeeeMode: 1
; LDSByteSize: 0 bytes/workgroup (compile time only)
; SGPRBlocks: 6
; VGPRBlocks: 12
; NumSGPRsForWavesPerEU: 50
; NumVGPRsForWavesPerEU: 98
; AccumOffset: 100
; Occupancy: 4
; WaveLimiterHint : 0
; COMPUTE_PGM_RSRC2:SCRATCH_EN: 0
; COMPUTE_PGM_RSRC2:USER_SGPR: 2
; COMPUTE_PGM_RSRC2:TRAP_HANDLER: 0
; COMPUTE_PGM_RSRC2:TGID_X_EN: 1
; COMPUTE_PGM_RSRC2:TGID_Y_EN: 1
; COMPUTE_PGM_RSRC2:TGID_Z_EN: 0
; COMPUTE_PGM_RSRC2:TIDIG_COMP_CNT: 1
; COMPUTE_PGM_RSRC3_GFX90A:ACCUM_OFFSET: 24
; COMPUTE_PGM_RSRC3_GFX90A:TG_SPLIT: 0
	.section	.text._ZN2at6native12_GLOBAL__N_135GammaBetaBackwardCUDAKernelTemplateIffLj32ELj8ELj64ELb0ELb1ELb1EEEvllPKT_S5_PKT0_S8_PS3_S9_,"axG",@progbits,_ZN2at6native12_GLOBAL__N_135GammaBetaBackwardCUDAKernelTemplateIffLj32ELj8ELj64ELb0ELb1ELb1EEEvllPKT_S5_PKT0_S8_PS3_S9_,comdat
	.globl	_ZN2at6native12_GLOBAL__N_135GammaBetaBackwardCUDAKernelTemplateIffLj32ELj8ELj64ELb0ELb1ELb1EEEvllPKT_S5_PKT0_S8_PS3_S9_ ; -- Begin function _ZN2at6native12_GLOBAL__N_135GammaBetaBackwardCUDAKernelTemplateIffLj32ELj8ELj64ELb0ELb1ELb1EEEvllPKT_S5_PKT0_S8_PS3_S9_
	.p2align	8
	.type	_ZN2at6native12_GLOBAL__N_135GammaBetaBackwardCUDAKernelTemplateIffLj32ELj8ELj64ELb0ELb1ELb1EEEvllPKT_S5_PKT0_S8_PS3_S9_,@function
_ZN2at6native12_GLOBAL__N_135GammaBetaBackwardCUDAKernelTemplateIffLj32ELj8ELj64ELb0ELb1ELb1EEEvllPKT_S5_PKT0_S8_PS3_S9_: ; @_ZN2at6native12_GLOBAL__N_135GammaBetaBackwardCUDAKernelTemplateIffLj32ELj8ELj64ELb0ELb1ELb1EEEvllPKT_S5_PKT0_S8_PS3_S9_
; %bb.0:
	s_load_dwordx4 s[4:7], s[0:1], 0x0
	s_lshl_b32 s14, s3, 6
	s_mov_b32 s15, 0
	v_bfe_u32 v12, v0, 10, 10
	s_waitcnt lgkmcnt(0)
	v_mov_b64_e32 v[2:3], s[4:5]
	v_cmp_lt_i64_e32 vcc, s[14:15], v[2:3]
	s_cbranch_vccnz .LBB156_2
; %bb.1:
	s_mov_b64 s[8:9], 0
	v_bfe_u32 v2, v0, 10, 10
	s_branch .LBB156_3
.LBB156_2:
	s_mov_b64 s[8:9], -1
                                        ; implicit-def: $vgpr2
.LBB156_3:
	s_load_dwordx2 s[12:13], s[0:1], 0x30
	v_and_b32_e32 v10, 0x3ff, v0
	s_andn2_b64 vcc, exec, s[8:9]
	v_mov_b32_e32 v1, s15
	v_mbcnt_lo_u32_b32 v11, -1, 0
	s_cbranch_vccnz .LBB156_11
; %bb.4:
	s_load_dword s3, s[0:1], 0x4c
	s_load_dword s16, s[0:1], 0x44
	s_load_dwordx2 s[18:19], s[0:1], 0x28
	s_load_dwordx4 s[8:11], s[0:1], 0x10
	v_lshlrev_b32_e32 v0, 3, v12
	s_waitcnt lgkmcnt(0)
	s_and_b32 s0, s3, 0xffff
	v_mad_u32_u24 v1, v12, s0, v10
	v_and_b32_e32 v2, 63, v1
	v_mov_b32_e32 v1, 0
	v_mov_b32_e32 v3, v1
	v_lshl_add_u64 v[8:9], v[0:1], 0, s[14:15]
	v_cmp_gt_u32_e64 s[0:1], 8, v2
	v_mbcnt_hi_u32_b32 v4, -1, v11
	s_lshl_b32 s16, s16, 6
	v_lshl_add_u64 v[2:3], v[8:9], 0, v[2:3]
	v_mul_lo_u32 v0, s7, v8
	v_mul_lo_u32 v21, s6, v9
	v_mad_u64_u32 v[8:9], s[20:21], s6, v8, 0
	v_lshl_add_u32 v6, s2, 5, v10
	v_mov_b32_e32 v7, v1
	v_lshlrev_b32_e32 v4, 2, v4
	s_mul_i32 s3, s7, s16
	s_mul_hi_u32 s20, s6, s16
	s_mov_b32 s17, 0
	v_and_b32_e32 v13, 0x100, v4
	v_add3_u32 v9, v9, v21, v0
	v_lshlrev_b64 v[6:7], 2, v[6:7]
	s_add_i32 s21, s20, s3
	s_mul_i32 s20, s6, s16
	v_or_b32_e32 v14, 4, v13
	v_or_b32_e32 v15, 8, v13
	;; [unrolled: 1-line block ×7, first 2 shown]
	v_lshl_add_u64 v[4:5], v[2:3], 2, s[18:19]
	s_lshl_b64 s[18:19], s[16:17], 2
	v_lshl_add_u64 v[6:7], v[8:9], 2, v[6:7]
	s_lshl_b64 s[20:21], s[20:21], 2
	s_lshl_b64 s[6:7], s[6:7], 2
	v_mov_b64_e32 v[8:9], s[4:5]
	s_branch .LBB156_7
.LBB156_5:                              ;   in Loop: Header=BB156_7 Depth=1
	s_or_b64 exec, exec, s[24:25]
.LBB156_6:                              ;   in Loop: Header=BB156_7 Depth=1
	s_or_b64 exec, exec, s[22:23]
	v_lshl_add_u64 v[22:23], s[8:9], 0, v[6:7]
	global_load_dword v24, v[22:23], off
	v_lshl_add_u64 v[26:27], s[10:11], 0, v[6:7]
	v_lshl_add_u64 v[22:23], v[22:23], 0, s[6:7]
	global_load_dword v28, v[26:27], off
	global_load_dword v25, v[22:23], off
	v_lshl_add_u64 v[26:27], v[26:27], 0, s[6:7]
	v_lshl_add_u64 v[22:23], v[22:23], 0, s[6:7]
	global_load_dword v29, v[26:27], off
	;; [unrolled: 4-line block ×7, first 2 shown]
	v_lshl_add_u64 v[22:23], v[26:27], 0, s[6:7]
	global_load_dword v40, v[26:27], off
	global_load_dword v41, v[22:23], off
	s_waitcnt vmcnt(16)
	ds_bpermute_b32 v22, v13, v0
	ds_bpermute_b32 v23, v14, v0
	;; [unrolled: 1-line block ×8, first 2 shown]
	s_add_u32 s14, s14, s16
	s_addc_u32 s15, s15, 0
	v_cmp_lt_i64_e32 vcc, s[14:15], v[8:9]
	v_lshl_add_u64 v[4:5], v[4:5], 0, s[18:19]
	v_lshl_add_u64 v[2:3], v[2:3], 0, s[16:17]
	;; [unrolled: 1-line block ×3, first 2 shown]
	s_and_b64 vcc, exec, vcc
	s_waitcnt vmcnt(12)
	v_pk_mul_f32 v[24:25], v[24:25], v[28:29]
	s_waitcnt lgkmcnt(6)
	v_pk_mul_f32 v[22:23], v[24:25], v[22:23]
	s_nop 0
	v_add_f32_e32 v21, v1, v22
	v_add_f32_e32 v21, v21, v23
	s_waitcnt vmcnt(8)
	v_pk_mul_f32 v[0:1], v[30:31], v[32:33]
	s_waitcnt lgkmcnt(4)
	v_pk_mul_f32 v[0:1], v[0:1], v[26:27]
	s_waitcnt vmcnt(4)
	v_pk_mul_f32 v[22:23], v[34:35], v[36:37]
	v_add_f32_e32 v0, v21, v0
	v_add_f32_e32 v21, v0, v1
	s_waitcnt lgkmcnt(2)
	v_pk_mul_f32 v[0:1], v[22:23], v[42:43]
	s_waitcnt vmcnt(0)
	v_pk_mul_f32 v[22:23], v[38:39], v[40:41]
	v_add_f32_e32 v0, v21, v0
	v_add_f32_e32 v21, v0, v1
	s_waitcnt lgkmcnt(0)
	v_pk_mul_f32 v[0:1], v[22:23], v[44:45]
	s_nop 0
	v_add_f32_e32 v0, v21, v0
	v_add_f32_e32 v1, v0, v1
	s_cbranch_vccz .LBB156_10
.LBB156_7:                              ; =>This Inner Loop Header: Depth=1
	v_mov_b32_e32 v0, 0
	s_and_saveexec_b64 s[22:23], s[0:1]
	s_cbranch_execz .LBB156_6
; %bb.8:                                ;   in Loop: Header=BB156_7 Depth=1
	v_cmp_gt_i64_e32 vcc, s[4:5], v[2:3]
	v_mov_b32_e32 v0, 0
	s_and_saveexec_b64 s[24:25], vcc
	s_cbranch_execz .LBB156_5
; %bb.9:                                ;   in Loop: Header=BB156_7 Depth=1
	global_load_dword v0, v[4:5], off
	s_branch .LBB156_5
.LBB156_10:
	v_mov_b32_e32 v2, v12
.LBB156_11:
	v_mad_u32_u24 v0, v2, 33, v10
	v_lshl_add_u32 v3, v0, 2, 0
	v_sub_u32_e32 v0, v0, v2
	s_movk_i32 s0, 0x800
	s_mov_b32 s3, 0
	ds_write_b32 v3, v1
	v_mov_b32_e32 v1, 0
	v_cmp_gt_u32_e32 vcc, s0, v0
	ds_write_b32 v3, v1 offset:1056
	s_waitcnt lgkmcnt(0)
	s_barrier
	s_and_saveexec_b64 s[0:1], vcc
	s_cbranch_execz .LBB156_18
; %bb.12:
	v_mbcnt_hi_u32_b32 v4, -1, v11
	v_lshrrev_b32_e32 v6, 6, v0
	v_and_b32_e32 v0, 63, v0
	v_and_b32_e32 v2, 64, v4
	s_cmp_lg_u64 s[12:13], 0
	v_cmp_gt_u32_e32 vcc, 8, v0
	v_add_u32_e32 v5, 64, v2
	v_cmp_eq_u32_e64 s[0:1], 0, v10
	s_cselect_b64 s[6:7], -1, 0
	v_mul_u32_u24_e32 v7, 0x84, v0
	v_xor_b32_e32 v0, 4, v4
	s_and_b64 s[6:7], s[0:1], s[6:7]
	v_cmp_lt_i32_e64 s[0:1], v0, v5
	s_mov_b64 s[4:5], 0
	s_nop 0
	v_cndmask_b32_e64 v0, v4, v0, s[0:1]
	v_lshlrev_b32_e32 v2, 2, v0
	v_xor_b32_e32 v0, 2, v4
	v_cmp_lt_i32_e64 s[0:1], v0, v5
	s_nop 1
	v_cndmask_b32_e64 v0, v4, v0, s[0:1]
	v_lshlrev_b32_e32 v3, 2, v0
	v_xor_b32_e32 v0, 1, v4
	v_cmp_lt_i32_e64 s[0:1], v0, v5
	s_nop 1
	v_cndmask_b32_e64 v0, v4, v0, s[0:1]
	s_lshl_b64 s[0:1], s[2:3], 7
	s_add_u32 s0, s12, s0
	v_lshlrev_b32_e32 v4, 2, v0
	v_lshlrev_b32_e32 v0, 2, v6
	s_addc_u32 s1, s13, s1
	v_add3_u32 v5, v7, v0, 0
	v_add_u32_e32 v6, -4, v6
	v_lshl_add_u64 v[0:1], s[0:1], 0, v[0:1]
                                        ; implicit-def: $vgpr7
	s_branch .LBB156_14
.LBB156_13:                             ;   in Loop: Header=BB156_14 Depth=1
	s_or_b64 exec, exec, s[0:1]
	v_add_u32_e32 v6, 4, v6
	v_cmp_lt_u32_e64 s[0:1], 27, v6
	v_add_u32_e32 v5, 16, v5
	s_or_b64 s[4:5], s[0:1], s[4:5]
	v_lshl_add_u64 v[0:1], v[0:1], 0, 16
	s_andn2_b64 exec, exec, s[4:5]
	s_cbranch_execz .LBB156_18
.LBB156_14:                             ; =>This Inner Loop Header: Depth=1
	s_and_saveexec_b64 s[0:1], vcc
	s_cbranch_execz .LBB156_16
; %bb.15:                               ;   in Loop: Header=BB156_14 Depth=1
	ds_read_b32 v7, v5
.LBB156_16:                             ;   in Loop: Header=BB156_14 Depth=1
	s_or_b64 exec, exec, s[0:1]
	s_waitcnt lgkmcnt(0)
	ds_bpermute_b32 v8, v2, v7
	s_waitcnt lgkmcnt(0)
	v_add_f32_e32 v7, v7, v8
	ds_bpermute_b32 v8, v3, v7
	s_waitcnt lgkmcnt(0)
	v_add_f32_e32 v7, v7, v8
	;; [unrolled: 3-line block ×3, first 2 shown]
	s_and_saveexec_b64 s[0:1], s[6:7]
	s_cbranch_execz .LBB156_13
; %bb.17:                               ;   in Loop: Header=BB156_14 Depth=1
	global_store_dword v[0:1], v7, off
	s_branch .LBB156_13
.LBB156_18:
	s_endpgm
	.section	.rodata,"a",@progbits
	.p2align	6, 0x0
	.amdhsa_kernel _ZN2at6native12_GLOBAL__N_135GammaBetaBackwardCUDAKernelTemplateIffLj32ELj8ELj64ELb0ELb1ELb1EEEvllPKT_S5_PKT0_S8_PS3_S9_
		.amdhsa_group_segment_fixed_size 0
		.amdhsa_private_segment_fixed_size 0
		.amdhsa_kernarg_size 320
		.amdhsa_user_sgpr_count 2
		.amdhsa_user_sgpr_dispatch_ptr 0
		.amdhsa_user_sgpr_queue_ptr 0
		.amdhsa_user_sgpr_kernarg_segment_ptr 1
		.amdhsa_user_sgpr_dispatch_id 0
		.amdhsa_user_sgpr_kernarg_preload_length 0
		.amdhsa_user_sgpr_kernarg_preload_offset 0
		.amdhsa_user_sgpr_private_segment_size 0
		.amdhsa_uses_dynamic_stack 0
		.amdhsa_enable_private_segment 0
		.amdhsa_system_sgpr_workgroup_id_x 1
		.amdhsa_system_sgpr_workgroup_id_y 1
		.amdhsa_system_sgpr_workgroup_id_z 0
		.amdhsa_system_sgpr_workgroup_info 0
		.amdhsa_system_vgpr_workitem_id 1
		.amdhsa_next_free_vgpr 46
		.amdhsa_next_free_sgpr 26
		.amdhsa_accum_offset 48
		.amdhsa_reserve_vcc 1
		.amdhsa_float_round_mode_32 0
		.amdhsa_float_round_mode_16_64 0
		.amdhsa_float_denorm_mode_32 3
		.amdhsa_float_denorm_mode_16_64 3
		.amdhsa_dx10_clamp 1
		.amdhsa_ieee_mode 1
		.amdhsa_fp16_overflow 0
		.amdhsa_tg_split 0
		.amdhsa_exception_fp_ieee_invalid_op 0
		.amdhsa_exception_fp_denorm_src 0
		.amdhsa_exception_fp_ieee_div_zero 0
		.amdhsa_exception_fp_ieee_overflow 0
		.amdhsa_exception_fp_ieee_underflow 0
		.amdhsa_exception_fp_ieee_inexact 0
		.amdhsa_exception_int_div_zero 0
	.end_amdhsa_kernel
	.section	.text._ZN2at6native12_GLOBAL__N_135GammaBetaBackwardCUDAKernelTemplateIffLj32ELj8ELj64ELb0ELb1ELb1EEEvllPKT_S5_PKT0_S8_PS3_S9_,"axG",@progbits,_ZN2at6native12_GLOBAL__N_135GammaBetaBackwardCUDAKernelTemplateIffLj32ELj8ELj64ELb0ELb1ELb1EEEvllPKT_S5_PKT0_S8_PS3_S9_,comdat
.Lfunc_end156:
	.size	_ZN2at6native12_GLOBAL__N_135GammaBetaBackwardCUDAKernelTemplateIffLj32ELj8ELj64ELb0ELb1ELb1EEEvllPKT_S5_PKT0_S8_PS3_S9_, .Lfunc_end156-_ZN2at6native12_GLOBAL__N_135GammaBetaBackwardCUDAKernelTemplateIffLj32ELj8ELj64ELb0ELb1ELb1EEEvllPKT_S5_PKT0_S8_PS3_S9_
                                        ; -- End function
	.section	.AMDGPU.csdata,"",@progbits
; Kernel info:
; codeLenInByte = 1292
; NumSgprs: 32
; NumVgprs: 46
; NumAgprs: 0
; TotalNumVgprs: 46
; ScratchSize: 0
; MemoryBound: 0
; FloatMode: 240
; IeeeMode: 1
; LDSByteSize: 0 bytes/workgroup (compile time only)
; SGPRBlocks: 3
; VGPRBlocks: 5
; NumSGPRsForWavesPerEU: 32
; NumVGPRsForWavesPerEU: 46
; AccumOffset: 48
; Occupancy: 8
; WaveLimiterHint : 0
; COMPUTE_PGM_RSRC2:SCRATCH_EN: 0
; COMPUTE_PGM_RSRC2:USER_SGPR: 2
; COMPUTE_PGM_RSRC2:TRAP_HANDLER: 0
; COMPUTE_PGM_RSRC2:TGID_X_EN: 1
; COMPUTE_PGM_RSRC2:TGID_Y_EN: 1
; COMPUTE_PGM_RSRC2:TGID_Z_EN: 0
; COMPUTE_PGM_RSRC2:TIDIG_COMP_CNT: 1
; COMPUTE_PGM_RSRC3_GFX90A:ACCUM_OFFSET: 11
; COMPUTE_PGM_RSRC3_GFX90A:TG_SPLIT: 0
	.section	.text._ZN2at6native12_GLOBAL__N_135GammaBetaBackwardCUDAKernelTemplateIffLj32ELj8ELj64ELb0ELb0ELb1EEEvllPKT_S5_PKT0_S8_PS3_S9_,"axG",@progbits,_ZN2at6native12_GLOBAL__N_135GammaBetaBackwardCUDAKernelTemplateIffLj32ELj8ELj64ELb0ELb0ELb1EEEvllPKT_S5_PKT0_S8_PS3_S9_,comdat
	.globl	_ZN2at6native12_GLOBAL__N_135GammaBetaBackwardCUDAKernelTemplateIffLj32ELj8ELj64ELb0ELb0ELb1EEEvllPKT_S5_PKT0_S8_PS3_S9_ ; -- Begin function _ZN2at6native12_GLOBAL__N_135GammaBetaBackwardCUDAKernelTemplateIffLj32ELj8ELj64ELb0ELb0ELb1EEEvllPKT_S5_PKT0_S8_PS3_S9_
	.p2align	8
	.type	_ZN2at6native12_GLOBAL__N_135GammaBetaBackwardCUDAKernelTemplateIffLj32ELj8ELj64ELb0ELb0ELb1EEEvllPKT_S5_PKT0_S8_PS3_S9_,@function
_ZN2at6native12_GLOBAL__N_135GammaBetaBackwardCUDAKernelTemplateIffLj32ELj8ELj64ELb0ELb0ELb1EEEvllPKT_S5_PKT0_S8_PS3_S9_: ; @_ZN2at6native12_GLOBAL__N_135GammaBetaBackwardCUDAKernelTemplateIffLj32ELj8ELj64ELb0ELb0ELb1EEEvllPKT_S5_PKT0_S8_PS3_S9_
; %bb.0:
	s_load_dwordx8 s[8:15], s[0:1], 0x0
	s_load_dwordx2 s[24:25], s[0:1], 0x28
	s_lshl_b32 s33, s2, 5
	s_or_b32 s26, s33, 31
	s_mov_b32 s27, 0
	s_waitcnt lgkmcnt(0)
	v_mov_b64_e32 v[2:3], s[10:11]
	v_cmp_ge_i64_e32 vcc, s[26:27], v[2:3]
	s_lshl_b32 s26, s3, 6
	v_mov_b64_e32 v[2:3], s[8:9]
	v_cmp_lt_i64_e64 s[4:5], s[26:27], v[2:3]
	s_nop 1
	v_cndmask_b32_e64 v1, 0, 1, s[4:5]
	v_cmp_ne_u32_e64 s[4:5], 1, v1
	s_cbranch_vccz .LBB157_49
; %bb.1:
	s_and_b64 vcc, exec, s[4:5]
	v_mov_b32_e32 v2, 0
	s_cbranch_vccnz .LBB157_50
; %bb.2:
	v_mov_b32_e32 v3, 0
	v_bfe_u32 v64, v0, 10, 10
	s_load_dword s3, s[0:1], 0x44
	v_lshlrev_b32_e32 v26, 3, v64
	v_mov_b32_e32 v27, v3
	v_and_b32_e32 v1, 0x3ff, v0
	v_lshl_add_u64 v[4:5], v[26:27], 0, s[26:27]
	v_add_u32_e32 v2, s33, v1
	v_lshl_add_u64 v[6:7], v[4:5], 0, 7
	s_add_u32 s28, s0, 64
	v_cmp_gt_i64_e64 s[6:7], s[10:11], v[2:3]
	v_lshlrev_b64 v[28:29], 2, v[2:3]
	v_mul_lo_u32 v2, s11, v6
	v_mul_lo_u32 v8, s10, v7
	v_mad_u64_u32 v[6:7], s[18:19], s10, v6, 0
	s_addc_u32 s29, s1, 0
	s_waitcnt lgkmcnt(0)
	s_lshl_b32 s3, s3, 6
	v_add3_u32 v7, v7, v8, v2
	v_lshlrev_b64 v[6:7], 2, v[6:7]
	s_mul_i32 s17, s11, s3
	s_mul_hi_u32 s18, s10, s3
	v_lshl_add_u64 v[30:31], s[12:13], 0, v[6:7]
	s_add_i32 s19, s18, s17
	s_mul_i32 s18, s10, s3
	v_lshl_add_u64 v[32:33], s[14:15], 0, v[6:7]
	v_lshl_add_u64 v[6:7], v[4:5], 0, 6
	s_lshl_b64 s[30:31], s[18:19], 2
	v_mul_lo_u32 v2, s11, v6
	v_mul_lo_u32 v8, s10, v7
	v_mad_u64_u32 v[6:7], s[18:19], s10, v6, 0
	v_add3_u32 v7, v7, v8, v2
	v_lshlrev_b64 v[6:7], 2, v[6:7]
	v_lshl_add_u64 v[34:35], s[12:13], 0, v[6:7]
	v_lshl_add_u64 v[36:37], s[14:15], 0, v[6:7]
	v_lshl_add_u64 v[6:7], v[4:5], 0, 5
	v_mul_lo_u32 v2, s11, v6
	v_mul_lo_u32 v8, s10, v7
	v_mad_u64_u32 v[6:7], s[18:19], s10, v6, 0
	v_add3_u32 v7, v7, v8, v2
	v_lshlrev_b64 v[6:7], 2, v[6:7]
	v_lshl_add_u64 v[38:39], s[12:13], 0, v[6:7]
	v_lshl_add_u64 v[40:41], s[14:15], 0, v[6:7]
	v_lshl_add_u64 v[6:7], v[4:5], 0, 4
	;; [unrolled: 8-line block ×4, first 2 shown]
	v_mul_lo_u32 v2, s11, v6
	v_mul_lo_u32 v8, s10, v7
	v_mad_u64_u32 v[6:7], s[18:19], s10, v6, 0
	v_add3_u32 v7, v7, v8, v2
	v_lshlrev_b64 v[6:7], 2, v[6:7]
	v_lshl_add_u64 v[50:51], s[12:13], 0, v[6:7]
	v_lshl_add_u64 v[52:53], s[14:15], 0, v[6:7]
	v_mov_b64_e32 v[6:7], s[10:11]
	v_mad_u64_u32 v[6:7], s[18:19], s10, v4, v[6:7]
	v_mul_lo_u32 v2, s10, v5
	v_mul_lo_u32 v8, s11, v4
	v_mad_u64_u32 v[4:5], s[18:19], s10, v4, 0
	v_add3_u32 v7, v8, v7, v2
	v_add3_u32 v5, v5, v2, v8
	v_mbcnt_lo_u32_b32 v2, -1, 0
	v_mbcnt_hi_u32_b32 v2, -1, v2
	v_lshlrev_b64 v[6:7], 2, v[6:7]
	s_add_u32 s34, s26, 63
	v_lshlrev_b64 v[4:5], 2, v[4:5]
	s_movk_i32 s36, 0xffc1
	s_movk_i32 s38, 0xffc2
	s_movk_i32 s40, 0xffc3
	s_movk_i32 s42, 0xffc4
	s_movk_i32 s44, 0xffc5
	s_movk_i32 s46, 0xffc6
	s_movk_i32 s48, 0xffc7
	s_movk_i32 s50, 0xffc8
	v_lshlrev_b32_e32 v2, 2, v2
	s_mov_b32 s16, 0
	v_lshl_add_u64 v[54:55], s[12:13], 0, v[6:7]
	v_lshl_add_u64 v[56:57], s[14:15], 0, v[6:7]
	s_addc_u32 s35, 0, 0
	v_lshl_add_u64 v[58:59], s[12:13], 0, v[4:5]
	v_lshl_add_u64 v[60:61], s[14:15], 0, v[4:5]
	s_mov_b32 s37, -1
	s_mov_b32 s39, -1
	;; [unrolled: 1-line block ×8, first 2 shown]
	v_and_b32_e32 v65, 0x100, v2
	s_mov_b64 s[52:53], s[26:27]
	v_mov_b32_e32 v66, 0
.LBB157_3:                              ; =>This Inner Loop Header: Depth=1
	v_mov_b64_e32 v[4:5], s[8:9]
	v_cmp_ge_i64_e32 vcc, s[34:35], v[4:5]
	v_lshl_add_u64 v[62:63], v[26:27], 0, s[34:35]
	s_cbranch_vccz .LBB157_25
; %bb.4:                                ;   in Loop: Header=BB157_3 Depth=1
	s_load_dword s17, s[28:29], 0xc
	v_mov_b32_e32 v67, 0
	s_waitcnt lgkmcnt(0)
	s_and_b32 s17, s17, 0xffff
	v_mad_u32_u24 v2, v64, s17, v1
	v_and_b32_e32 v2, 63, v2
	v_cmp_gt_u32_e32 vcc, 8, v2
	s_and_saveexec_b64 s[18:19], vcc
	s_cbranch_execz .LBB157_8
; %bb.5:                                ;   in Loop: Header=BB157_3 Depth=1
	v_lshl_add_u64 v[4:5], v[62:63], 0, v[2:3]
	v_lshl_add_u64 v[4:5], v[4:5], 0, s[36:37]
	v_cmp_gt_i64_e32 vcc, s[8:9], v[4:5]
	v_mov_b32_e32 v67, 0
	s_and_saveexec_b64 s[20:21], vcc
	s_cbranch_execz .LBB157_7
; %bb.6:                                ;   in Loop: Header=BB157_3 Depth=1
	v_lshl_add_u64 v[4:5], v[4:5], 2, s[24:25]
	global_load_dword v67, v[4:5], off
.LBB157_7:                              ;   in Loop: Header=BB157_3 Depth=1
	s_or_b64 exec, exec, s[20:21]
.LBB157_8:                              ;   in Loop: Header=BB157_3 Depth=1
	s_or_b64 exec, exec, s[18:19]
	s_mov_b32 s17, s16
	s_mov_b32 s18, s16
	s_mov_b32 s19, s16
	s_mov_b32 s20, s16
	s_mov_b32 s21, s16
	s_mov_b32 s22, s16
	s_mov_b32 s23, s16
	v_mov_b64_e32 v[10:11], s[16:17]
	v_lshl_add_u64 v[4:5], v[62:63], 0, s[36:37]
	v_mov_b64_e32 v[16:17], s[22:23]
	v_cmp_gt_i64_e32 vcc, s[8:9], v[4:5]
	v_mov_b64_e32 v[12:13], s[18:19]
	v_mov_b64_e32 v[14:15], s[20:21]
	;; [unrolled: 1-line block ×3, first 2 shown]
	s_and_b64 s[54:55], s[6:7], vcc
	v_mov_b64_e32 v[22:23], v[14:15]
	v_mov_b64_e32 v[20:21], v[12:13]
	;; [unrolled: 1-line block ×3, first 2 shown]
	s_and_saveexec_b64 s[18:19], s[54:55]
	s_cbranch_execz .LBB157_10
; %bb.9:                                ;   in Loop: Header=BB157_3 Depth=1
	v_lshl_add_u64 v[4:5], v[58:59], 0, v[28:29]
	global_load_dword v2, v[4:5], off
	v_lshl_add_u64 v[4:5], v[60:61], 0, v[28:29]
	global_load_dword v10, v[4:5], off
	v_mov_b32_e32 v8, v3
	v_mov_b32_e32 v9, v3
	;; [unrolled: 1-line block ×6, first 2 shown]
	s_waitcnt vmcnt(1)
	v_mov_b64_e32 v[24:25], v[8:9]
	v_mov_b32_e32 v11, v3
	v_mov_b32_e32 v12, v3
	;; [unrolled: 1-line block ×7, first 2 shown]
	v_mov_b64_e32 v[22:23], v[6:7]
	v_mov_b64_e32 v[20:21], v[4:5]
	;; [unrolled: 1-line block ×3, first 2 shown]
.LBB157_10:                             ;   in Loop: Header=BB157_3 Depth=1
	s_or_b64 exec, exec, s[18:19]
	v_lshl_add_u64 v[4:5], v[62:63], 0, s[38:39]
	v_cmp_gt_i64_e32 vcc, s[8:9], v[4:5]
	s_and_b64 s[20:21], s[6:7], vcc
	s_and_saveexec_b64 s[18:19], s[20:21]
	s_cbranch_execz .LBB157_12
; %bb.11:                               ;   in Loop: Header=BB157_3 Depth=1
	v_lshl_add_u64 v[4:5], v[54:55], 0, v[28:29]
	global_load_dword v19, v[4:5], off
	v_lshl_add_u64 v[4:5], v[56:57], 0, v[28:29]
	global_load_dword v11, v[4:5], off
.LBB157_12:                             ;   in Loop: Header=BB157_3 Depth=1
	s_or_b64 exec, exec, s[18:19]
	v_lshl_add_u64 v[4:5], v[62:63], 0, s[40:41]
	v_cmp_gt_i64_e32 vcc, s[8:9], v[4:5]
	s_and_b64 s[20:21], s[6:7], vcc
	s_and_saveexec_b64 s[18:19], s[20:21]
	s_cbranch_execz .LBB157_14
; %bb.13:                               ;   in Loop: Header=BB157_3 Depth=1
	v_lshl_add_u64 v[4:5], v[50:51], 0, v[28:29]
	global_load_dword v20, v[4:5], off
	v_lshl_add_u64 v[4:5], v[52:53], 0, v[28:29]
	global_load_dword v12, v[4:5], off
.LBB157_14:                             ;   in Loop: Header=BB157_3 Depth=1
	;; [unrolled: 12-line block ×7, first 2 shown]
	s_or_b64 exec, exec, s[18:19]
	s_waitcnt vmcnt(0)
	ds_bpermute_b32 v4, v65, v67 offset:4
	ds_bpermute_b32 v5, v65, v67 offset:8
	ds_bpermute_b32 v2, v65, v67
	v_mul_f32_e32 v8, v10, v18
	v_pk_mul_f32 v[10:11], v[10:11], v[18:19]
	v_pk_mul_f32 v[12:13], v[12:13], v[20:21]
	v_mov_b32_e32 v10, v11
	v_mov_b32_e32 v11, v12
	s_waitcnt lgkmcnt(1)
	v_pk_mul_f32 v[4:5], v[10:11], v[4:5]
	ds_bpermute_b32 v10, v65, v67 offset:12
	ds_bpermute_b32 v11, v65, v67 offset:16
	s_waitcnt lgkmcnt(2)
	v_fma_f32 v2, v8, v2, v66
	v_pk_mul_f32 v[8:9], v[14:15], v[22:23]
	v_add_f32_e32 v2, v2, v4
	v_add_f32_e32 v2, v2, v5
	v_mov_b32_e32 v4, v13
	v_mov_b32_e32 v5, v8
	s_waitcnt lgkmcnt(0)
	v_pk_mul_f32 v[4:5], v[4:5], v[10:11]
	ds_bpermute_b32 v10, v65, v67 offset:20
	ds_bpermute_b32 v11, v65, v67 offset:24
	v_pk_mul_f32 v[6:7], v[16:17], v[24:25]
	v_add_f32_e32 v2, v2, v4
	ds_bpermute_b32 v4, v65, v67 offset:28
	v_mov_b32_e32 v8, v9
	v_mov_b32_e32 v9, v6
	v_add_f32_e32 v2, v2, v5
	s_waitcnt lgkmcnt(1)
	v_pk_mul_f32 v[6:7], v[8:9], v[10:11]
	s_nop 0
	v_add_f32_e32 v2, v2, v6
	v_add_f32_e32 v2, v2, v7
	s_branch .LBB157_40
.LBB157_25:                             ;   in Loop: Header=BB157_3 Depth=1
                                        ; implicit-def: $vgpr2
                                        ; implicit-def: $vgpr10_vgpr11_vgpr12_vgpr13_vgpr14_vgpr15_vgpr16_vgpr17
                                        ; implicit-def: $vgpr18_vgpr19_vgpr20_vgpr21_vgpr22_vgpr23_vgpr24_vgpr25
                                        ; implicit-def: $vgpr4
	s_cbranch_execz .LBB157_40
; %bb.26:                               ;   in Loop: Header=BB157_3 Depth=1
	s_load_dword s17, s[28:29], 0x0
	v_mov_b32_e32 v67, 0
	s_waitcnt lgkmcnt(0)
	s_cmp_lt_u32 s2, s17
	s_cselect_b32 s17, 12, 18
	s_add_u32 s18, s28, s17
	s_addc_u32 s19, s29, 0
	global_load_ushort v2, v3, s[18:19]
	s_waitcnt vmcnt(0)
	v_mad_u32_u24 v2, v64, v2, v1
	v_and_b32_e32 v2, 63, v2
	v_cmp_gt_u32_e32 vcc, 8, v2
	s_and_saveexec_b64 s[18:19], vcc
	s_cbranch_execz .LBB157_30
; %bb.27:                               ;   in Loop: Header=BB157_3 Depth=1
	v_lshl_add_u64 v[4:5], v[62:63], 0, v[2:3]
	v_lshl_add_u64 v[4:5], v[4:5], 0, s[36:37]
	v_cmp_gt_i64_e32 vcc, s[8:9], v[4:5]
	v_mov_b32_e32 v67, 0
	s_and_saveexec_b64 s[20:21], vcc
	s_cbranch_execz .LBB157_29
; %bb.28:                               ;   in Loop: Header=BB157_3 Depth=1
	v_lshl_add_u64 v[4:5], v[4:5], 2, s[24:25]
	global_load_dword v67, v[4:5], off
.LBB157_29:                             ;   in Loop: Header=BB157_3 Depth=1
	s_or_b64 exec, exec, s[20:21]
.LBB157_30:                             ;   in Loop: Header=BB157_3 Depth=1
	s_or_b64 exec, exec, s[18:19]
	s_mov_b32 s17, s16
	s_mov_b32 s18, s16
	;; [unrolled: 1-line block ×7, first 2 shown]
	v_mov_b64_e32 v[10:11], s[16:17]
	v_mov_b64_e32 v[16:17], s[22:23]
	;; [unrolled: 1-line block ×8, first 2 shown]
	s_and_saveexec_b64 s[18:19], s[6:7]
	s_cbranch_execnz .LBB157_42
; %bb.31:                               ;   in Loop: Header=BB157_3 Depth=1
	s_or_b64 exec, exec, s[18:19]
	s_and_saveexec_b64 s[18:19], s[6:7]
	s_cbranch_execnz .LBB157_43
.LBB157_32:                             ;   in Loop: Header=BB157_3 Depth=1
	s_or_b64 exec, exec, s[18:19]
	s_and_saveexec_b64 s[18:19], s[6:7]
	s_cbranch_execnz .LBB157_44
.LBB157_33:                             ;   in Loop: Header=BB157_3 Depth=1
	s_or_b64 exec, exec, s[18:19]
	s_and_saveexec_b64 s[18:19], s[6:7]
	s_cbranch_execnz .LBB157_45
.LBB157_34:                             ;   in Loop: Header=BB157_3 Depth=1
	s_or_b64 exec, exec, s[18:19]
	s_and_saveexec_b64 s[18:19], s[6:7]
	s_cbranch_execnz .LBB157_46
.LBB157_35:                             ;   in Loop: Header=BB157_3 Depth=1
	s_or_b64 exec, exec, s[18:19]
	s_and_saveexec_b64 s[18:19], s[6:7]
	s_cbranch_execnz .LBB157_47
.LBB157_36:                             ;   in Loop: Header=BB157_3 Depth=1
	s_or_b64 exec, exec, s[18:19]
	s_and_saveexec_b64 s[18:19], s[6:7]
	s_cbranch_execnz .LBB157_48
.LBB157_37:                             ;   in Loop: Header=BB157_3 Depth=1
	s_or_b64 exec, exec, s[18:19]
	s_and_saveexec_b64 s[18:19], s[6:7]
	s_cbranch_execz .LBB157_39
.LBB157_38:                             ;   in Loop: Header=BB157_3 Depth=1
	v_lshl_add_u64 v[4:5], v[30:31], 0, v[28:29]
	global_load_dword v25, v[4:5], off
	v_lshl_add_u64 v[4:5], v[32:33], 0, v[28:29]
	global_load_dword v17, v[4:5], off
.LBB157_39:                             ;   in Loop: Header=BB157_3 Depth=1
	s_or_b64 exec, exec, s[18:19]
	s_waitcnt vmcnt(0)
	ds_bpermute_b32 v4, v65, v67 offset:4
	ds_bpermute_b32 v5, v65, v67 offset:8
	ds_bpermute_b32 v2, v65, v67
	v_mul_f32_e32 v8, v10, v18
	v_pk_mul_f32 v[10:11], v[10:11], v[18:19]
	v_pk_mul_f32 v[12:13], v[12:13], v[20:21]
	v_mov_b32_e32 v10, v11
	v_mov_b32_e32 v11, v12
	s_waitcnt lgkmcnt(1)
	v_pk_mul_f32 v[4:5], v[10:11], v[4:5]
	ds_bpermute_b32 v10, v65, v67 offset:12
	ds_bpermute_b32 v11, v65, v67 offset:16
	s_waitcnt lgkmcnt(2)
	v_fmac_f32_e32 v66, v8, v2
	v_pk_mul_f32 v[8:9], v[14:15], v[22:23]
	v_add_f32_e32 v2, v66, v4
	v_add_f32_e32 v2, v2, v5
	v_mov_b32_e32 v4, v13
	v_mov_b32_e32 v5, v8
	s_waitcnt lgkmcnt(0)
	v_pk_mul_f32 v[4:5], v[4:5], v[10:11]
	ds_bpermute_b32 v10, v65, v67 offset:20
	ds_bpermute_b32 v11, v65, v67 offset:24
	v_pk_mul_f32 v[6:7], v[16:17], v[24:25]
	v_add_f32_e32 v2, v2, v4
	v_mov_b32_e32 v8, v9
	v_mov_b32_e32 v9, v6
	v_add_f32_e32 v2, v2, v5
	s_waitcnt lgkmcnt(0)
	v_pk_mul_f32 v[6:7], v[8:9], v[10:11]
	ds_bpermute_b32 v4, v65, v67 offset:28
	v_add_f32_e32 v2, v2, v6
	v_add_f32_e32 v2, v2, v7
.LBB157_40:                             ;   in Loop: Header=BB157_3 Depth=1
	v_mul_f32_e32 v5, v25, v17
	s_add_u32 s52, s52, s3
	s_waitcnt lgkmcnt(0)
	v_fmac_f32_e32 v2, v5, v4
	s_addc_u32 s53, s53, 0
	v_mov_b64_e32 v[4:5], s[8:9]
	s_add_u32 s34, s34, s3
	v_cmp_lt_i64_e32 vcc, s[52:53], v[4:5]
	v_lshl_add_u64 v[30:31], v[30:31], 0, s[30:31]
	v_lshl_add_u64 v[32:33], v[32:33], 0, s[30:31]
	;; [unrolled: 1-line block ×14, first 2 shown]
	s_addc_u32 s35, s35, 0
	v_lshl_add_u64 v[58:59], v[58:59], 0, s[30:31]
	v_lshl_add_u64 v[60:61], v[60:61], 0, s[30:31]
	s_cbranch_vccz .LBB157_50
; %bb.41:                               ;   in Loop: Header=BB157_3 Depth=1
	v_mov_b32_e32 v66, v2
	s_branch .LBB157_3
.LBB157_42:                             ;   in Loop: Header=BB157_3 Depth=1
	v_lshl_add_u64 v[4:5], v[58:59], 0, v[28:29]
	global_load_dword v2, v[4:5], off
	v_lshl_add_u64 v[4:5], v[60:61], 0, v[28:29]
	global_load_dword v10, v[4:5], off
	v_mov_b32_e32 v8, v3
	v_mov_b32_e32 v9, v3
	;; [unrolled: 1-line block ×6, first 2 shown]
	s_waitcnt vmcnt(1)
	v_mov_b64_e32 v[24:25], v[8:9]
	v_mov_b32_e32 v11, v3
	v_mov_b32_e32 v12, v3
	v_mov_b32_e32 v13, v3
	v_mov_b32_e32 v14, v3
	v_mov_b32_e32 v15, v3
	v_mov_b32_e32 v16, v3
	v_mov_b32_e32 v17, v3
	v_mov_b64_e32 v[22:23], v[6:7]
	v_mov_b64_e32 v[20:21], v[4:5]
	;; [unrolled: 1-line block ×3, first 2 shown]
	s_or_b64 exec, exec, s[18:19]
	s_and_saveexec_b64 s[18:19], s[6:7]
	s_cbranch_execz .LBB157_32
.LBB157_43:                             ;   in Loop: Header=BB157_3 Depth=1
	v_lshl_add_u64 v[4:5], v[54:55], 0, v[28:29]
	global_load_dword v19, v[4:5], off
	v_lshl_add_u64 v[4:5], v[56:57], 0, v[28:29]
	global_load_dword v11, v[4:5], off
	s_or_b64 exec, exec, s[18:19]
	s_and_saveexec_b64 s[18:19], s[6:7]
	s_cbranch_execz .LBB157_33
.LBB157_44:                             ;   in Loop: Header=BB157_3 Depth=1
	v_lshl_add_u64 v[4:5], v[50:51], 0, v[28:29]
	global_load_dword v20, v[4:5], off
	v_lshl_add_u64 v[4:5], v[52:53], 0, v[28:29]
	global_load_dword v12, v[4:5], off
	s_or_b64 exec, exec, s[18:19]
	s_and_saveexec_b64 s[18:19], s[6:7]
	s_cbranch_execz .LBB157_34
.LBB157_45:                             ;   in Loop: Header=BB157_3 Depth=1
	v_lshl_add_u64 v[4:5], v[46:47], 0, v[28:29]
	global_load_dword v21, v[4:5], off
	v_lshl_add_u64 v[4:5], v[48:49], 0, v[28:29]
	global_load_dword v13, v[4:5], off
	s_or_b64 exec, exec, s[18:19]
	s_and_saveexec_b64 s[18:19], s[6:7]
	s_cbranch_execz .LBB157_35
.LBB157_46:                             ;   in Loop: Header=BB157_3 Depth=1
	v_lshl_add_u64 v[4:5], v[42:43], 0, v[28:29]
	global_load_dword v22, v[4:5], off
	v_lshl_add_u64 v[4:5], v[44:45], 0, v[28:29]
	global_load_dword v14, v[4:5], off
	s_or_b64 exec, exec, s[18:19]
	s_and_saveexec_b64 s[18:19], s[6:7]
	s_cbranch_execz .LBB157_36
.LBB157_47:                             ;   in Loop: Header=BB157_3 Depth=1
	v_lshl_add_u64 v[4:5], v[38:39], 0, v[28:29]
	global_load_dword v23, v[4:5], off
	v_lshl_add_u64 v[4:5], v[40:41], 0, v[28:29]
	global_load_dword v15, v[4:5], off
	s_or_b64 exec, exec, s[18:19]
	s_and_saveexec_b64 s[18:19], s[6:7]
	s_cbranch_execz .LBB157_37
.LBB157_48:                             ;   in Loop: Header=BB157_3 Depth=1
	v_lshl_add_u64 v[4:5], v[34:35], 0, v[28:29]
	global_load_dword v24, v[4:5], off
	v_lshl_add_u64 v[4:5], v[36:37], 0, v[28:29]
	global_load_dword v16, v[4:5], off
	s_or_b64 exec, exec, s[18:19]
	s_and_saveexec_b64 s[18:19], s[6:7]
	s_cbranch_execnz .LBB157_38
	s_branch .LBB157_39
.LBB157_49:
                                        ; implicit-def: $vgpr2
	s_branch .LBB157_51
.LBB157_50:
	s_cbranch_execnz .LBB157_83
.LBB157_51:
	s_and_b64 vcc, exec, s[4:5]
	v_mov_b32_e32 v2, 0
	s_cbranch_vccnz .LBB157_83
; %bb.52:
	v_and_b32_e32 v1, 0x3ff, v0
	v_add_u32_e32 v2, s33, v1
	v_mov_b32_e32 v3, 0
	v_bfe_u32 v92, v0, 10, 10
	v_lshlrev_b64 v[28:29], 2, v[2:3]
	v_lshlrev_b32_e32 v2, 5, v92
	v_lshl_add_u64 v[4:5], s[26:27], 2, v[2:3]
	v_lshl_add_u64 v[6:7], v[4:5], 0, 4
	v_mov_b64_e32 v[8:9], s[12:13]
	v_lshl_add_u64 v[10:11], v[4:5], 0, 8
	v_lshl_add_u64 v[12:13], v[4:5], 0, 12
	;; [unrolled: 1-line block ×6, first 2 shown]
	v_mad_u64_u32 v[30:31], s[4:5], s10, v6, v[8:9]
	v_mad_u64_u32 v[32:33], s[4:5], s10, v10, v[8:9]
	;; [unrolled: 1-line block ×7, first 2 shown]
	v_mov_b64_e32 v[8:9], s[14:15]
	v_lshlrev_b32_e32 v26, 3, v92
	v_mov_b32_e32 v27, v3
	v_mul_lo_u32 v2, s10, v7
	v_mul_lo_u32 v7, s11, v6
	v_mad_u64_u32 v[44:45], s[4:5], s10, v6, v[8:9]
	v_add3_u32 v31, v7, v31, v2
	v_mul_lo_u32 v5, s10, v5
	v_mul_lo_u32 v25, s11, v4
	v_add3_u32 v45, v7, v45, v2
	v_lshl_add_u64 v[6:7], v[26:27], 0, s[26:27]
	v_mad_u64_u32 v[56:57], s[4:5], s10, v4, v[8:9]
	v_add3_u32 v43, v25, v43, v5
	v_add3_u32 v57, v25, v57, v5
	v_lshl_add_u64 v[4:5], v[6:7], 0, 7
	v_mad_u64_u32 v[46:47], s[4:5], s10, v10, v[8:9]
	v_mad_u64_u32 v[48:49], s[4:5], s10, v12, v[8:9]
	;; [unrolled: 1-line block ×5, first 2 shown]
	v_mul_lo_u32 v8, s11, v4
	v_mul_lo_u32 v9, s10, v5
	v_mad_u64_u32 v[4:5], s[4:5], s10, v4, 0
	v_mul_lo_u32 v11, s10, v11
	v_mul_lo_u32 v20, s11, v10
	v_add3_u32 v5, v5, v9, v8
	v_lshl_add_u64 v[8:9], v[6:7], 0, 6
	v_add3_u32 v33, v20, v33, v11
	v_add3_u32 v47, v20, v47, v11
	v_mul_lo_u32 v10, s11, v8
	v_mul_lo_u32 v11, s10, v9
	v_mad_u64_u32 v[8:9], s[4:5], s10, v8, 0
	v_mul_lo_u32 v13, s10, v13
	v_mul_lo_u32 v21, s11, v12
	v_add3_u32 v9, v9, v11, v10
	v_lshl_add_u64 v[10:11], v[6:7], 0, 5
	v_add3_u32 v35, v21, v35, v13
	v_add3_u32 v49, v21, v49, v13
	;; [unrolled: 9-line block ×4, first 2 shown]
	v_mul_lo_u32 v16, s11, v14
	v_mul_lo_u32 v17, s10, v15
	v_mad_u64_u32 v[14:15], s[4:5], s10, v14, 0
	v_mul_lo_u32 v19, s10, v19
	v_mul_lo_u32 v24, s11, v18
	v_add3_u32 v15, v15, v17, v16
	v_lshl_add_u64 v[16:17], v[6:7], 0, 2
	s_load_dword s3, s[0:1], 0x44
	v_lshlrev_b64 v[4:5], 2, v[4:5]
	v_add3_u32 v41, v24, v41, v19
	v_add3_u32 v55, v24, v55, v19
	v_mul_lo_u32 v18, s11, v16
	v_mul_lo_u32 v19, s10, v17
	v_mad_u64_u32 v[16:17], s[4:5], s10, v16, 0
	v_lshl_add_u64 v[62:63], s[12:13], 0, v[4:5]
	v_lshl_add_u64 v[64:65], s[14:15], 0, v[4:5]
	v_lshlrev_b64 v[4:5], 2, v[8:9]
	v_add3_u32 v17, v17, v19, v18
	v_mov_b64_e32 v[18:19], s[10:11]
	v_lshl_add_u64 v[66:67], s[12:13], 0, v[4:5]
	v_lshl_add_u64 v[68:69], s[14:15], 0, v[4:5]
	v_lshlrev_b64 v[4:5], 2, v[10:11]
	v_mul_lo_u32 v2, s11, v6
	v_mad_u64_u32 v[18:19], s[4:5], s10, v6, v[18:19]
	v_mul_lo_u32 v20, s10, v7
	v_mad_u64_u32 v[6:7], s[4:5], s10, v6, 0
	v_lshl_add_u64 v[70:71], s[12:13], 0, v[4:5]
	v_lshl_add_u64 v[72:73], s[14:15], 0, v[4:5]
	v_lshlrev_b64 v[4:5], 2, v[12:13]
	s_add_u32 s4, s0, 64
	v_lshl_add_u64 v[74:75], s[12:13], 0, v[4:5]
	v_lshl_add_u64 v[76:77], s[14:15], 0, v[4:5]
	v_lshlrev_b64 v[4:5], 2, v[14:15]
	v_add3_u32 v7, v7, v20, v2
	v_add3_u32 v19, v2, v19, v20
	s_addc_u32 s5, s1, 0
	s_waitcnt lgkmcnt(0)
	s_lshl_b32 s3, s3, 6
	v_lshl_add_u64 v[78:79], s[12:13], 0, v[4:5]
	v_lshl_add_u64 v[80:81], s[14:15], 0, v[4:5]
	v_lshlrev_b64 v[4:5], 2, v[16:17]
	v_mbcnt_lo_u32_b32 v2, -1, 0
	s_add_u32 s6, s26, 63
	s_mul_i32 s17, s11, s3
	s_mul_hi_u32 s18, s10, s3
	v_lshlrev_b64 v[6:7], 2, v[6:7]
	v_lshl_add_u64 v[82:83], s[12:13], 0, v[4:5]
	v_lshl_add_u64 v[84:85], s[14:15], 0, v[4:5]
	v_lshlrev_b64 v[4:5], 2, v[18:19]
	v_mbcnt_hi_u32_b32 v2, -1, v2
	s_addc_u32 s7, 0, 0
	s_add_i32 s19, s18, s17
	s_mul_i32 s18, s10, s3
	v_lshl_add_u64 v[58:59], s[12:13], 0, v[6:7]
	v_lshl_add_u64 v[60:61], s[14:15], 0, v[6:7]
	;; [unrolled: 1-line block ×4, first 2 shown]
	s_movk_i32 s12, 0xffc1
	s_movk_i32 s14, 0xffc2
	;; [unrolled: 1-line block ×8, first 2 shown]
	v_lshlrev_b32_e32 v2, 2, v2
	s_mov_b32 s16, 0
	s_lshl_b64 s[28:29], s[18:19], 2
	s_mov_b32 s13, -1
	s_mov_b32 s15, -1
	;; [unrolled: 1-line block ×8, first 2 shown]
	v_and_b32_e32 v93, 0x100, v2
	v_mov_b32_e32 v94, 0
.LBB157_53:                             ; =>This Inner Loop Header: Depth=1
	v_mov_b64_e32 v[4:5], s[8:9]
	v_cmp_ge_i64_e32 vcc, s[6:7], v[4:5]
	v_lshl_add_u64 v[90:91], v[26:27], 0, s[6:7]
	s_cbranch_vccz .LBB157_75
; %bb.54:                               ;   in Loop: Header=BB157_53 Depth=1
	s_load_dword s17, s[4:5], 0xc
	v_mov_b32_e32 v95, 0
	s_waitcnt lgkmcnt(0)
	s_and_b32 s17, s17, 0xffff
	v_mad_u32_u24 v2, v92, s17, v1
	v_and_b32_e32 v2, 63, v2
	v_cmp_gt_u32_e32 vcc, 8, v2
	s_and_saveexec_b64 s[18:19], vcc
	s_cbranch_execz .LBB157_58
; %bb.55:                               ;   in Loop: Header=BB157_53 Depth=1
	v_lshl_add_u64 v[4:5], v[90:91], 0, v[2:3]
	v_lshl_add_u64 v[4:5], v[4:5], 0, s[12:13]
	v_cmp_gt_i64_e32 vcc, s[8:9], v[4:5]
	v_mov_b32_e32 v95, 0
	s_and_saveexec_b64 s[20:21], vcc
	s_cbranch_execz .LBB157_57
; %bb.56:                               ;   in Loop: Header=BB157_53 Depth=1
	v_lshl_add_u64 v[4:5], v[4:5], 2, s[24:25]
	global_load_dword v95, v[4:5], off
.LBB157_57:                             ;   in Loop: Header=BB157_53 Depth=1
	s_or_b64 exec, exec, s[20:21]
.LBB157_58:                             ;   in Loop: Header=BB157_53 Depth=1
	s_or_b64 exec, exec, s[18:19]
	s_mov_b32 s17, s16
	s_mov_b32 s18, s16
	;; [unrolled: 1-line block ×7, first 2 shown]
	v_mov_b64_e32 v[10:11], s[16:17]
	v_mov_b64_e32 v[16:17], s[22:23]
	v_lshl_add_u64 v[4:5], v[90:91], 0, s[12:13]
	v_mov_b64_e32 v[12:13], s[18:19]
	v_mov_b64_e32 v[14:15], s[20:21]
	v_mov_b64_e32 v[24:25], v[16:17]
	v_cmp_gt_i64_e32 vcc, s[8:9], v[4:5]
	v_mov_b64_e32 v[22:23], v[14:15]
	v_mov_b64_e32 v[20:21], v[12:13]
	;; [unrolled: 1-line block ×3, first 2 shown]
	s_and_saveexec_b64 s[18:19], vcc
	s_cbranch_execz .LBB157_60
; %bb.59:                               ;   in Loop: Header=BB157_53 Depth=1
	v_lshl_add_u64 v[4:5], v[58:59], 0, v[28:29]
	global_load_dword v2, v[4:5], off
	v_lshl_add_u64 v[4:5], v[60:61], 0, v[28:29]
	global_load_dword v10, v[4:5], off
	v_mov_b32_e32 v8, v3
	v_mov_b32_e32 v9, v3
	;; [unrolled: 1-line block ×6, first 2 shown]
	s_waitcnt vmcnt(1)
	v_mov_b64_e32 v[24:25], v[8:9]
	v_mov_b32_e32 v11, v3
	v_mov_b32_e32 v12, v3
	;; [unrolled: 1-line block ×7, first 2 shown]
	v_mov_b64_e32 v[22:23], v[6:7]
	v_mov_b64_e32 v[20:21], v[4:5]
	;; [unrolled: 1-line block ×3, first 2 shown]
.LBB157_60:                             ;   in Loop: Header=BB157_53 Depth=1
	s_or_b64 exec, exec, s[18:19]
	v_lshl_add_u64 v[4:5], v[90:91], 0, s[14:15]
	v_cmp_gt_i64_e32 vcc, s[8:9], v[4:5]
	s_and_saveexec_b64 s[18:19], vcc
	s_cbranch_execz .LBB157_62
; %bb.61:                               ;   in Loop: Header=BB157_53 Depth=1
	v_lshl_add_u64 v[4:5], v[86:87], 0, v[28:29]
	global_load_dword v19, v[4:5], off
	v_lshl_add_u64 v[4:5], v[88:89], 0, v[28:29]
	global_load_dword v11, v[4:5], off
.LBB157_62:                             ;   in Loop: Header=BB157_53 Depth=1
	s_or_b64 exec, exec, s[18:19]
	v_lshl_add_u64 v[4:5], v[90:91], 0, s[30:31]
	v_cmp_gt_i64_e32 vcc, s[8:9], v[4:5]
	s_and_saveexec_b64 s[18:19], vcc
	s_cbranch_execz .LBB157_64
; %bb.63:                               ;   in Loop: Header=BB157_53 Depth=1
	v_lshl_add_u64 v[4:5], v[82:83], 0, v[28:29]
	global_load_dword v20, v[4:5], off
	v_lshl_add_u64 v[4:5], v[84:85], 0, v[28:29]
	global_load_dword v12, v[4:5], off
.LBB157_64:                             ;   in Loop: Header=BB157_53 Depth=1
	;; [unrolled: 11-line block ×7, first 2 shown]
	s_or_b64 exec, exec, s[18:19]
	s_waitcnt vmcnt(0)
	ds_bpermute_b32 v4, v93, v95
	ds_bpermute_b32 v5, v93, v95 offset:4
	v_pk_mul_f32 v[8:9], v[14:15], v[22:23]
	ds_bpermute_b32 v14, v93, v95 offset:8
	ds_bpermute_b32 v15, v93, v95 offset:12
	v_pk_mul_f32 v[10:11], v[10:11], v[18:19]
	v_pk_mul_f32 v[12:13], v[12:13], v[20:21]
	s_waitcnt lgkmcnt(2)
	v_pk_mul_f32 v[4:5], v[10:11], v[4:5]
	ds_bpermute_b32 v10, v93, v95 offset:16
	ds_bpermute_b32 v11, v93, v95 offset:20
	v_add_f32_e32 v2, v94, v4
	v_add_f32_e32 v2, v2, v5
	s_waitcnt lgkmcnt(2)
	v_pk_mul_f32 v[4:5], v[12:13], v[14:15]
	ds_bpermute_b32 v12, v93, v95 offset:24
	ds_bpermute_b32 v13, v93, v95 offset:28
	v_add_f32_e32 v2, v2, v4
	v_add_f32_e32 v2, v2, v5
	s_waitcnt lgkmcnt(2)
	v_pk_mul_f32 v[4:5], v[8:9], v[10:11]
	v_pk_mul_f32 v[6:7], v[16:17], v[24:25]
	v_add_f32_e32 v2, v2, v4
	v_add_f32_e32 v2, v2, v5
	s_waitcnt lgkmcnt(0)
	v_pk_mul_f32 v[4:5], v[6:7], v[12:13]
	s_nop 0
	v_add_f32_e32 v2, v2, v4
	v_add_f32_e32 v2, v2, v5
	s_branch .LBB157_81
.LBB157_75:                             ;   in Loop: Header=BB157_53 Depth=1
                                        ; implicit-def: $vgpr2
	s_cbranch_execz .LBB157_81
; %bb.76:                               ;   in Loop: Header=BB157_53 Depth=1
	s_load_dword s17, s[4:5], 0x0
	v_mov_b32_e32 v6, 0
	s_waitcnt lgkmcnt(0)
	s_cmp_lt_u32 s2, s17
	s_cselect_b32 s17, 12, 18
	s_add_u32 s18, s4, s17
	s_addc_u32 s19, s5, 0
	global_load_ushort v2, v3, s[18:19]
	s_waitcnt vmcnt(0)
	v_mad_u32_u24 v2, v92, v2, v1
	v_and_b32_e32 v2, 63, v2
	v_cmp_gt_u32_e32 vcc, 8, v2
	s_and_saveexec_b64 s[18:19], vcc
	s_cbranch_execz .LBB157_80
; %bb.77:                               ;   in Loop: Header=BB157_53 Depth=1
	v_lshl_add_u64 v[4:5], v[90:91], 0, v[2:3]
	v_lshl_add_u64 v[4:5], v[4:5], 0, s[12:13]
	v_cmp_gt_i64_e32 vcc, s[8:9], v[4:5]
	v_mov_b32_e32 v6, 0
	s_and_saveexec_b64 s[20:21], vcc
	s_cbranch_execz .LBB157_79
; %bb.78:                               ;   in Loop: Header=BB157_53 Depth=1
	v_lshl_add_u64 v[4:5], v[4:5], 2, s[24:25]
	global_load_dword v6, v[4:5], off
.LBB157_79:                             ;   in Loop: Header=BB157_53 Depth=1
	s_or_b64 exec, exec, s[20:21]
.LBB157_80:                             ;   in Loop: Header=BB157_53 Depth=1
	s_or_b64 exec, exec, s[18:19]
	v_lshl_add_u64 v[4:5], v[58:59], 0, v[28:29]
	v_lshl_add_u64 v[10:11], v[30:31], 0, v[28:29]
	global_load_dword v4, v[4:5], off
	v_lshl_add_u64 v[8:9], v[60:61], 0, v[28:29]
	global_load_dword v5, v[10:11], off
	;; [unrolled: 2-line block ×15, first 2 shown]
	s_waitcnt vmcnt(15)
	ds_bpermute_b32 v24, v93, v6 offset:8
	global_load_dword v21, v[22:23], off
	ds_bpermute_b32 v22, v93, v6
	ds_bpermute_b32 v23, v93, v6 offset:4
	ds_bpermute_b32 v25, v93, v6 offset:12
	;; [unrolled: 1-line block ×6, first 2 shown]
	s_waitcnt vmcnt(12)
	v_pk_mul_f32 v[4:5], v[4:5], v[8:9]
	s_waitcnt lgkmcnt(5)
	v_pk_mul_f32 v[4:5], v[4:5], v[22:23]
	s_waitcnt vmcnt(8)
	v_pk_mul_f32 v[6:7], v[10:11], v[12:13]
	v_add_f32_e32 v2, v94, v4
	s_waitcnt lgkmcnt(4)
	v_pk_mul_f32 v[6:7], v[6:7], v[24:25]
	v_add_f32_e32 v2, v2, v5
	v_add_f32_e32 v2, v2, v6
	;; [unrolled: 1-line block ×3, first 2 shown]
	s_waitcnt vmcnt(4)
	v_pk_mul_f32 v[8:9], v[14:15], v[16:17]
	s_waitcnt lgkmcnt(2)
	v_pk_mul_f32 v[8:9], v[8:9], v[90:91]
	s_waitcnt vmcnt(0)
	v_pk_mul_f32 v[10:11], v[18:19], v[20:21]
	v_add_f32_e32 v2, v2, v8
	v_add_f32_e32 v2, v2, v9
	s_waitcnt lgkmcnt(0)
	v_pk_mul_f32 v[4:5], v[10:11], v[96:97]
	s_nop 0
	v_add_f32_e32 v2, v2, v4
	v_add_f32_e32 v2, v2, v5
.LBB157_81:                             ;   in Loop: Header=BB157_53 Depth=1
	s_add_u32 s26, s26, s3
	s_addc_u32 s27, s27, 0
	v_mov_b64_e32 v[4:5], s[8:9]
	s_add_u32 s6, s6, s3
	v_cmp_ge_i64_e32 vcc, s[26:27], v[4:5]
	s_addc_u32 s7, s7, 0
	v_lshl_add_u64 v[30:31], v[30:31], 0, s[28:29]
	v_lshl_add_u64 v[32:33], v[32:33], 0, s[28:29]
	;; [unrolled: 1-line block ×30, first 2 shown]
	s_cbranch_vccnz .LBB157_83
; %bb.82:                               ;   in Loop: Header=BB157_53 Depth=1
	v_mov_b32_e32 v94, v2
	s_branch .LBB157_53
.LBB157_83:
	v_and_b32_e32 v3, 0x3ff, v0
	v_bfe_u32 v0, v0, 10, 10
	v_mad_u32_u24 v4, v0, 33, v3
	v_lshl_add_u32 v5, v4, 2, 0
	ds_write_b32 v5, v2
	v_sub_u32_e32 v2, v4, v0
	s_movk_i32 s4, 0x800
	s_mov_b32 s3, 0
	v_mov_b32_e32 v1, 0
	v_cmp_gt_u32_e32 vcc, s4, v2
	ds_write_b32 v5, v1 offset:1056
	s_waitcnt lgkmcnt(0)
	s_barrier
	s_and_saveexec_b64 s[4:5], vcc
	s_cbranch_execz .LBB157_90
; %bb.84:
	v_mbcnt_lo_u32_b32 v4, -1, 0
	v_mbcnt_hi_u32_b32 v6, -1, v4
	v_lshrrev_b32_e32 v0, 6, v2
	v_and_b32_e32 v2, 63, v2
	v_and_b32_e32 v4, 64, v6
	s_load_dwordx2 s[14:15], s[0:1], 0x30
	v_cmp_gt_u32_e32 vcc, 8, v2
	v_add_u32_e32 v7, 64, v4
	v_cmp_ne_u32_e64 s[0:1], 0, v3
	v_mul_u32_u24_e32 v3, 0x84, v2
	v_xor_b32_e32 v2, 4, v6
	v_cmp_lt_i32_e64 s[4:5], v2, v7
	s_lshl_b64 s[6:7], s[2:3], 5
	s_waitcnt lgkmcnt(0)
	s_cmp_eq_u64 s[14:15], 0
	v_cndmask_b32_e64 v2, v6, v2, s[4:5]
	v_lshlrev_b32_e32 v4, 2, v2
	v_xor_b32_e32 v2, 2, v6
	v_cmp_lt_i32_e64 s[4:5], v2, v7
	s_cselect_b64 s[12:13], -1, 0
	s_lshl_b64 s[2:3], s[2:3], 7
	v_cndmask_b32_e64 v2, v6, v2, s[4:5]
	v_lshlrev_b32_e32 v5, 2, v2
	v_xor_b32_e32 v2, 1, v6
	v_cmp_lt_i32_e64 s[4:5], v2, v7
	s_add_u32 s2, s14, s2
	s_addc_u32 s3, s15, s3
	v_cndmask_b32_e64 v2, v6, v2, s[4:5]
	v_lshlrev_b32_e32 v6, 2, v2
	v_lshlrev_b32_e32 v2, 2, v0
	v_add3_u32 v7, v3, v2, 0
	v_mov_b32_e32 v3, v1
	s_mov_b64 s[8:9], 0
	v_lshl_add_u64 v[2:3], s[2:3], 0, v[2:3]
                                        ; implicit-def: $vgpr8
	s_branch .LBB157_86
.LBB157_85:                             ;   in Loop: Header=BB157_86 Depth=1
	s_or_b64 exec, exec, s[2:3]
	v_lshl_add_u64 v[0:1], v[0:1], 0, 4
	v_add_u32_e32 v9, -4, v0
	v_cmp_lt_u32_e64 s[2:3], 27, v9
	v_add_u32_e32 v7, 16, v7
	s_or_b64 s[8:9], s[2:3], s[8:9]
	v_lshl_add_u64 v[2:3], v[2:3], 0, 16
	s_andn2_b64 exec, exec, s[8:9]
	s_cbranch_execz .LBB157_90
.LBB157_86:                             ; =>This Inner Loop Header: Depth=1
	s_and_saveexec_b64 s[2:3], vcc
	s_cbranch_execz .LBB157_88
; %bb.87:                               ;   in Loop: Header=BB157_86 Depth=1
	ds_read_b32 v8, v7
.LBB157_88:                             ;   in Loop: Header=BB157_86 Depth=1
	s_or_b64 exec, exec, s[2:3]
	s_waitcnt lgkmcnt(0)
	ds_bpermute_b32 v9, v4, v8
	s_waitcnt lgkmcnt(0)
	v_add_f32_e32 v8, v8, v9
	ds_bpermute_b32 v9, v5, v8
	s_waitcnt lgkmcnt(0)
	v_add_f32_e32 v10, v8, v9
	ds_bpermute_b32 v11, v6, v10
	v_lshl_add_u64 v[8:9], s[6:7], 0, v[0:1]
	v_cmp_le_i64_e64 s[2:3], s[10:11], v[8:9]
	s_or_b64 s[2:3], s[0:1], s[2:3]
	s_or_b64 s[2:3], s[12:13], s[2:3]
	s_waitcnt lgkmcnt(0)
	v_add_f32_e32 v8, v10, v11
	s_xor_b64 s[4:5], s[2:3], -1
	s_and_saveexec_b64 s[2:3], s[4:5]
	s_cbranch_execz .LBB157_85
; %bb.89:                               ;   in Loop: Header=BB157_86 Depth=1
	global_store_dword v[2:3], v8, off
	s_branch .LBB157_85
.LBB157_90:
	s_endpgm
	.section	.rodata,"a",@progbits
	.p2align	6, 0x0
	.amdhsa_kernel _ZN2at6native12_GLOBAL__N_135GammaBetaBackwardCUDAKernelTemplateIffLj32ELj8ELj64ELb0ELb0ELb1EEEvllPKT_S5_PKT0_S8_PS3_S9_
		.amdhsa_group_segment_fixed_size 0
		.amdhsa_private_segment_fixed_size 0
		.amdhsa_kernarg_size 320
		.amdhsa_user_sgpr_count 2
		.amdhsa_user_sgpr_dispatch_ptr 0
		.amdhsa_user_sgpr_queue_ptr 0
		.amdhsa_user_sgpr_kernarg_segment_ptr 1
		.amdhsa_user_sgpr_dispatch_id 0
		.amdhsa_user_sgpr_kernarg_preload_length 0
		.amdhsa_user_sgpr_kernarg_preload_offset 0
		.amdhsa_user_sgpr_private_segment_size 0
		.amdhsa_uses_dynamic_stack 0
		.amdhsa_enable_private_segment 0
		.amdhsa_system_sgpr_workgroup_id_x 1
		.amdhsa_system_sgpr_workgroup_id_y 1
		.amdhsa_system_sgpr_workgroup_id_z 0
		.amdhsa_system_sgpr_workgroup_info 0
		.amdhsa_system_vgpr_workitem_id 1
		.amdhsa_next_free_vgpr 98
		.amdhsa_next_free_sgpr 56
		.amdhsa_accum_offset 100
		.amdhsa_reserve_vcc 1
		.amdhsa_float_round_mode_32 0
		.amdhsa_float_round_mode_16_64 0
		.amdhsa_float_denorm_mode_32 3
		.amdhsa_float_denorm_mode_16_64 3
		.amdhsa_dx10_clamp 1
		.amdhsa_ieee_mode 1
		.amdhsa_fp16_overflow 0
		.amdhsa_tg_split 0
		.amdhsa_exception_fp_ieee_invalid_op 0
		.amdhsa_exception_fp_denorm_src 0
		.amdhsa_exception_fp_ieee_div_zero 0
		.amdhsa_exception_fp_ieee_overflow 0
		.amdhsa_exception_fp_ieee_underflow 0
		.amdhsa_exception_fp_ieee_inexact 0
		.amdhsa_exception_int_div_zero 0
	.end_amdhsa_kernel
	.section	.text._ZN2at6native12_GLOBAL__N_135GammaBetaBackwardCUDAKernelTemplateIffLj32ELj8ELj64ELb0ELb0ELb1EEEvllPKT_S5_PKT0_S8_PS3_S9_,"axG",@progbits,_ZN2at6native12_GLOBAL__N_135GammaBetaBackwardCUDAKernelTemplateIffLj32ELj8ELj64ELb0ELb0ELb1EEEvllPKT_S5_PKT0_S8_PS3_S9_,comdat
.Lfunc_end157:
	.size	_ZN2at6native12_GLOBAL__N_135GammaBetaBackwardCUDAKernelTemplateIffLj32ELj8ELj64ELb0ELb0ELb1EEEvllPKT_S5_PKT0_S8_PS3_S9_, .Lfunc_end157-_ZN2at6native12_GLOBAL__N_135GammaBetaBackwardCUDAKernelTemplateIffLj32ELj8ELj64ELb0ELb0ELb1EEEvllPKT_S5_PKT0_S8_PS3_S9_
                                        ; -- End function
	.section	.AMDGPU.csdata,"",@progbits
; Kernel info:
; codeLenInByte = 6120
; NumSgprs: 62
; NumVgprs: 98
; NumAgprs: 0
; TotalNumVgprs: 98
; ScratchSize: 0
; MemoryBound: 0
; FloatMode: 240
; IeeeMode: 1
; LDSByteSize: 0 bytes/workgroup (compile time only)
; SGPRBlocks: 7
; VGPRBlocks: 12
; NumSGPRsForWavesPerEU: 62
; NumVGPRsForWavesPerEU: 98
; AccumOffset: 100
; Occupancy: 4
; WaveLimiterHint : 0
; COMPUTE_PGM_RSRC2:SCRATCH_EN: 0
; COMPUTE_PGM_RSRC2:USER_SGPR: 2
; COMPUTE_PGM_RSRC2:TRAP_HANDLER: 0
; COMPUTE_PGM_RSRC2:TGID_X_EN: 1
; COMPUTE_PGM_RSRC2:TGID_Y_EN: 1
; COMPUTE_PGM_RSRC2:TGID_Z_EN: 0
; COMPUTE_PGM_RSRC2:TIDIG_COMP_CNT: 1
; COMPUTE_PGM_RSRC3_GFX90A:ACCUM_OFFSET: 24
; COMPUTE_PGM_RSRC3_GFX90A:TG_SPLIT: 0
	.section	.text._ZN2at6native12_GLOBAL__N_135GammaBetaBackwardCUDAKernelTemplateIffLj32ELj16ELj128ELb0ELb1ELb1EEEvllPKT_S5_PKT0_S8_PS3_S9_,"axG",@progbits,_ZN2at6native12_GLOBAL__N_135GammaBetaBackwardCUDAKernelTemplateIffLj32ELj16ELj128ELb0ELb1ELb1EEEvllPKT_S5_PKT0_S8_PS3_S9_,comdat
	.globl	_ZN2at6native12_GLOBAL__N_135GammaBetaBackwardCUDAKernelTemplateIffLj32ELj16ELj128ELb0ELb1ELb1EEEvllPKT_S5_PKT0_S8_PS3_S9_ ; -- Begin function _ZN2at6native12_GLOBAL__N_135GammaBetaBackwardCUDAKernelTemplateIffLj32ELj16ELj128ELb0ELb1ELb1EEEvllPKT_S5_PKT0_S8_PS3_S9_
	.p2align	8
	.type	_ZN2at6native12_GLOBAL__N_135GammaBetaBackwardCUDAKernelTemplateIffLj32ELj16ELj128ELb0ELb1ELb1EEEvllPKT_S5_PKT0_S8_PS3_S9_,@function
_ZN2at6native12_GLOBAL__N_135GammaBetaBackwardCUDAKernelTemplateIffLj32ELj16ELj128ELb0ELb1ELb1EEEvllPKT_S5_PKT0_S8_PS3_S9_: ; @_ZN2at6native12_GLOBAL__N_135GammaBetaBackwardCUDAKernelTemplateIffLj32ELj16ELj128ELb0ELb1ELb1EEEvllPKT_S5_PKT0_S8_PS3_S9_
; %bb.0:
	s_load_dwordx4 s[4:7], s[0:1], 0x0
	s_lshl_b32 s14, s3, 7
	s_mov_b32 s15, 0
	v_bfe_u32 v12, v0, 10, 10
	s_waitcnt lgkmcnt(0)
	v_mov_b64_e32 v[2:3], s[4:5]
	v_cmp_lt_i64_e32 vcc, s[14:15], v[2:3]
	s_cbranch_vccnz .LBB158_2
; %bb.1:
	s_mov_b64 s[8:9], 0
	v_bfe_u32 v2, v0, 10, 10
	s_branch .LBB158_3
.LBB158_2:
	s_mov_b64 s[8:9], -1
                                        ; implicit-def: $vgpr2
.LBB158_3:
	s_load_dwordx2 s[12:13], s[0:1], 0x30
	v_and_b32_e32 v10, 0x3ff, v0
	s_andn2_b64 vcc, exec, s[8:9]
	v_mov_b32_e32 v1, s15
	v_mbcnt_lo_u32_b32 v11, -1, 0
	s_cbranch_vccnz .LBB158_11
; %bb.4:
	s_load_dword s3, s[0:1], 0x4c
	s_load_dword s16, s[0:1], 0x44
	s_load_dwordx2 s[18:19], s[0:1], 0x28
	s_load_dwordx4 s[8:11], s[0:1], 0x10
	v_lshlrev_b32_e32 v0, 3, v12
	s_waitcnt lgkmcnt(0)
	s_and_b32 s0, s3, 0xffff
	v_mad_u32_u24 v1, v12, s0, v10
	v_and_b32_e32 v2, 63, v1
	v_mov_b32_e32 v1, 0
	v_mov_b32_e32 v3, v1
	v_lshl_add_u64 v[8:9], v[0:1], 0, s[14:15]
	v_cmp_gt_u32_e64 s[0:1], 8, v2
	v_mbcnt_hi_u32_b32 v4, -1, v11
	s_lshl_b32 s16, s16, 7
	v_lshl_add_u64 v[2:3], v[8:9], 0, v[2:3]
	v_mul_lo_u32 v0, s7, v8
	v_mul_lo_u32 v21, s6, v9
	v_mad_u64_u32 v[8:9], s[20:21], s6, v8, 0
	v_lshl_add_u32 v6, s2, 5, v10
	v_mov_b32_e32 v7, v1
	v_lshlrev_b32_e32 v4, 2, v4
	s_mul_i32 s3, s7, s16
	s_mul_hi_u32 s20, s6, s16
	s_mov_b32 s17, 0
	v_and_b32_e32 v13, 0x100, v4
	v_add3_u32 v9, v9, v21, v0
	v_lshlrev_b64 v[6:7], 2, v[6:7]
	s_add_i32 s21, s20, s3
	s_mul_i32 s20, s6, s16
	v_or_b32_e32 v14, 4, v13
	v_or_b32_e32 v15, 8, v13
	;; [unrolled: 1-line block ×7, first 2 shown]
	v_lshl_add_u64 v[4:5], v[2:3], 2, s[18:19]
	s_lshl_b64 s[18:19], s[16:17], 2
	v_lshl_add_u64 v[6:7], v[8:9], 2, v[6:7]
	s_lshl_b64 s[20:21], s[20:21], 2
	s_lshl_b64 s[6:7], s[6:7], 2
	v_mov_b64_e32 v[8:9], s[4:5]
	s_branch .LBB158_7
.LBB158_5:                              ;   in Loop: Header=BB158_7 Depth=1
	s_or_b64 exec, exec, s[24:25]
.LBB158_6:                              ;   in Loop: Header=BB158_7 Depth=1
	s_or_b64 exec, exec, s[22:23]
	v_lshl_add_u64 v[22:23], s[8:9], 0, v[6:7]
	global_load_dword v24, v[22:23], off
	v_lshl_add_u64 v[26:27], s[10:11], 0, v[6:7]
	v_lshl_add_u64 v[22:23], v[22:23], 0, s[6:7]
	global_load_dword v28, v[26:27], off
	global_load_dword v25, v[22:23], off
	v_lshl_add_u64 v[26:27], v[26:27], 0, s[6:7]
	v_lshl_add_u64 v[22:23], v[22:23], 0, s[6:7]
	global_load_dword v29, v[26:27], off
	;; [unrolled: 4-line block ×7, first 2 shown]
	v_lshl_add_u64 v[22:23], v[26:27], 0, s[6:7]
	global_load_dword v40, v[26:27], off
	global_load_dword v41, v[22:23], off
	s_waitcnt vmcnt(16)
	ds_bpermute_b32 v22, v13, v0
	ds_bpermute_b32 v23, v14, v0
	;; [unrolled: 1-line block ×8, first 2 shown]
	s_add_u32 s14, s14, s16
	s_addc_u32 s15, s15, 0
	v_cmp_lt_i64_e32 vcc, s[14:15], v[8:9]
	v_lshl_add_u64 v[4:5], v[4:5], 0, s[18:19]
	v_lshl_add_u64 v[2:3], v[2:3], 0, s[16:17]
	;; [unrolled: 1-line block ×3, first 2 shown]
	s_and_b64 vcc, exec, vcc
	s_waitcnt vmcnt(12)
	v_pk_mul_f32 v[24:25], v[24:25], v[28:29]
	s_waitcnt lgkmcnt(6)
	v_pk_mul_f32 v[22:23], v[24:25], v[22:23]
	s_nop 0
	v_add_f32_e32 v21, v1, v22
	v_add_f32_e32 v21, v21, v23
	s_waitcnt vmcnt(8)
	v_pk_mul_f32 v[0:1], v[30:31], v[32:33]
	s_waitcnt lgkmcnt(4)
	v_pk_mul_f32 v[0:1], v[0:1], v[26:27]
	s_waitcnt vmcnt(4)
	v_pk_mul_f32 v[22:23], v[34:35], v[36:37]
	v_add_f32_e32 v0, v21, v0
	v_add_f32_e32 v21, v0, v1
	s_waitcnt lgkmcnt(2)
	v_pk_mul_f32 v[0:1], v[22:23], v[42:43]
	s_waitcnt vmcnt(0)
	v_pk_mul_f32 v[22:23], v[38:39], v[40:41]
	v_add_f32_e32 v0, v21, v0
	v_add_f32_e32 v21, v0, v1
	s_waitcnt lgkmcnt(0)
	v_pk_mul_f32 v[0:1], v[22:23], v[44:45]
	s_nop 0
	v_add_f32_e32 v0, v21, v0
	v_add_f32_e32 v1, v0, v1
	s_cbranch_vccz .LBB158_10
.LBB158_7:                              ; =>This Inner Loop Header: Depth=1
	v_mov_b32_e32 v0, 0
	s_and_saveexec_b64 s[22:23], s[0:1]
	s_cbranch_execz .LBB158_6
; %bb.8:                                ;   in Loop: Header=BB158_7 Depth=1
	v_cmp_gt_i64_e32 vcc, s[4:5], v[2:3]
	v_mov_b32_e32 v0, 0
	s_and_saveexec_b64 s[24:25], vcc
	s_cbranch_execz .LBB158_5
; %bb.9:                                ;   in Loop: Header=BB158_7 Depth=1
	global_load_dword v0, v[4:5], off
	s_branch .LBB158_5
.LBB158_10:
	v_mov_b32_e32 v2, v12
.LBB158_11:
	v_mad_u32_u24 v0, v2, 33, v10
	v_lshl_add_u32 v3, v0, 2, 0
	v_sub_u32_e32 v0, v0, v2
	s_movk_i32 s0, 0x800
	s_mov_b32 s3, 0
	ds_write_b32 v3, v1
	v_mov_b32_e32 v1, 0
	v_cmp_gt_u32_e32 vcc, s0, v0
	ds_write_b32 v3, v1 offset:2112
	s_waitcnt lgkmcnt(0)
	s_barrier
	s_and_saveexec_b64 s[0:1], vcc
	s_cbranch_execz .LBB158_18
; %bb.12:
	v_mbcnt_hi_u32_b32 v5, -1, v11
	v_lshrrev_b32_e32 v7, 6, v0
	v_and_b32_e32 v0, 63, v0
	v_and_b32_e32 v2, 64, v5
	s_cmp_lg_u64 s[12:13], 0
	v_cmp_gt_u32_e32 vcc, 16, v0
	v_add_u32_e32 v6, 64, v2
	v_cmp_eq_u32_e64 s[0:1], 0, v10
	s_cselect_b64 s[6:7], -1, 0
	v_mul_u32_u24_e32 v8, 0x84, v0
	v_xor_b32_e32 v0, 8, v5
	s_and_b64 s[6:7], s[0:1], s[6:7]
	v_cmp_lt_i32_e64 s[0:1], v0, v6
	s_mov_b64 s[4:5], 0
	s_nop 0
	v_cndmask_b32_e64 v0, v5, v0, s[0:1]
	v_lshlrev_b32_e32 v2, 2, v0
	v_xor_b32_e32 v0, 4, v5
	v_cmp_lt_i32_e64 s[0:1], v0, v6
	s_nop 1
	v_cndmask_b32_e64 v0, v5, v0, s[0:1]
	v_lshlrev_b32_e32 v3, 2, v0
	v_xor_b32_e32 v0, 2, v5
	v_cmp_lt_i32_e64 s[0:1], v0, v6
	s_nop 1
	v_cndmask_b32_e64 v0, v5, v0, s[0:1]
	v_lshlrev_b32_e32 v4, 2, v0
	v_xor_b32_e32 v0, 1, v5
	v_cmp_lt_i32_e64 s[0:1], v0, v6
	s_nop 1
	v_cndmask_b32_e64 v0, v5, v0, s[0:1]
	s_lshl_b64 s[0:1], s[2:3], 7
	s_add_u32 s0, s12, s0
	v_lshlrev_b32_e32 v5, 2, v0
	v_lshlrev_b32_e32 v0, 2, v7
	s_addc_u32 s1, s13, s1
	v_add3_u32 v6, v8, v0, 0
	v_add_u32_e32 v7, -8, v7
	v_lshl_add_u64 v[0:1], s[0:1], 0, v[0:1]
                                        ; implicit-def: $vgpr8
	s_branch .LBB158_14
.LBB158_13:                             ;   in Loop: Header=BB158_14 Depth=1
	s_or_b64 exec, exec, s[0:1]
	v_add_u32_e32 v7, 8, v7
	v_cmp_lt_u32_e64 s[0:1], 23, v7
	v_add_u32_e32 v6, 32, v6
	s_or_b64 s[4:5], s[0:1], s[4:5]
	v_lshl_add_u64 v[0:1], v[0:1], 0, 32
	s_andn2_b64 exec, exec, s[4:5]
	s_cbranch_execz .LBB158_18
.LBB158_14:                             ; =>This Inner Loop Header: Depth=1
	s_and_saveexec_b64 s[0:1], vcc
	s_cbranch_execz .LBB158_16
; %bb.15:                               ;   in Loop: Header=BB158_14 Depth=1
	ds_read_b32 v8, v6
.LBB158_16:                             ;   in Loop: Header=BB158_14 Depth=1
	s_or_b64 exec, exec, s[0:1]
	s_waitcnt lgkmcnt(0)
	ds_bpermute_b32 v9, v2, v8
	s_waitcnt lgkmcnt(0)
	v_add_f32_e32 v8, v8, v9
	ds_bpermute_b32 v9, v3, v8
	s_waitcnt lgkmcnt(0)
	v_add_f32_e32 v8, v8, v9
	;; [unrolled: 3-line block ×4, first 2 shown]
	s_and_saveexec_b64 s[0:1], s[6:7]
	s_cbranch_execz .LBB158_13
; %bb.17:                               ;   in Loop: Header=BB158_14 Depth=1
	global_store_dword v[0:1], v8, off
	s_branch .LBB158_13
.LBB158_18:
	s_endpgm
	.section	.rodata,"a",@progbits
	.p2align	6, 0x0
	.amdhsa_kernel _ZN2at6native12_GLOBAL__N_135GammaBetaBackwardCUDAKernelTemplateIffLj32ELj16ELj128ELb0ELb1ELb1EEEvllPKT_S5_PKT0_S8_PS3_S9_
		.amdhsa_group_segment_fixed_size 0
		.amdhsa_private_segment_fixed_size 0
		.amdhsa_kernarg_size 320
		.amdhsa_user_sgpr_count 2
		.amdhsa_user_sgpr_dispatch_ptr 0
		.amdhsa_user_sgpr_queue_ptr 0
		.amdhsa_user_sgpr_kernarg_segment_ptr 1
		.amdhsa_user_sgpr_dispatch_id 0
		.amdhsa_user_sgpr_kernarg_preload_length 0
		.amdhsa_user_sgpr_kernarg_preload_offset 0
		.amdhsa_user_sgpr_private_segment_size 0
		.amdhsa_uses_dynamic_stack 0
		.amdhsa_enable_private_segment 0
		.amdhsa_system_sgpr_workgroup_id_x 1
		.amdhsa_system_sgpr_workgroup_id_y 1
		.amdhsa_system_sgpr_workgroup_id_z 0
		.amdhsa_system_sgpr_workgroup_info 0
		.amdhsa_system_vgpr_workitem_id 1
		.amdhsa_next_free_vgpr 46
		.amdhsa_next_free_sgpr 26
		.amdhsa_accum_offset 48
		.amdhsa_reserve_vcc 1
		.amdhsa_float_round_mode_32 0
		.amdhsa_float_round_mode_16_64 0
		.amdhsa_float_denorm_mode_32 3
		.amdhsa_float_denorm_mode_16_64 3
		.amdhsa_dx10_clamp 1
		.amdhsa_ieee_mode 1
		.amdhsa_fp16_overflow 0
		.amdhsa_tg_split 0
		.amdhsa_exception_fp_ieee_invalid_op 0
		.amdhsa_exception_fp_denorm_src 0
		.amdhsa_exception_fp_ieee_div_zero 0
		.amdhsa_exception_fp_ieee_overflow 0
		.amdhsa_exception_fp_ieee_underflow 0
		.amdhsa_exception_fp_ieee_inexact 0
		.amdhsa_exception_int_div_zero 0
	.end_amdhsa_kernel
	.section	.text._ZN2at6native12_GLOBAL__N_135GammaBetaBackwardCUDAKernelTemplateIffLj32ELj16ELj128ELb0ELb1ELb1EEEvllPKT_S5_PKT0_S8_PS3_S9_,"axG",@progbits,_ZN2at6native12_GLOBAL__N_135GammaBetaBackwardCUDAKernelTemplateIffLj32ELj16ELj128ELb0ELb1ELb1EEEvllPKT_S5_PKT0_S8_PS3_S9_,comdat
.Lfunc_end158:
	.size	_ZN2at6native12_GLOBAL__N_135GammaBetaBackwardCUDAKernelTemplateIffLj32ELj16ELj128ELb0ELb1ELb1EEEvllPKT_S5_PKT0_S8_PS3_S9_, .Lfunc_end158-_ZN2at6native12_GLOBAL__N_135GammaBetaBackwardCUDAKernelTemplateIffLj32ELj16ELj128ELb0ELb1ELb1EEEvllPKT_S5_PKT0_S8_PS3_S9_
                                        ; -- End function
	.section	.AMDGPU.csdata,"",@progbits
; Kernel info:
; codeLenInByte = 1336
; NumSgprs: 32
; NumVgprs: 46
; NumAgprs: 0
; TotalNumVgprs: 46
; ScratchSize: 0
; MemoryBound: 0
; FloatMode: 240
; IeeeMode: 1
; LDSByteSize: 0 bytes/workgroup (compile time only)
; SGPRBlocks: 3
; VGPRBlocks: 5
; NumSGPRsForWavesPerEU: 32
; NumVGPRsForWavesPerEU: 46
; AccumOffset: 48
; Occupancy: 8
; WaveLimiterHint : 0
; COMPUTE_PGM_RSRC2:SCRATCH_EN: 0
; COMPUTE_PGM_RSRC2:USER_SGPR: 2
; COMPUTE_PGM_RSRC2:TRAP_HANDLER: 0
; COMPUTE_PGM_RSRC2:TGID_X_EN: 1
; COMPUTE_PGM_RSRC2:TGID_Y_EN: 1
; COMPUTE_PGM_RSRC2:TGID_Z_EN: 0
; COMPUTE_PGM_RSRC2:TIDIG_COMP_CNT: 1
; COMPUTE_PGM_RSRC3_GFX90A:ACCUM_OFFSET: 11
; COMPUTE_PGM_RSRC3_GFX90A:TG_SPLIT: 0
	.section	.text._ZN2at6native12_GLOBAL__N_135GammaBetaBackwardCUDAKernelTemplateIffLj32ELj16ELj128ELb0ELb0ELb1EEEvllPKT_S5_PKT0_S8_PS3_S9_,"axG",@progbits,_ZN2at6native12_GLOBAL__N_135GammaBetaBackwardCUDAKernelTemplateIffLj32ELj16ELj128ELb0ELb0ELb1EEEvllPKT_S5_PKT0_S8_PS3_S9_,comdat
	.globl	_ZN2at6native12_GLOBAL__N_135GammaBetaBackwardCUDAKernelTemplateIffLj32ELj16ELj128ELb0ELb0ELb1EEEvllPKT_S5_PKT0_S8_PS3_S9_ ; -- Begin function _ZN2at6native12_GLOBAL__N_135GammaBetaBackwardCUDAKernelTemplateIffLj32ELj16ELj128ELb0ELb0ELb1EEEvllPKT_S5_PKT0_S8_PS3_S9_
	.p2align	8
	.type	_ZN2at6native12_GLOBAL__N_135GammaBetaBackwardCUDAKernelTemplateIffLj32ELj16ELj128ELb0ELb0ELb1EEEvllPKT_S5_PKT0_S8_PS3_S9_,@function
_ZN2at6native12_GLOBAL__N_135GammaBetaBackwardCUDAKernelTemplateIffLj32ELj16ELj128ELb0ELb0ELb1EEEvllPKT_S5_PKT0_S8_PS3_S9_: ; @_ZN2at6native12_GLOBAL__N_135GammaBetaBackwardCUDAKernelTemplateIffLj32ELj16ELj128ELb0ELb0ELb1EEEvllPKT_S5_PKT0_S8_PS3_S9_
; %bb.0:
	s_load_dwordx8 s[8:15], s[0:1], 0x0
	s_load_dwordx2 s[24:25], s[0:1], 0x28
	s_lshl_b32 s33, s2, 5
	s_or_b32 s26, s33, 31
	s_mov_b32 s27, 0
	s_waitcnt lgkmcnt(0)
	v_mov_b64_e32 v[2:3], s[10:11]
	v_cmp_ge_i64_e32 vcc, s[26:27], v[2:3]
	s_lshl_b32 s26, s3, 7
	v_mov_b64_e32 v[2:3], s[8:9]
	v_cmp_lt_i64_e64 s[4:5], s[26:27], v[2:3]
	s_nop 1
	v_cndmask_b32_e64 v1, 0, 1, s[4:5]
	v_cmp_ne_u32_e64 s[4:5], 1, v1
	s_cbranch_vccz .LBB159_49
; %bb.1:
	s_and_b64 vcc, exec, s[4:5]
	v_mov_b32_e32 v2, 0
	s_cbranch_vccnz .LBB159_50
; %bb.2:
	v_mov_b32_e32 v3, 0
	v_bfe_u32 v64, v0, 10, 10
	s_load_dword s3, s[0:1], 0x44
	v_lshlrev_b32_e32 v26, 3, v64
	v_mov_b32_e32 v27, v3
	v_and_b32_e32 v1, 0x3ff, v0
	v_lshl_add_u64 v[4:5], v[26:27], 0, s[26:27]
	v_add_u32_e32 v2, s33, v1
	v_lshl_add_u64 v[6:7], v[4:5], 0, 7
	s_add_u32 s28, s0, 64
	v_cmp_gt_i64_e64 s[6:7], s[10:11], v[2:3]
	v_lshlrev_b64 v[28:29], 2, v[2:3]
	v_mul_lo_u32 v2, s11, v6
	v_mul_lo_u32 v8, s10, v7
	v_mad_u64_u32 v[6:7], s[18:19], s10, v6, 0
	s_addc_u32 s29, s1, 0
	s_waitcnt lgkmcnt(0)
	s_lshl_b32 s3, s3, 7
	v_add3_u32 v7, v7, v8, v2
	v_lshlrev_b64 v[6:7], 2, v[6:7]
	s_mul_i32 s17, s11, s3
	s_mul_hi_u32 s18, s10, s3
	v_lshl_add_u64 v[30:31], s[12:13], 0, v[6:7]
	s_add_i32 s19, s18, s17
	s_mul_i32 s18, s10, s3
	v_lshl_add_u64 v[32:33], s[14:15], 0, v[6:7]
	v_lshl_add_u64 v[6:7], v[4:5], 0, 6
	s_lshl_b64 s[30:31], s[18:19], 2
	v_mul_lo_u32 v2, s11, v6
	v_mul_lo_u32 v8, s10, v7
	v_mad_u64_u32 v[6:7], s[18:19], s10, v6, 0
	v_add3_u32 v7, v7, v8, v2
	v_lshlrev_b64 v[6:7], 2, v[6:7]
	v_lshl_add_u64 v[34:35], s[12:13], 0, v[6:7]
	v_lshl_add_u64 v[36:37], s[14:15], 0, v[6:7]
	v_lshl_add_u64 v[6:7], v[4:5], 0, 5
	v_mul_lo_u32 v2, s11, v6
	v_mul_lo_u32 v8, s10, v7
	v_mad_u64_u32 v[6:7], s[18:19], s10, v6, 0
	v_add3_u32 v7, v7, v8, v2
	v_lshlrev_b64 v[6:7], 2, v[6:7]
	v_lshl_add_u64 v[38:39], s[12:13], 0, v[6:7]
	v_lshl_add_u64 v[40:41], s[14:15], 0, v[6:7]
	v_lshl_add_u64 v[6:7], v[4:5], 0, 4
	;; [unrolled: 8-line block ×4, first 2 shown]
	v_mul_lo_u32 v2, s11, v6
	v_mul_lo_u32 v8, s10, v7
	v_mad_u64_u32 v[6:7], s[18:19], s10, v6, 0
	v_add3_u32 v7, v7, v8, v2
	v_lshlrev_b64 v[6:7], 2, v[6:7]
	v_lshl_add_u64 v[50:51], s[12:13], 0, v[6:7]
	v_lshl_add_u64 v[52:53], s[14:15], 0, v[6:7]
	v_mov_b64_e32 v[6:7], s[10:11]
	v_mad_u64_u32 v[6:7], s[18:19], s10, v4, v[6:7]
	v_mul_lo_u32 v2, s10, v5
	v_mul_lo_u32 v8, s11, v4
	v_mad_u64_u32 v[4:5], s[18:19], s10, v4, 0
	v_add3_u32 v7, v8, v7, v2
	v_add3_u32 v5, v5, v2, v8
	v_mbcnt_lo_u32_b32 v2, -1, 0
	v_mbcnt_hi_u32_b32 v2, -1, v2
	v_lshlrev_b64 v[6:7], 2, v[6:7]
	s_add_u32 s34, s26, 0x7f
	v_lshlrev_b64 v[4:5], 2, v[4:5]
	s_movk_i32 s36, 0xff81
	s_movk_i32 s38, 0xff82
	;; [unrolled: 1-line block ×8, first 2 shown]
	v_lshlrev_b32_e32 v2, 2, v2
	s_mov_b32 s16, 0
	v_lshl_add_u64 v[54:55], s[12:13], 0, v[6:7]
	v_lshl_add_u64 v[56:57], s[14:15], 0, v[6:7]
	s_addc_u32 s35, 0, 0
	v_lshl_add_u64 v[58:59], s[12:13], 0, v[4:5]
	v_lshl_add_u64 v[60:61], s[14:15], 0, v[4:5]
	s_mov_b32 s37, -1
	s_mov_b32 s39, -1
	;; [unrolled: 1-line block ×8, first 2 shown]
	v_and_b32_e32 v65, 0x100, v2
	s_mov_b64 s[52:53], s[26:27]
	v_mov_b32_e32 v66, 0
.LBB159_3:                              ; =>This Inner Loop Header: Depth=1
	v_mov_b64_e32 v[4:5], s[8:9]
	v_cmp_ge_i64_e32 vcc, s[34:35], v[4:5]
	v_lshl_add_u64 v[62:63], v[26:27], 0, s[34:35]
	s_cbranch_vccz .LBB159_25
; %bb.4:                                ;   in Loop: Header=BB159_3 Depth=1
	s_load_dword s17, s[28:29], 0xc
	v_mov_b32_e32 v67, 0
	s_waitcnt lgkmcnt(0)
	s_and_b32 s17, s17, 0xffff
	v_mad_u32_u24 v2, v64, s17, v1
	v_and_b32_e32 v2, 63, v2
	v_cmp_gt_u32_e32 vcc, 8, v2
	s_and_saveexec_b64 s[18:19], vcc
	s_cbranch_execz .LBB159_8
; %bb.5:                                ;   in Loop: Header=BB159_3 Depth=1
	v_lshl_add_u64 v[4:5], v[62:63], 0, v[2:3]
	v_lshl_add_u64 v[4:5], v[4:5], 0, s[36:37]
	v_cmp_gt_i64_e32 vcc, s[8:9], v[4:5]
	v_mov_b32_e32 v67, 0
	s_and_saveexec_b64 s[20:21], vcc
	s_cbranch_execz .LBB159_7
; %bb.6:                                ;   in Loop: Header=BB159_3 Depth=1
	v_lshl_add_u64 v[4:5], v[4:5], 2, s[24:25]
	global_load_dword v67, v[4:5], off
.LBB159_7:                              ;   in Loop: Header=BB159_3 Depth=1
	s_or_b64 exec, exec, s[20:21]
.LBB159_8:                              ;   in Loop: Header=BB159_3 Depth=1
	s_or_b64 exec, exec, s[18:19]
	s_mov_b32 s17, s16
	s_mov_b32 s18, s16
	s_mov_b32 s19, s16
	s_mov_b32 s20, s16
	s_mov_b32 s21, s16
	s_mov_b32 s22, s16
	s_mov_b32 s23, s16
	v_mov_b64_e32 v[10:11], s[16:17]
	v_lshl_add_u64 v[4:5], v[62:63], 0, s[36:37]
	v_mov_b64_e32 v[16:17], s[22:23]
	v_cmp_gt_i64_e32 vcc, s[8:9], v[4:5]
	v_mov_b64_e32 v[12:13], s[18:19]
	v_mov_b64_e32 v[14:15], s[20:21]
	;; [unrolled: 1-line block ×3, first 2 shown]
	s_and_b64 s[54:55], s[6:7], vcc
	v_mov_b64_e32 v[22:23], v[14:15]
	v_mov_b64_e32 v[20:21], v[12:13]
	;; [unrolled: 1-line block ×3, first 2 shown]
	s_and_saveexec_b64 s[18:19], s[54:55]
	s_cbranch_execz .LBB159_10
; %bb.9:                                ;   in Loop: Header=BB159_3 Depth=1
	v_lshl_add_u64 v[4:5], v[58:59], 0, v[28:29]
	global_load_dword v2, v[4:5], off
	v_lshl_add_u64 v[4:5], v[60:61], 0, v[28:29]
	global_load_dword v10, v[4:5], off
	v_mov_b32_e32 v8, v3
	v_mov_b32_e32 v9, v3
	;; [unrolled: 1-line block ×6, first 2 shown]
	s_waitcnt vmcnt(1)
	v_mov_b64_e32 v[24:25], v[8:9]
	v_mov_b32_e32 v11, v3
	v_mov_b32_e32 v12, v3
	v_mov_b32_e32 v13, v3
	v_mov_b32_e32 v14, v3
	v_mov_b32_e32 v15, v3
	v_mov_b32_e32 v16, v3
	v_mov_b32_e32 v17, v3
	v_mov_b64_e32 v[22:23], v[6:7]
	v_mov_b64_e32 v[20:21], v[4:5]
	;; [unrolled: 1-line block ×3, first 2 shown]
.LBB159_10:                             ;   in Loop: Header=BB159_3 Depth=1
	s_or_b64 exec, exec, s[18:19]
	v_lshl_add_u64 v[4:5], v[62:63], 0, s[38:39]
	v_cmp_gt_i64_e32 vcc, s[8:9], v[4:5]
	s_and_b64 s[20:21], s[6:7], vcc
	s_and_saveexec_b64 s[18:19], s[20:21]
	s_cbranch_execz .LBB159_12
; %bb.11:                               ;   in Loop: Header=BB159_3 Depth=1
	v_lshl_add_u64 v[4:5], v[54:55], 0, v[28:29]
	global_load_dword v19, v[4:5], off
	v_lshl_add_u64 v[4:5], v[56:57], 0, v[28:29]
	global_load_dword v11, v[4:5], off
.LBB159_12:                             ;   in Loop: Header=BB159_3 Depth=1
	s_or_b64 exec, exec, s[18:19]
	v_lshl_add_u64 v[4:5], v[62:63], 0, s[40:41]
	v_cmp_gt_i64_e32 vcc, s[8:9], v[4:5]
	s_and_b64 s[20:21], s[6:7], vcc
	s_and_saveexec_b64 s[18:19], s[20:21]
	s_cbranch_execz .LBB159_14
; %bb.13:                               ;   in Loop: Header=BB159_3 Depth=1
	v_lshl_add_u64 v[4:5], v[50:51], 0, v[28:29]
	global_load_dword v20, v[4:5], off
	v_lshl_add_u64 v[4:5], v[52:53], 0, v[28:29]
	global_load_dword v12, v[4:5], off
.LBB159_14:                             ;   in Loop: Header=BB159_3 Depth=1
	;; [unrolled: 12-line block ×7, first 2 shown]
	s_or_b64 exec, exec, s[18:19]
	s_waitcnt vmcnt(0)
	ds_bpermute_b32 v4, v65, v67 offset:4
	ds_bpermute_b32 v5, v65, v67 offset:8
	ds_bpermute_b32 v2, v65, v67
	v_mul_f32_e32 v8, v10, v18
	v_pk_mul_f32 v[10:11], v[10:11], v[18:19]
	v_pk_mul_f32 v[12:13], v[12:13], v[20:21]
	v_mov_b32_e32 v10, v11
	v_mov_b32_e32 v11, v12
	s_waitcnt lgkmcnt(1)
	v_pk_mul_f32 v[4:5], v[10:11], v[4:5]
	ds_bpermute_b32 v10, v65, v67 offset:12
	ds_bpermute_b32 v11, v65, v67 offset:16
	s_waitcnt lgkmcnt(2)
	v_fma_f32 v2, v8, v2, v66
	v_pk_mul_f32 v[8:9], v[14:15], v[22:23]
	v_add_f32_e32 v2, v2, v4
	v_add_f32_e32 v2, v2, v5
	v_mov_b32_e32 v4, v13
	v_mov_b32_e32 v5, v8
	s_waitcnt lgkmcnt(0)
	v_pk_mul_f32 v[4:5], v[4:5], v[10:11]
	ds_bpermute_b32 v10, v65, v67 offset:20
	ds_bpermute_b32 v11, v65, v67 offset:24
	v_pk_mul_f32 v[6:7], v[16:17], v[24:25]
	v_add_f32_e32 v2, v2, v4
	ds_bpermute_b32 v4, v65, v67 offset:28
	v_mov_b32_e32 v8, v9
	v_mov_b32_e32 v9, v6
	v_add_f32_e32 v2, v2, v5
	s_waitcnt lgkmcnt(1)
	v_pk_mul_f32 v[6:7], v[8:9], v[10:11]
	s_nop 0
	v_add_f32_e32 v2, v2, v6
	v_add_f32_e32 v2, v2, v7
	s_branch .LBB159_40
.LBB159_25:                             ;   in Loop: Header=BB159_3 Depth=1
                                        ; implicit-def: $vgpr2
                                        ; implicit-def: $vgpr10_vgpr11_vgpr12_vgpr13_vgpr14_vgpr15_vgpr16_vgpr17
                                        ; implicit-def: $vgpr18_vgpr19_vgpr20_vgpr21_vgpr22_vgpr23_vgpr24_vgpr25
                                        ; implicit-def: $vgpr4
	s_cbranch_execz .LBB159_40
; %bb.26:                               ;   in Loop: Header=BB159_3 Depth=1
	s_load_dword s17, s[28:29], 0x0
	v_mov_b32_e32 v67, 0
	s_waitcnt lgkmcnt(0)
	s_cmp_lt_u32 s2, s17
	s_cselect_b32 s17, 12, 18
	s_add_u32 s18, s28, s17
	s_addc_u32 s19, s29, 0
	global_load_ushort v2, v3, s[18:19]
	s_waitcnt vmcnt(0)
	v_mad_u32_u24 v2, v64, v2, v1
	v_and_b32_e32 v2, 63, v2
	v_cmp_gt_u32_e32 vcc, 8, v2
	s_and_saveexec_b64 s[18:19], vcc
	s_cbranch_execz .LBB159_30
; %bb.27:                               ;   in Loop: Header=BB159_3 Depth=1
	v_lshl_add_u64 v[4:5], v[62:63], 0, v[2:3]
	v_lshl_add_u64 v[4:5], v[4:5], 0, s[36:37]
	v_cmp_gt_i64_e32 vcc, s[8:9], v[4:5]
	v_mov_b32_e32 v67, 0
	s_and_saveexec_b64 s[20:21], vcc
	s_cbranch_execz .LBB159_29
; %bb.28:                               ;   in Loop: Header=BB159_3 Depth=1
	v_lshl_add_u64 v[4:5], v[4:5], 2, s[24:25]
	global_load_dword v67, v[4:5], off
.LBB159_29:                             ;   in Loop: Header=BB159_3 Depth=1
	s_or_b64 exec, exec, s[20:21]
.LBB159_30:                             ;   in Loop: Header=BB159_3 Depth=1
	s_or_b64 exec, exec, s[18:19]
	s_mov_b32 s17, s16
	s_mov_b32 s18, s16
	s_mov_b32 s19, s16
	s_mov_b32 s20, s16
	s_mov_b32 s21, s16
	s_mov_b32 s22, s16
	s_mov_b32 s23, s16
	v_mov_b64_e32 v[10:11], s[16:17]
	v_mov_b64_e32 v[16:17], s[22:23]
	;; [unrolled: 1-line block ×8, first 2 shown]
	s_and_saveexec_b64 s[18:19], s[6:7]
	s_cbranch_execnz .LBB159_42
; %bb.31:                               ;   in Loop: Header=BB159_3 Depth=1
	s_or_b64 exec, exec, s[18:19]
	s_and_saveexec_b64 s[18:19], s[6:7]
	s_cbranch_execnz .LBB159_43
.LBB159_32:                             ;   in Loop: Header=BB159_3 Depth=1
	s_or_b64 exec, exec, s[18:19]
	s_and_saveexec_b64 s[18:19], s[6:7]
	s_cbranch_execnz .LBB159_44
.LBB159_33:                             ;   in Loop: Header=BB159_3 Depth=1
	s_or_b64 exec, exec, s[18:19]
	s_and_saveexec_b64 s[18:19], s[6:7]
	s_cbranch_execnz .LBB159_45
.LBB159_34:                             ;   in Loop: Header=BB159_3 Depth=1
	s_or_b64 exec, exec, s[18:19]
	s_and_saveexec_b64 s[18:19], s[6:7]
	s_cbranch_execnz .LBB159_46
.LBB159_35:                             ;   in Loop: Header=BB159_3 Depth=1
	s_or_b64 exec, exec, s[18:19]
	s_and_saveexec_b64 s[18:19], s[6:7]
	s_cbranch_execnz .LBB159_47
.LBB159_36:                             ;   in Loop: Header=BB159_3 Depth=1
	s_or_b64 exec, exec, s[18:19]
	s_and_saveexec_b64 s[18:19], s[6:7]
	s_cbranch_execnz .LBB159_48
.LBB159_37:                             ;   in Loop: Header=BB159_3 Depth=1
	s_or_b64 exec, exec, s[18:19]
	s_and_saveexec_b64 s[18:19], s[6:7]
	s_cbranch_execz .LBB159_39
.LBB159_38:                             ;   in Loop: Header=BB159_3 Depth=1
	v_lshl_add_u64 v[4:5], v[30:31], 0, v[28:29]
	global_load_dword v25, v[4:5], off
	v_lshl_add_u64 v[4:5], v[32:33], 0, v[28:29]
	global_load_dword v17, v[4:5], off
.LBB159_39:                             ;   in Loop: Header=BB159_3 Depth=1
	s_or_b64 exec, exec, s[18:19]
	s_waitcnt vmcnt(0)
	ds_bpermute_b32 v4, v65, v67 offset:4
	ds_bpermute_b32 v5, v65, v67 offset:8
	ds_bpermute_b32 v2, v65, v67
	v_mul_f32_e32 v8, v10, v18
	v_pk_mul_f32 v[10:11], v[10:11], v[18:19]
	v_pk_mul_f32 v[12:13], v[12:13], v[20:21]
	v_mov_b32_e32 v10, v11
	v_mov_b32_e32 v11, v12
	s_waitcnt lgkmcnt(1)
	v_pk_mul_f32 v[4:5], v[10:11], v[4:5]
	ds_bpermute_b32 v10, v65, v67 offset:12
	ds_bpermute_b32 v11, v65, v67 offset:16
	s_waitcnt lgkmcnt(2)
	v_fmac_f32_e32 v66, v8, v2
	v_pk_mul_f32 v[8:9], v[14:15], v[22:23]
	v_add_f32_e32 v2, v66, v4
	v_add_f32_e32 v2, v2, v5
	v_mov_b32_e32 v4, v13
	v_mov_b32_e32 v5, v8
	s_waitcnt lgkmcnt(0)
	v_pk_mul_f32 v[4:5], v[4:5], v[10:11]
	ds_bpermute_b32 v10, v65, v67 offset:20
	ds_bpermute_b32 v11, v65, v67 offset:24
	v_pk_mul_f32 v[6:7], v[16:17], v[24:25]
	v_add_f32_e32 v2, v2, v4
	v_mov_b32_e32 v8, v9
	v_mov_b32_e32 v9, v6
	v_add_f32_e32 v2, v2, v5
	s_waitcnt lgkmcnt(0)
	v_pk_mul_f32 v[6:7], v[8:9], v[10:11]
	ds_bpermute_b32 v4, v65, v67 offset:28
	v_add_f32_e32 v2, v2, v6
	v_add_f32_e32 v2, v2, v7
.LBB159_40:                             ;   in Loop: Header=BB159_3 Depth=1
	v_mul_f32_e32 v5, v25, v17
	s_add_u32 s52, s52, s3
	s_waitcnt lgkmcnt(0)
	v_fmac_f32_e32 v2, v5, v4
	s_addc_u32 s53, s53, 0
	v_mov_b64_e32 v[4:5], s[8:9]
	s_add_u32 s34, s34, s3
	v_cmp_lt_i64_e32 vcc, s[52:53], v[4:5]
	v_lshl_add_u64 v[30:31], v[30:31], 0, s[30:31]
	v_lshl_add_u64 v[32:33], v[32:33], 0, s[30:31]
	;; [unrolled: 1-line block ×14, first 2 shown]
	s_addc_u32 s35, s35, 0
	v_lshl_add_u64 v[58:59], v[58:59], 0, s[30:31]
	v_lshl_add_u64 v[60:61], v[60:61], 0, s[30:31]
	s_cbranch_vccz .LBB159_50
; %bb.41:                               ;   in Loop: Header=BB159_3 Depth=1
	v_mov_b32_e32 v66, v2
	s_branch .LBB159_3
.LBB159_42:                             ;   in Loop: Header=BB159_3 Depth=1
	v_lshl_add_u64 v[4:5], v[58:59], 0, v[28:29]
	global_load_dword v2, v[4:5], off
	v_lshl_add_u64 v[4:5], v[60:61], 0, v[28:29]
	global_load_dword v10, v[4:5], off
	v_mov_b32_e32 v8, v3
	v_mov_b32_e32 v9, v3
	;; [unrolled: 1-line block ×6, first 2 shown]
	s_waitcnt vmcnt(1)
	v_mov_b64_e32 v[24:25], v[8:9]
	v_mov_b32_e32 v11, v3
	v_mov_b32_e32 v12, v3
	;; [unrolled: 1-line block ×7, first 2 shown]
	v_mov_b64_e32 v[22:23], v[6:7]
	v_mov_b64_e32 v[20:21], v[4:5]
	;; [unrolled: 1-line block ×3, first 2 shown]
	s_or_b64 exec, exec, s[18:19]
	s_and_saveexec_b64 s[18:19], s[6:7]
	s_cbranch_execz .LBB159_32
.LBB159_43:                             ;   in Loop: Header=BB159_3 Depth=1
	v_lshl_add_u64 v[4:5], v[54:55], 0, v[28:29]
	global_load_dword v19, v[4:5], off
	v_lshl_add_u64 v[4:5], v[56:57], 0, v[28:29]
	global_load_dword v11, v[4:5], off
	s_or_b64 exec, exec, s[18:19]
	s_and_saveexec_b64 s[18:19], s[6:7]
	s_cbranch_execz .LBB159_33
.LBB159_44:                             ;   in Loop: Header=BB159_3 Depth=1
	v_lshl_add_u64 v[4:5], v[50:51], 0, v[28:29]
	global_load_dword v20, v[4:5], off
	v_lshl_add_u64 v[4:5], v[52:53], 0, v[28:29]
	global_load_dword v12, v[4:5], off
	s_or_b64 exec, exec, s[18:19]
	s_and_saveexec_b64 s[18:19], s[6:7]
	s_cbranch_execz .LBB159_34
.LBB159_45:                             ;   in Loop: Header=BB159_3 Depth=1
	v_lshl_add_u64 v[4:5], v[46:47], 0, v[28:29]
	global_load_dword v21, v[4:5], off
	v_lshl_add_u64 v[4:5], v[48:49], 0, v[28:29]
	global_load_dword v13, v[4:5], off
	s_or_b64 exec, exec, s[18:19]
	s_and_saveexec_b64 s[18:19], s[6:7]
	s_cbranch_execz .LBB159_35
.LBB159_46:                             ;   in Loop: Header=BB159_3 Depth=1
	v_lshl_add_u64 v[4:5], v[42:43], 0, v[28:29]
	global_load_dword v22, v[4:5], off
	v_lshl_add_u64 v[4:5], v[44:45], 0, v[28:29]
	global_load_dword v14, v[4:5], off
	s_or_b64 exec, exec, s[18:19]
	s_and_saveexec_b64 s[18:19], s[6:7]
	s_cbranch_execz .LBB159_36
.LBB159_47:                             ;   in Loop: Header=BB159_3 Depth=1
	v_lshl_add_u64 v[4:5], v[38:39], 0, v[28:29]
	global_load_dword v23, v[4:5], off
	v_lshl_add_u64 v[4:5], v[40:41], 0, v[28:29]
	global_load_dword v15, v[4:5], off
	s_or_b64 exec, exec, s[18:19]
	s_and_saveexec_b64 s[18:19], s[6:7]
	s_cbranch_execz .LBB159_37
.LBB159_48:                             ;   in Loop: Header=BB159_3 Depth=1
	v_lshl_add_u64 v[4:5], v[34:35], 0, v[28:29]
	global_load_dword v24, v[4:5], off
	v_lshl_add_u64 v[4:5], v[36:37], 0, v[28:29]
	global_load_dword v16, v[4:5], off
	s_or_b64 exec, exec, s[18:19]
	s_and_saveexec_b64 s[18:19], s[6:7]
	s_cbranch_execnz .LBB159_38
	s_branch .LBB159_39
.LBB159_49:
                                        ; implicit-def: $vgpr2
	s_branch .LBB159_51
.LBB159_50:
	s_cbranch_execnz .LBB159_83
.LBB159_51:
	s_and_b64 vcc, exec, s[4:5]
	v_mov_b32_e32 v2, 0
	s_cbranch_vccnz .LBB159_83
; %bb.52:
	v_and_b32_e32 v1, 0x3ff, v0
	v_add_u32_e32 v2, s33, v1
	v_mov_b32_e32 v3, 0
	v_bfe_u32 v92, v0, 10, 10
	v_lshlrev_b64 v[28:29], 2, v[2:3]
	v_lshlrev_b32_e32 v2, 5, v92
	v_lshl_add_u64 v[4:5], s[26:27], 2, v[2:3]
	v_lshl_add_u64 v[6:7], v[4:5], 0, 4
	v_mov_b64_e32 v[8:9], s[12:13]
	v_lshl_add_u64 v[10:11], v[4:5], 0, 8
	v_lshl_add_u64 v[12:13], v[4:5], 0, 12
	;; [unrolled: 1-line block ×6, first 2 shown]
	v_mad_u64_u32 v[30:31], s[4:5], s10, v6, v[8:9]
	v_mad_u64_u32 v[32:33], s[4:5], s10, v10, v[8:9]
	;; [unrolled: 1-line block ×7, first 2 shown]
	v_mov_b64_e32 v[8:9], s[14:15]
	v_lshlrev_b32_e32 v26, 3, v92
	v_mov_b32_e32 v27, v3
	v_mul_lo_u32 v2, s10, v7
	v_mul_lo_u32 v7, s11, v6
	v_mad_u64_u32 v[44:45], s[4:5], s10, v6, v[8:9]
	v_add3_u32 v31, v7, v31, v2
	v_mul_lo_u32 v5, s10, v5
	v_mul_lo_u32 v25, s11, v4
	v_add3_u32 v45, v7, v45, v2
	v_lshl_add_u64 v[6:7], v[26:27], 0, s[26:27]
	v_mad_u64_u32 v[56:57], s[4:5], s10, v4, v[8:9]
	v_add3_u32 v43, v25, v43, v5
	v_add3_u32 v57, v25, v57, v5
	v_lshl_add_u64 v[4:5], v[6:7], 0, 7
	v_mad_u64_u32 v[46:47], s[4:5], s10, v10, v[8:9]
	v_mad_u64_u32 v[48:49], s[4:5], s10, v12, v[8:9]
	;; [unrolled: 1-line block ×5, first 2 shown]
	v_mul_lo_u32 v8, s11, v4
	v_mul_lo_u32 v9, s10, v5
	v_mad_u64_u32 v[4:5], s[4:5], s10, v4, 0
	v_mul_lo_u32 v11, s10, v11
	v_mul_lo_u32 v20, s11, v10
	v_add3_u32 v5, v5, v9, v8
	v_lshl_add_u64 v[8:9], v[6:7], 0, 6
	v_add3_u32 v33, v20, v33, v11
	v_add3_u32 v47, v20, v47, v11
	v_mul_lo_u32 v10, s11, v8
	v_mul_lo_u32 v11, s10, v9
	v_mad_u64_u32 v[8:9], s[4:5], s10, v8, 0
	v_mul_lo_u32 v13, s10, v13
	v_mul_lo_u32 v21, s11, v12
	v_add3_u32 v9, v9, v11, v10
	v_lshl_add_u64 v[10:11], v[6:7], 0, 5
	v_add3_u32 v35, v21, v35, v13
	v_add3_u32 v49, v21, v49, v13
	v_mul_lo_u32 v12, s11, v10
	v_mul_lo_u32 v13, s10, v11
	v_mad_u64_u32 v[10:11], s[4:5], s10, v10, 0
	v_mul_lo_u32 v15, s10, v15
	v_mul_lo_u32 v22, s11, v14
	v_add3_u32 v11, v11, v13, v12
	v_lshl_add_u64 v[12:13], v[6:7], 0, 4
	v_add3_u32 v37, v22, v37, v15
	v_add3_u32 v51, v22, v51, v15
	v_mul_lo_u32 v14, s11, v12
	v_mul_lo_u32 v15, s10, v13
	v_mad_u64_u32 v[12:13], s[4:5], s10, v12, 0
	v_mul_lo_u32 v17, s10, v17
	v_mul_lo_u32 v23, s11, v16
	v_add3_u32 v13, v13, v15, v14
	v_lshl_add_u64 v[14:15], v[6:7], 0, 3
	v_add3_u32 v39, v23, v39, v17
	v_add3_u32 v53, v23, v53, v17
	v_mul_lo_u32 v16, s11, v14
	v_mul_lo_u32 v17, s10, v15
	v_mad_u64_u32 v[14:15], s[4:5], s10, v14, 0
	v_mul_lo_u32 v19, s10, v19
	v_mul_lo_u32 v24, s11, v18
	v_add3_u32 v15, v15, v17, v16
	v_lshl_add_u64 v[16:17], v[6:7], 0, 2
	s_load_dword s3, s[0:1], 0x44
	v_lshlrev_b64 v[4:5], 2, v[4:5]
	v_add3_u32 v41, v24, v41, v19
	v_add3_u32 v55, v24, v55, v19
	v_mul_lo_u32 v18, s11, v16
	v_mul_lo_u32 v19, s10, v17
	v_mad_u64_u32 v[16:17], s[4:5], s10, v16, 0
	v_lshl_add_u64 v[62:63], s[12:13], 0, v[4:5]
	v_lshl_add_u64 v[64:65], s[14:15], 0, v[4:5]
	v_lshlrev_b64 v[4:5], 2, v[8:9]
	v_add3_u32 v17, v17, v19, v18
	v_mov_b64_e32 v[18:19], s[10:11]
	v_lshl_add_u64 v[66:67], s[12:13], 0, v[4:5]
	v_lshl_add_u64 v[68:69], s[14:15], 0, v[4:5]
	v_lshlrev_b64 v[4:5], 2, v[10:11]
	v_mul_lo_u32 v2, s11, v6
	v_mad_u64_u32 v[18:19], s[4:5], s10, v6, v[18:19]
	v_mul_lo_u32 v20, s10, v7
	v_mad_u64_u32 v[6:7], s[4:5], s10, v6, 0
	v_lshl_add_u64 v[70:71], s[12:13], 0, v[4:5]
	v_lshl_add_u64 v[72:73], s[14:15], 0, v[4:5]
	v_lshlrev_b64 v[4:5], 2, v[12:13]
	s_add_u32 s4, s0, 64
	v_lshl_add_u64 v[74:75], s[12:13], 0, v[4:5]
	v_lshl_add_u64 v[76:77], s[14:15], 0, v[4:5]
	v_lshlrev_b64 v[4:5], 2, v[14:15]
	v_add3_u32 v7, v7, v20, v2
	v_add3_u32 v19, v2, v19, v20
	s_addc_u32 s5, s1, 0
	s_waitcnt lgkmcnt(0)
	s_lshl_b32 s3, s3, 7
	v_lshl_add_u64 v[78:79], s[12:13], 0, v[4:5]
	v_lshl_add_u64 v[80:81], s[14:15], 0, v[4:5]
	v_lshlrev_b64 v[4:5], 2, v[16:17]
	v_mbcnt_lo_u32_b32 v2, -1, 0
	s_add_u32 s6, s26, 0x7f
	s_mul_i32 s17, s11, s3
	s_mul_hi_u32 s18, s10, s3
	v_lshlrev_b64 v[6:7], 2, v[6:7]
	v_lshl_add_u64 v[82:83], s[12:13], 0, v[4:5]
	v_lshl_add_u64 v[84:85], s[14:15], 0, v[4:5]
	v_lshlrev_b64 v[4:5], 2, v[18:19]
	v_mbcnt_hi_u32_b32 v2, -1, v2
	s_addc_u32 s7, 0, 0
	s_add_i32 s19, s18, s17
	s_mul_i32 s18, s10, s3
	v_lshl_add_u64 v[58:59], s[12:13], 0, v[6:7]
	v_lshl_add_u64 v[60:61], s[14:15], 0, v[6:7]
	;; [unrolled: 1-line block ×4, first 2 shown]
	s_movk_i32 s12, 0xff81
	s_movk_i32 s14, 0xff82
	;; [unrolled: 1-line block ×8, first 2 shown]
	v_lshlrev_b32_e32 v2, 2, v2
	s_mov_b32 s16, 0
	s_lshl_b64 s[28:29], s[18:19], 2
	s_mov_b32 s13, -1
	s_mov_b32 s15, -1
	;; [unrolled: 1-line block ×8, first 2 shown]
	v_and_b32_e32 v93, 0x100, v2
	v_mov_b32_e32 v94, 0
.LBB159_53:                             ; =>This Inner Loop Header: Depth=1
	v_mov_b64_e32 v[4:5], s[8:9]
	v_cmp_ge_i64_e32 vcc, s[6:7], v[4:5]
	v_lshl_add_u64 v[90:91], v[26:27], 0, s[6:7]
	s_cbranch_vccz .LBB159_75
; %bb.54:                               ;   in Loop: Header=BB159_53 Depth=1
	s_load_dword s17, s[4:5], 0xc
	v_mov_b32_e32 v95, 0
	s_waitcnt lgkmcnt(0)
	s_and_b32 s17, s17, 0xffff
	v_mad_u32_u24 v2, v92, s17, v1
	v_and_b32_e32 v2, 63, v2
	v_cmp_gt_u32_e32 vcc, 8, v2
	s_and_saveexec_b64 s[18:19], vcc
	s_cbranch_execz .LBB159_58
; %bb.55:                               ;   in Loop: Header=BB159_53 Depth=1
	v_lshl_add_u64 v[4:5], v[90:91], 0, v[2:3]
	v_lshl_add_u64 v[4:5], v[4:5], 0, s[12:13]
	v_cmp_gt_i64_e32 vcc, s[8:9], v[4:5]
	v_mov_b32_e32 v95, 0
	s_and_saveexec_b64 s[20:21], vcc
	s_cbranch_execz .LBB159_57
; %bb.56:                               ;   in Loop: Header=BB159_53 Depth=1
	v_lshl_add_u64 v[4:5], v[4:5], 2, s[24:25]
	global_load_dword v95, v[4:5], off
.LBB159_57:                             ;   in Loop: Header=BB159_53 Depth=1
	s_or_b64 exec, exec, s[20:21]
.LBB159_58:                             ;   in Loop: Header=BB159_53 Depth=1
	s_or_b64 exec, exec, s[18:19]
	s_mov_b32 s17, s16
	s_mov_b32 s18, s16
	;; [unrolled: 1-line block ×7, first 2 shown]
	v_mov_b64_e32 v[10:11], s[16:17]
	v_mov_b64_e32 v[16:17], s[22:23]
	v_lshl_add_u64 v[4:5], v[90:91], 0, s[12:13]
	v_mov_b64_e32 v[12:13], s[18:19]
	v_mov_b64_e32 v[14:15], s[20:21]
	;; [unrolled: 1-line block ×3, first 2 shown]
	v_cmp_gt_i64_e32 vcc, s[8:9], v[4:5]
	v_mov_b64_e32 v[22:23], v[14:15]
	v_mov_b64_e32 v[20:21], v[12:13]
	;; [unrolled: 1-line block ×3, first 2 shown]
	s_and_saveexec_b64 s[18:19], vcc
	s_cbranch_execz .LBB159_60
; %bb.59:                               ;   in Loop: Header=BB159_53 Depth=1
	v_lshl_add_u64 v[4:5], v[58:59], 0, v[28:29]
	global_load_dword v2, v[4:5], off
	v_lshl_add_u64 v[4:5], v[60:61], 0, v[28:29]
	global_load_dword v10, v[4:5], off
	v_mov_b32_e32 v8, v3
	v_mov_b32_e32 v9, v3
	;; [unrolled: 1-line block ×6, first 2 shown]
	s_waitcnt vmcnt(1)
	v_mov_b64_e32 v[24:25], v[8:9]
	v_mov_b32_e32 v11, v3
	v_mov_b32_e32 v12, v3
	;; [unrolled: 1-line block ×7, first 2 shown]
	v_mov_b64_e32 v[22:23], v[6:7]
	v_mov_b64_e32 v[20:21], v[4:5]
	;; [unrolled: 1-line block ×3, first 2 shown]
.LBB159_60:                             ;   in Loop: Header=BB159_53 Depth=1
	s_or_b64 exec, exec, s[18:19]
	v_lshl_add_u64 v[4:5], v[90:91], 0, s[14:15]
	v_cmp_gt_i64_e32 vcc, s[8:9], v[4:5]
	s_and_saveexec_b64 s[18:19], vcc
	s_cbranch_execz .LBB159_62
; %bb.61:                               ;   in Loop: Header=BB159_53 Depth=1
	v_lshl_add_u64 v[4:5], v[86:87], 0, v[28:29]
	global_load_dword v19, v[4:5], off
	v_lshl_add_u64 v[4:5], v[88:89], 0, v[28:29]
	global_load_dword v11, v[4:5], off
.LBB159_62:                             ;   in Loop: Header=BB159_53 Depth=1
	s_or_b64 exec, exec, s[18:19]
	v_lshl_add_u64 v[4:5], v[90:91], 0, s[30:31]
	v_cmp_gt_i64_e32 vcc, s[8:9], v[4:5]
	s_and_saveexec_b64 s[18:19], vcc
	s_cbranch_execz .LBB159_64
; %bb.63:                               ;   in Loop: Header=BB159_53 Depth=1
	v_lshl_add_u64 v[4:5], v[82:83], 0, v[28:29]
	global_load_dword v20, v[4:5], off
	v_lshl_add_u64 v[4:5], v[84:85], 0, v[28:29]
	global_load_dword v12, v[4:5], off
.LBB159_64:                             ;   in Loop: Header=BB159_53 Depth=1
	;; [unrolled: 11-line block ×7, first 2 shown]
	s_or_b64 exec, exec, s[18:19]
	s_waitcnt vmcnt(0)
	ds_bpermute_b32 v4, v93, v95
	ds_bpermute_b32 v5, v93, v95 offset:4
	v_pk_mul_f32 v[8:9], v[14:15], v[22:23]
	ds_bpermute_b32 v14, v93, v95 offset:8
	ds_bpermute_b32 v15, v93, v95 offset:12
	v_pk_mul_f32 v[10:11], v[10:11], v[18:19]
	v_pk_mul_f32 v[12:13], v[12:13], v[20:21]
	s_waitcnt lgkmcnt(2)
	v_pk_mul_f32 v[4:5], v[10:11], v[4:5]
	ds_bpermute_b32 v10, v93, v95 offset:16
	ds_bpermute_b32 v11, v93, v95 offset:20
	v_add_f32_e32 v2, v94, v4
	v_add_f32_e32 v2, v2, v5
	s_waitcnt lgkmcnt(2)
	v_pk_mul_f32 v[4:5], v[12:13], v[14:15]
	ds_bpermute_b32 v12, v93, v95 offset:24
	ds_bpermute_b32 v13, v93, v95 offset:28
	v_add_f32_e32 v2, v2, v4
	v_add_f32_e32 v2, v2, v5
	s_waitcnt lgkmcnt(2)
	v_pk_mul_f32 v[4:5], v[8:9], v[10:11]
	v_pk_mul_f32 v[6:7], v[16:17], v[24:25]
	v_add_f32_e32 v2, v2, v4
	v_add_f32_e32 v2, v2, v5
	s_waitcnt lgkmcnt(0)
	v_pk_mul_f32 v[4:5], v[6:7], v[12:13]
	s_nop 0
	v_add_f32_e32 v2, v2, v4
	v_add_f32_e32 v2, v2, v5
	s_branch .LBB159_81
.LBB159_75:                             ;   in Loop: Header=BB159_53 Depth=1
                                        ; implicit-def: $vgpr2
	s_cbranch_execz .LBB159_81
; %bb.76:                               ;   in Loop: Header=BB159_53 Depth=1
	s_load_dword s17, s[4:5], 0x0
	v_mov_b32_e32 v6, 0
	s_waitcnt lgkmcnt(0)
	s_cmp_lt_u32 s2, s17
	s_cselect_b32 s17, 12, 18
	s_add_u32 s18, s4, s17
	s_addc_u32 s19, s5, 0
	global_load_ushort v2, v3, s[18:19]
	s_waitcnt vmcnt(0)
	v_mad_u32_u24 v2, v92, v2, v1
	v_and_b32_e32 v2, 63, v2
	v_cmp_gt_u32_e32 vcc, 8, v2
	s_and_saveexec_b64 s[18:19], vcc
	s_cbranch_execz .LBB159_80
; %bb.77:                               ;   in Loop: Header=BB159_53 Depth=1
	v_lshl_add_u64 v[4:5], v[90:91], 0, v[2:3]
	v_lshl_add_u64 v[4:5], v[4:5], 0, s[12:13]
	v_cmp_gt_i64_e32 vcc, s[8:9], v[4:5]
	v_mov_b32_e32 v6, 0
	s_and_saveexec_b64 s[20:21], vcc
	s_cbranch_execz .LBB159_79
; %bb.78:                               ;   in Loop: Header=BB159_53 Depth=1
	v_lshl_add_u64 v[4:5], v[4:5], 2, s[24:25]
	global_load_dword v6, v[4:5], off
.LBB159_79:                             ;   in Loop: Header=BB159_53 Depth=1
	s_or_b64 exec, exec, s[20:21]
.LBB159_80:                             ;   in Loop: Header=BB159_53 Depth=1
	s_or_b64 exec, exec, s[18:19]
	v_lshl_add_u64 v[4:5], v[58:59], 0, v[28:29]
	v_lshl_add_u64 v[10:11], v[30:31], 0, v[28:29]
	global_load_dword v4, v[4:5], off
	v_lshl_add_u64 v[8:9], v[60:61], 0, v[28:29]
	global_load_dword v5, v[10:11], off
	;; [unrolled: 2-line block ×15, first 2 shown]
	s_waitcnt vmcnt(15)
	ds_bpermute_b32 v24, v93, v6 offset:8
	global_load_dword v21, v[22:23], off
	ds_bpermute_b32 v22, v93, v6
	ds_bpermute_b32 v23, v93, v6 offset:4
	ds_bpermute_b32 v25, v93, v6 offset:12
	;; [unrolled: 1-line block ×6, first 2 shown]
	s_waitcnt vmcnt(12)
	v_pk_mul_f32 v[4:5], v[4:5], v[8:9]
	s_waitcnt lgkmcnt(5)
	v_pk_mul_f32 v[4:5], v[4:5], v[22:23]
	s_waitcnt vmcnt(8)
	v_pk_mul_f32 v[6:7], v[10:11], v[12:13]
	v_add_f32_e32 v2, v94, v4
	s_waitcnt lgkmcnt(4)
	v_pk_mul_f32 v[6:7], v[6:7], v[24:25]
	v_add_f32_e32 v2, v2, v5
	v_add_f32_e32 v2, v2, v6
	;; [unrolled: 1-line block ×3, first 2 shown]
	s_waitcnt vmcnt(4)
	v_pk_mul_f32 v[8:9], v[14:15], v[16:17]
	s_waitcnt lgkmcnt(2)
	v_pk_mul_f32 v[8:9], v[8:9], v[90:91]
	s_waitcnt vmcnt(0)
	v_pk_mul_f32 v[10:11], v[18:19], v[20:21]
	v_add_f32_e32 v2, v2, v8
	v_add_f32_e32 v2, v2, v9
	s_waitcnt lgkmcnt(0)
	v_pk_mul_f32 v[4:5], v[10:11], v[96:97]
	s_nop 0
	v_add_f32_e32 v2, v2, v4
	v_add_f32_e32 v2, v2, v5
.LBB159_81:                             ;   in Loop: Header=BB159_53 Depth=1
	s_add_u32 s26, s26, s3
	s_addc_u32 s27, s27, 0
	v_mov_b64_e32 v[4:5], s[8:9]
	s_add_u32 s6, s6, s3
	v_cmp_ge_i64_e32 vcc, s[26:27], v[4:5]
	s_addc_u32 s7, s7, 0
	v_lshl_add_u64 v[30:31], v[30:31], 0, s[28:29]
	v_lshl_add_u64 v[32:33], v[32:33], 0, s[28:29]
	;; [unrolled: 1-line block ×30, first 2 shown]
	s_cbranch_vccnz .LBB159_83
; %bb.82:                               ;   in Loop: Header=BB159_53 Depth=1
	v_mov_b32_e32 v94, v2
	s_branch .LBB159_53
.LBB159_83:
	v_and_b32_e32 v3, 0x3ff, v0
	v_bfe_u32 v0, v0, 10, 10
	v_mad_u32_u24 v4, v0, 33, v3
	v_lshl_add_u32 v5, v4, 2, 0
	ds_write_b32 v5, v2
	v_sub_u32_e32 v2, v4, v0
	s_movk_i32 s4, 0x800
	s_mov_b32 s3, 0
	v_mov_b32_e32 v1, 0
	v_cmp_gt_u32_e32 vcc, s4, v2
	ds_write_b32 v5, v1 offset:2112
	s_waitcnt lgkmcnt(0)
	s_barrier
	s_and_saveexec_b64 s[4:5], vcc
	s_cbranch_execz .LBB159_90
; %bb.84:
	v_mbcnt_lo_u32_b32 v4, -1, 0
	v_mbcnt_hi_u32_b32 v7, -1, v4
	v_lshrrev_b32_e32 v0, 6, v2
	v_and_b32_e32 v2, 63, v2
	v_and_b32_e32 v4, 64, v7
	s_load_dwordx2 s[14:15], s[0:1], 0x30
	v_cmp_gt_u32_e32 vcc, 16, v2
	v_add_u32_e32 v8, 64, v4
	v_cmp_ne_u32_e64 s[0:1], 0, v3
	v_mul_u32_u24_e32 v3, 0x84, v2
	v_xor_b32_e32 v2, 8, v7
	v_cmp_lt_i32_e64 s[4:5], v2, v8
	s_lshl_b64 s[6:7], s[2:3], 5
	s_waitcnt lgkmcnt(0)
	s_cmp_eq_u64 s[14:15], 0
	v_cndmask_b32_e64 v2, v7, v2, s[4:5]
	v_lshlrev_b32_e32 v4, 2, v2
	v_xor_b32_e32 v2, 4, v7
	v_cmp_lt_i32_e64 s[4:5], v2, v8
	s_cselect_b64 s[12:13], -1, 0
	s_lshl_b64 s[2:3], s[2:3], 7
	v_cndmask_b32_e64 v2, v7, v2, s[4:5]
	v_lshlrev_b32_e32 v5, 2, v2
	v_xor_b32_e32 v2, 2, v7
	v_cmp_lt_i32_e64 s[4:5], v2, v8
	s_add_u32 s2, s14, s2
	s_addc_u32 s3, s15, s3
	v_cndmask_b32_e64 v2, v7, v2, s[4:5]
	v_lshlrev_b32_e32 v6, 2, v2
	v_xor_b32_e32 v2, 1, v7
	v_cmp_lt_i32_e64 s[4:5], v2, v8
	s_mov_b64 s[8:9], 0
                                        ; implicit-def: $vgpr9
	s_nop 0
	v_cndmask_b32_e64 v2, v7, v2, s[4:5]
	v_lshlrev_b32_e32 v7, 2, v2
	v_lshlrev_b32_e32 v2, 2, v0
	v_add3_u32 v8, v3, v2, 0
	v_mov_b32_e32 v3, v1
	v_lshl_add_u64 v[2:3], s[2:3], 0, v[2:3]
	s_branch .LBB159_86
.LBB159_85:                             ;   in Loop: Header=BB159_86 Depth=1
	s_or_b64 exec, exec, s[2:3]
	v_lshl_add_u64 v[0:1], v[0:1], 0, 8
	v_add_u32_e32 v10, -8, v0
	v_cmp_lt_u32_e64 s[2:3], 23, v10
	v_add_u32_e32 v8, 32, v8
	s_or_b64 s[8:9], s[2:3], s[8:9]
	v_lshl_add_u64 v[2:3], v[2:3], 0, 32
	s_andn2_b64 exec, exec, s[8:9]
	s_cbranch_execz .LBB159_90
.LBB159_86:                             ; =>This Inner Loop Header: Depth=1
	s_and_saveexec_b64 s[2:3], vcc
	s_cbranch_execz .LBB159_88
; %bb.87:                               ;   in Loop: Header=BB159_86 Depth=1
	ds_read_b32 v9, v8
.LBB159_88:                             ;   in Loop: Header=BB159_86 Depth=1
	s_or_b64 exec, exec, s[2:3]
	s_waitcnt lgkmcnt(0)
	ds_bpermute_b32 v10, v4, v9
	s_waitcnt lgkmcnt(0)
	v_add_f32_e32 v9, v9, v10
	ds_bpermute_b32 v10, v5, v9
	s_waitcnt lgkmcnt(0)
	v_add_f32_e32 v9, v9, v10
	;; [unrolled: 3-line block ×3, first 2 shown]
	ds_bpermute_b32 v12, v7, v9
	v_lshl_add_u64 v[10:11], s[6:7], 0, v[0:1]
	v_cmp_le_i64_e64 s[2:3], s[10:11], v[10:11]
	s_or_b64 s[2:3], s[0:1], s[2:3]
	s_or_b64 s[2:3], s[12:13], s[2:3]
	s_waitcnt lgkmcnt(0)
	v_add_f32_e32 v9, v9, v12
	s_xor_b64 s[4:5], s[2:3], -1
	s_and_saveexec_b64 s[2:3], s[4:5]
	s_cbranch_execz .LBB159_85
; %bb.89:                               ;   in Loop: Header=BB159_86 Depth=1
	global_store_dword v[2:3], v9, off
	s_branch .LBB159_85
.LBB159_90:
	s_endpgm
	.section	.rodata,"a",@progbits
	.p2align	6, 0x0
	.amdhsa_kernel _ZN2at6native12_GLOBAL__N_135GammaBetaBackwardCUDAKernelTemplateIffLj32ELj16ELj128ELb0ELb0ELb1EEEvllPKT_S5_PKT0_S8_PS3_S9_
		.amdhsa_group_segment_fixed_size 0
		.amdhsa_private_segment_fixed_size 0
		.amdhsa_kernarg_size 320
		.amdhsa_user_sgpr_count 2
		.amdhsa_user_sgpr_dispatch_ptr 0
		.amdhsa_user_sgpr_queue_ptr 0
		.amdhsa_user_sgpr_kernarg_segment_ptr 1
		.amdhsa_user_sgpr_dispatch_id 0
		.amdhsa_user_sgpr_kernarg_preload_length 0
		.amdhsa_user_sgpr_kernarg_preload_offset 0
		.amdhsa_user_sgpr_private_segment_size 0
		.amdhsa_uses_dynamic_stack 0
		.amdhsa_enable_private_segment 0
		.amdhsa_system_sgpr_workgroup_id_x 1
		.amdhsa_system_sgpr_workgroup_id_y 1
		.amdhsa_system_sgpr_workgroup_id_z 0
		.amdhsa_system_sgpr_workgroup_info 0
		.amdhsa_system_vgpr_workitem_id 1
		.amdhsa_next_free_vgpr 98
		.amdhsa_next_free_sgpr 56
		.amdhsa_accum_offset 100
		.amdhsa_reserve_vcc 1
		.amdhsa_float_round_mode_32 0
		.amdhsa_float_round_mode_16_64 0
		.amdhsa_float_denorm_mode_32 3
		.amdhsa_float_denorm_mode_16_64 3
		.amdhsa_dx10_clamp 1
		.amdhsa_ieee_mode 1
		.amdhsa_fp16_overflow 0
		.amdhsa_tg_split 0
		.amdhsa_exception_fp_ieee_invalid_op 0
		.amdhsa_exception_fp_denorm_src 0
		.amdhsa_exception_fp_ieee_div_zero 0
		.amdhsa_exception_fp_ieee_overflow 0
		.amdhsa_exception_fp_ieee_underflow 0
		.amdhsa_exception_fp_ieee_inexact 0
		.amdhsa_exception_int_div_zero 0
	.end_amdhsa_kernel
	.section	.text._ZN2at6native12_GLOBAL__N_135GammaBetaBackwardCUDAKernelTemplateIffLj32ELj16ELj128ELb0ELb0ELb1EEEvllPKT_S5_PKT0_S8_PS3_S9_,"axG",@progbits,_ZN2at6native12_GLOBAL__N_135GammaBetaBackwardCUDAKernelTemplateIffLj32ELj16ELj128ELb0ELb0ELb1EEEvllPKT_S5_PKT0_S8_PS3_S9_,comdat
.Lfunc_end159:
	.size	_ZN2at6native12_GLOBAL__N_135GammaBetaBackwardCUDAKernelTemplateIffLj32ELj16ELj128ELb0ELb0ELb1EEEvllPKT_S5_PKT0_S8_PS3_S9_, .Lfunc_end159-_ZN2at6native12_GLOBAL__N_135GammaBetaBackwardCUDAKernelTemplateIffLj32ELj16ELj128ELb0ELb0ELb1EEEvllPKT_S5_PKT0_S8_PS3_S9_
                                        ; -- End function
	.section	.AMDGPU.csdata,"",@progbits
; Kernel info:
; codeLenInByte = 6172
; NumSgprs: 62
; NumVgprs: 98
; NumAgprs: 0
; TotalNumVgprs: 98
; ScratchSize: 0
; MemoryBound: 0
; FloatMode: 240
; IeeeMode: 1
; LDSByteSize: 0 bytes/workgroup (compile time only)
; SGPRBlocks: 7
; VGPRBlocks: 12
; NumSGPRsForWavesPerEU: 62
; NumVGPRsForWavesPerEU: 98
; AccumOffset: 100
; Occupancy: 4
; WaveLimiterHint : 0
; COMPUTE_PGM_RSRC2:SCRATCH_EN: 0
; COMPUTE_PGM_RSRC2:USER_SGPR: 2
; COMPUTE_PGM_RSRC2:TRAP_HANDLER: 0
; COMPUTE_PGM_RSRC2:TGID_X_EN: 1
; COMPUTE_PGM_RSRC2:TGID_Y_EN: 1
; COMPUTE_PGM_RSRC2:TGID_Z_EN: 0
; COMPUTE_PGM_RSRC2:TIDIG_COMP_CNT: 1
; COMPUTE_PGM_RSRC3_GFX90A:ACCUM_OFFSET: 24
; COMPUTE_PGM_RSRC3_GFX90A:TG_SPLIT: 0
	.section	.text._ZN2at6native12_GLOBAL__N_135GammaBetaBackwardCUDAKernelTemplateIffLj32ELj32ELj256ELb0ELb1ELb1EEEvllPKT_S5_PKT0_S8_PS3_S9_,"axG",@progbits,_ZN2at6native12_GLOBAL__N_135GammaBetaBackwardCUDAKernelTemplateIffLj32ELj32ELj256ELb0ELb1ELb1EEEvllPKT_S5_PKT0_S8_PS3_S9_,comdat
	.globl	_ZN2at6native12_GLOBAL__N_135GammaBetaBackwardCUDAKernelTemplateIffLj32ELj32ELj256ELb0ELb1ELb1EEEvllPKT_S5_PKT0_S8_PS3_S9_ ; -- Begin function _ZN2at6native12_GLOBAL__N_135GammaBetaBackwardCUDAKernelTemplateIffLj32ELj32ELj256ELb0ELb1ELb1EEEvllPKT_S5_PKT0_S8_PS3_S9_
	.p2align	8
	.type	_ZN2at6native12_GLOBAL__N_135GammaBetaBackwardCUDAKernelTemplateIffLj32ELj32ELj256ELb0ELb1ELb1EEEvllPKT_S5_PKT0_S8_PS3_S9_,@function
_ZN2at6native12_GLOBAL__N_135GammaBetaBackwardCUDAKernelTemplateIffLj32ELj32ELj256ELb0ELb1ELb1EEEvllPKT_S5_PKT0_S8_PS3_S9_: ; @_ZN2at6native12_GLOBAL__N_135GammaBetaBackwardCUDAKernelTemplateIffLj32ELj32ELj256ELb0ELb1ELb1EEEvllPKT_S5_PKT0_S8_PS3_S9_
; %bb.0:
	s_load_dwordx4 s[4:7], s[0:1], 0x0
	s_lshl_b32 s14, s3, 8
	s_mov_b32 s15, 0
	v_bfe_u32 v12, v0, 10, 10
	s_waitcnt lgkmcnt(0)
	v_mov_b64_e32 v[2:3], s[4:5]
	v_cmp_lt_i64_e32 vcc, s[14:15], v[2:3]
	s_cbranch_vccnz .LBB160_2
; %bb.1:
	s_mov_b64 s[8:9], 0
	v_bfe_u32 v2, v0, 10, 10
	s_branch .LBB160_3
.LBB160_2:
	s_mov_b64 s[8:9], -1
                                        ; implicit-def: $vgpr2
.LBB160_3:
	s_load_dwordx2 s[12:13], s[0:1], 0x30
	v_and_b32_e32 v10, 0x3ff, v0
	s_andn2_b64 vcc, exec, s[8:9]
	v_mov_b32_e32 v1, s15
	v_mbcnt_lo_u32_b32 v11, -1, 0
	s_cbranch_vccnz .LBB160_11
; %bb.4:
	s_load_dword s3, s[0:1], 0x4c
	s_load_dword s16, s[0:1], 0x44
	s_load_dwordx2 s[18:19], s[0:1], 0x28
	s_load_dwordx4 s[8:11], s[0:1], 0x10
	v_lshlrev_b32_e32 v0, 3, v12
	s_waitcnt lgkmcnt(0)
	s_and_b32 s0, s3, 0xffff
	v_mad_u32_u24 v1, v12, s0, v10
	v_and_b32_e32 v2, 63, v1
	v_mov_b32_e32 v1, 0
	v_mov_b32_e32 v3, v1
	v_lshl_add_u64 v[8:9], v[0:1], 0, s[14:15]
	v_cmp_gt_u32_e64 s[0:1], 8, v2
	v_mbcnt_hi_u32_b32 v4, -1, v11
	s_lshl_b32 s16, s16, 8
	v_lshl_add_u64 v[2:3], v[8:9], 0, v[2:3]
	v_mul_lo_u32 v0, s7, v8
	v_mul_lo_u32 v21, s6, v9
	v_mad_u64_u32 v[8:9], s[20:21], s6, v8, 0
	v_lshl_add_u32 v6, s2, 5, v10
	v_mov_b32_e32 v7, v1
	v_lshlrev_b32_e32 v4, 2, v4
	s_mul_i32 s3, s7, s16
	s_mul_hi_u32 s20, s6, s16
	s_mov_b32 s17, 0
	v_and_b32_e32 v13, 0x100, v4
	v_add3_u32 v9, v9, v21, v0
	v_lshlrev_b64 v[6:7], 2, v[6:7]
	s_add_i32 s21, s20, s3
	s_mul_i32 s20, s6, s16
	v_or_b32_e32 v14, 4, v13
	v_or_b32_e32 v15, 8, v13
	;; [unrolled: 1-line block ×7, first 2 shown]
	v_lshl_add_u64 v[4:5], v[2:3], 2, s[18:19]
	s_lshl_b64 s[18:19], s[16:17], 2
	v_lshl_add_u64 v[6:7], v[8:9], 2, v[6:7]
	s_lshl_b64 s[20:21], s[20:21], 2
	s_lshl_b64 s[6:7], s[6:7], 2
	v_mov_b64_e32 v[8:9], s[4:5]
	s_branch .LBB160_7
.LBB160_5:                              ;   in Loop: Header=BB160_7 Depth=1
	s_or_b64 exec, exec, s[24:25]
.LBB160_6:                              ;   in Loop: Header=BB160_7 Depth=1
	s_or_b64 exec, exec, s[22:23]
	v_lshl_add_u64 v[22:23], s[8:9], 0, v[6:7]
	global_load_dword v24, v[22:23], off
	v_lshl_add_u64 v[26:27], s[10:11], 0, v[6:7]
	v_lshl_add_u64 v[22:23], v[22:23], 0, s[6:7]
	global_load_dword v28, v[26:27], off
	global_load_dword v25, v[22:23], off
	v_lshl_add_u64 v[26:27], v[26:27], 0, s[6:7]
	v_lshl_add_u64 v[22:23], v[22:23], 0, s[6:7]
	global_load_dword v29, v[26:27], off
	;; [unrolled: 4-line block ×7, first 2 shown]
	v_lshl_add_u64 v[22:23], v[26:27], 0, s[6:7]
	global_load_dword v40, v[26:27], off
	global_load_dword v41, v[22:23], off
	s_waitcnt vmcnt(16)
	ds_bpermute_b32 v22, v13, v0
	ds_bpermute_b32 v23, v14, v0
	;; [unrolled: 1-line block ×8, first 2 shown]
	s_add_u32 s14, s14, s16
	s_addc_u32 s15, s15, 0
	v_cmp_lt_i64_e32 vcc, s[14:15], v[8:9]
	v_lshl_add_u64 v[4:5], v[4:5], 0, s[18:19]
	v_lshl_add_u64 v[2:3], v[2:3], 0, s[16:17]
	;; [unrolled: 1-line block ×3, first 2 shown]
	s_and_b64 vcc, exec, vcc
	s_waitcnt vmcnt(12)
	v_pk_mul_f32 v[24:25], v[24:25], v[28:29]
	s_waitcnt lgkmcnt(6)
	v_pk_mul_f32 v[22:23], v[24:25], v[22:23]
	s_nop 0
	v_add_f32_e32 v21, v1, v22
	v_add_f32_e32 v21, v21, v23
	s_waitcnt vmcnt(8)
	v_pk_mul_f32 v[0:1], v[30:31], v[32:33]
	s_waitcnt lgkmcnt(4)
	v_pk_mul_f32 v[0:1], v[0:1], v[26:27]
	s_waitcnt vmcnt(4)
	v_pk_mul_f32 v[22:23], v[34:35], v[36:37]
	v_add_f32_e32 v0, v21, v0
	v_add_f32_e32 v21, v0, v1
	s_waitcnt lgkmcnt(2)
	v_pk_mul_f32 v[0:1], v[22:23], v[42:43]
	s_waitcnt vmcnt(0)
	v_pk_mul_f32 v[22:23], v[38:39], v[40:41]
	v_add_f32_e32 v0, v21, v0
	v_add_f32_e32 v21, v0, v1
	s_waitcnt lgkmcnt(0)
	v_pk_mul_f32 v[0:1], v[22:23], v[44:45]
	s_nop 0
	v_add_f32_e32 v0, v21, v0
	v_add_f32_e32 v1, v0, v1
	s_cbranch_vccz .LBB160_10
.LBB160_7:                              ; =>This Inner Loop Header: Depth=1
	v_mov_b32_e32 v0, 0
	s_and_saveexec_b64 s[22:23], s[0:1]
	s_cbranch_execz .LBB160_6
; %bb.8:                                ;   in Loop: Header=BB160_7 Depth=1
	v_cmp_gt_i64_e32 vcc, s[4:5], v[2:3]
	v_mov_b32_e32 v0, 0
	s_and_saveexec_b64 s[24:25], vcc
	s_cbranch_execz .LBB160_5
; %bb.9:                                ;   in Loop: Header=BB160_7 Depth=1
	global_load_dword v0, v[4:5], off
	s_branch .LBB160_5
.LBB160_10:
	v_mov_b32_e32 v2, v12
.LBB160_11:
	v_mad_u32_u24 v0, v2, 33, v10
	v_lshl_add_u32 v3, v0, 2, 0
	v_sub_u32_e32 v0, v0, v2
	s_movk_i32 s0, 0x800
	s_mov_b32 s3, 0
	ds_write_b32 v3, v1
	v_mov_b32_e32 v1, 0
	v_cmp_gt_u32_e32 vcc, s0, v0
	ds_write_b32 v3, v1 offset:4224
	s_waitcnt lgkmcnt(0)
	s_barrier
	s_and_saveexec_b64 s[0:1], vcc
	s_cbranch_execz .LBB160_18
; %bb.12:
	v_mbcnt_hi_u32_b32 v6, -1, v11
	v_lshrrev_b32_e32 v8, 6, v0
	v_and_b32_e32 v0, 63, v0
	v_and_b32_e32 v2, 64, v6
	s_cmp_lg_u64 s[12:13], 0
	v_cmp_gt_u32_e32 vcc, 32, v0
	v_add_u32_e32 v7, 64, v2
	v_cmp_eq_u32_e64 s[0:1], 0, v10
	s_cselect_b64 s[6:7], -1, 0
	v_mul_u32_u24_e32 v9, 0x84, v0
	v_xor_b32_e32 v0, 16, v6
	s_and_b64 s[6:7], s[0:1], s[6:7]
	v_cmp_lt_i32_e64 s[0:1], v0, v7
	s_mov_b64 s[4:5], 0
	s_nop 0
	v_cndmask_b32_e64 v0, v6, v0, s[0:1]
	v_lshlrev_b32_e32 v2, 2, v0
	v_xor_b32_e32 v0, 8, v6
	v_cmp_lt_i32_e64 s[0:1], v0, v7
	s_nop 1
	v_cndmask_b32_e64 v0, v6, v0, s[0:1]
	v_lshlrev_b32_e32 v3, 2, v0
	v_xor_b32_e32 v0, 4, v6
	v_cmp_lt_i32_e64 s[0:1], v0, v7
	;; [unrolled: 5-line block ×4, first 2 shown]
	s_nop 1
	v_cndmask_b32_e64 v0, v6, v0, s[0:1]
	s_lshl_b64 s[0:1], s[2:3], 7
	s_add_u32 s0, s12, s0
	v_lshlrev_b32_e32 v6, 2, v0
	v_lshlrev_b32_e32 v0, 2, v8
	s_addc_u32 s1, s13, s1
	v_add3_u32 v7, v9, v0, 0
	v_add_u32_e32 v8, -16, v8
	v_lshl_add_u64 v[0:1], s[0:1], 0, v[0:1]
                                        ; implicit-def: $vgpr9
	s_branch .LBB160_14
.LBB160_13:                             ;   in Loop: Header=BB160_14 Depth=1
	s_or_b64 exec, exec, s[0:1]
	v_add_co_u32_e64 v8, s[0:1], 16, v8
	s_xor_b64 s[0:1], s[0:1], -1
	s_and_b64 s[0:1], exec, s[0:1]
	v_add_u32_e32 v7, 64, v7
	s_or_b64 s[4:5], s[0:1], s[4:5]
	v_lshl_add_u64 v[0:1], v[0:1], 0, 64
	s_andn2_b64 exec, exec, s[4:5]
	s_cbranch_execz .LBB160_18
.LBB160_14:                             ; =>This Inner Loop Header: Depth=1
	s_and_saveexec_b64 s[0:1], vcc
	s_cbranch_execz .LBB160_16
; %bb.15:                               ;   in Loop: Header=BB160_14 Depth=1
	ds_read_b32 v9, v7
.LBB160_16:                             ;   in Loop: Header=BB160_14 Depth=1
	s_or_b64 exec, exec, s[0:1]
	s_waitcnt lgkmcnt(0)
	ds_bpermute_b32 v10, v2, v9
	s_waitcnt lgkmcnt(0)
	v_add_f32_e32 v9, v9, v10
	ds_bpermute_b32 v10, v3, v9
	s_waitcnt lgkmcnt(0)
	v_add_f32_e32 v9, v9, v10
	;; [unrolled: 3-line block ×5, first 2 shown]
	s_and_saveexec_b64 s[0:1], s[6:7]
	s_cbranch_execz .LBB160_13
; %bb.17:                               ;   in Loop: Header=BB160_14 Depth=1
	global_store_dword v[0:1], v9, off
	s_branch .LBB160_13
.LBB160_18:
	s_endpgm
	.section	.rodata,"a",@progbits
	.p2align	6, 0x0
	.amdhsa_kernel _ZN2at6native12_GLOBAL__N_135GammaBetaBackwardCUDAKernelTemplateIffLj32ELj32ELj256ELb0ELb1ELb1EEEvllPKT_S5_PKT0_S8_PS3_S9_
		.amdhsa_group_segment_fixed_size 0
		.amdhsa_private_segment_fixed_size 0
		.amdhsa_kernarg_size 320
		.amdhsa_user_sgpr_count 2
		.amdhsa_user_sgpr_dispatch_ptr 0
		.amdhsa_user_sgpr_queue_ptr 0
		.amdhsa_user_sgpr_kernarg_segment_ptr 1
		.amdhsa_user_sgpr_dispatch_id 0
		.amdhsa_user_sgpr_kernarg_preload_length 0
		.amdhsa_user_sgpr_kernarg_preload_offset 0
		.amdhsa_user_sgpr_private_segment_size 0
		.amdhsa_uses_dynamic_stack 0
		.amdhsa_enable_private_segment 0
		.amdhsa_system_sgpr_workgroup_id_x 1
		.amdhsa_system_sgpr_workgroup_id_y 1
		.amdhsa_system_sgpr_workgroup_id_z 0
		.amdhsa_system_sgpr_workgroup_info 0
		.amdhsa_system_vgpr_workitem_id 1
		.amdhsa_next_free_vgpr 46
		.amdhsa_next_free_sgpr 26
		.amdhsa_accum_offset 48
		.amdhsa_reserve_vcc 1
		.amdhsa_float_round_mode_32 0
		.amdhsa_float_round_mode_16_64 0
		.amdhsa_float_denorm_mode_32 3
		.amdhsa_float_denorm_mode_16_64 3
		.amdhsa_dx10_clamp 1
		.amdhsa_ieee_mode 1
		.amdhsa_fp16_overflow 0
		.amdhsa_tg_split 0
		.amdhsa_exception_fp_ieee_invalid_op 0
		.amdhsa_exception_fp_denorm_src 0
		.amdhsa_exception_fp_ieee_div_zero 0
		.amdhsa_exception_fp_ieee_overflow 0
		.amdhsa_exception_fp_ieee_underflow 0
		.amdhsa_exception_fp_ieee_inexact 0
		.amdhsa_exception_int_div_zero 0
	.end_amdhsa_kernel
	.section	.text._ZN2at6native12_GLOBAL__N_135GammaBetaBackwardCUDAKernelTemplateIffLj32ELj32ELj256ELb0ELb1ELb1EEEvllPKT_S5_PKT0_S8_PS3_S9_,"axG",@progbits,_ZN2at6native12_GLOBAL__N_135GammaBetaBackwardCUDAKernelTemplateIffLj32ELj32ELj256ELb0ELb1ELb1EEEvllPKT_S5_PKT0_S8_PS3_S9_,comdat
.Lfunc_end160:
	.size	_ZN2at6native12_GLOBAL__N_135GammaBetaBackwardCUDAKernelTemplateIffLj32ELj32ELj256ELb0ELb1ELb1EEEvllPKT_S5_PKT0_S8_PS3_S9_, .Lfunc_end160-_ZN2at6native12_GLOBAL__N_135GammaBetaBackwardCUDAKernelTemplateIffLj32ELj32ELj256ELb0ELb1ELb1EEEvllPKT_S5_PKT0_S8_PS3_S9_
                                        ; -- End function
	.section	.AMDGPU.csdata,"",@progbits
; Kernel info:
; codeLenInByte = 1384
; NumSgprs: 32
; NumVgprs: 46
; NumAgprs: 0
; TotalNumVgprs: 46
; ScratchSize: 0
; MemoryBound: 0
; FloatMode: 240
; IeeeMode: 1
; LDSByteSize: 0 bytes/workgroup (compile time only)
; SGPRBlocks: 3
; VGPRBlocks: 5
; NumSGPRsForWavesPerEU: 32
; NumVGPRsForWavesPerEU: 46
; AccumOffset: 48
; Occupancy: 8
; WaveLimiterHint : 0
; COMPUTE_PGM_RSRC2:SCRATCH_EN: 0
; COMPUTE_PGM_RSRC2:USER_SGPR: 2
; COMPUTE_PGM_RSRC2:TRAP_HANDLER: 0
; COMPUTE_PGM_RSRC2:TGID_X_EN: 1
; COMPUTE_PGM_RSRC2:TGID_Y_EN: 1
; COMPUTE_PGM_RSRC2:TGID_Z_EN: 0
; COMPUTE_PGM_RSRC2:TIDIG_COMP_CNT: 1
; COMPUTE_PGM_RSRC3_GFX90A:ACCUM_OFFSET: 11
; COMPUTE_PGM_RSRC3_GFX90A:TG_SPLIT: 0
	.section	.text._ZN2at6native12_GLOBAL__N_135GammaBetaBackwardCUDAKernelTemplateIffLj32ELj32ELj256ELb0ELb0ELb1EEEvllPKT_S5_PKT0_S8_PS3_S9_,"axG",@progbits,_ZN2at6native12_GLOBAL__N_135GammaBetaBackwardCUDAKernelTemplateIffLj32ELj32ELj256ELb0ELb0ELb1EEEvllPKT_S5_PKT0_S8_PS3_S9_,comdat
	.globl	_ZN2at6native12_GLOBAL__N_135GammaBetaBackwardCUDAKernelTemplateIffLj32ELj32ELj256ELb0ELb0ELb1EEEvllPKT_S5_PKT0_S8_PS3_S9_ ; -- Begin function _ZN2at6native12_GLOBAL__N_135GammaBetaBackwardCUDAKernelTemplateIffLj32ELj32ELj256ELb0ELb0ELb1EEEvllPKT_S5_PKT0_S8_PS3_S9_
	.p2align	8
	.type	_ZN2at6native12_GLOBAL__N_135GammaBetaBackwardCUDAKernelTemplateIffLj32ELj32ELj256ELb0ELb0ELb1EEEvllPKT_S5_PKT0_S8_PS3_S9_,@function
_ZN2at6native12_GLOBAL__N_135GammaBetaBackwardCUDAKernelTemplateIffLj32ELj32ELj256ELb0ELb0ELb1EEEvllPKT_S5_PKT0_S8_PS3_S9_: ; @_ZN2at6native12_GLOBAL__N_135GammaBetaBackwardCUDAKernelTemplateIffLj32ELj32ELj256ELb0ELb0ELb1EEEvllPKT_S5_PKT0_S8_PS3_S9_
; %bb.0:
	s_load_dwordx8 s[8:15], s[0:1], 0x0
	s_load_dwordx2 s[24:25], s[0:1], 0x28
	s_lshl_b32 s33, s2, 5
	s_or_b32 s26, s33, 31
	s_mov_b32 s27, 0
	s_waitcnt lgkmcnt(0)
	v_mov_b64_e32 v[2:3], s[10:11]
	v_cmp_ge_i64_e32 vcc, s[26:27], v[2:3]
	s_lshl_b32 s26, s3, 8
	v_mov_b64_e32 v[2:3], s[8:9]
	v_cmp_lt_i64_e64 s[4:5], s[26:27], v[2:3]
	s_nop 1
	v_cndmask_b32_e64 v1, 0, 1, s[4:5]
	v_cmp_ne_u32_e64 s[4:5], 1, v1
	s_cbranch_vccz .LBB161_49
; %bb.1:
	s_and_b64 vcc, exec, s[4:5]
	v_mov_b32_e32 v2, 0
	s_cbranch_vccnz .LBB161_50
; %bb.2:
	v_mov_b32_e32 v3, 0
	v_bfe_u32 v64, v0, 10, 10
	s_load_dword s3, s[0:1], 0x44
	v_lshlrev_b32_e32 v26, 3, v64
	v_mov_b32_e32 v27, v3
	v_and_b32_e32 v1, 0x3ff, v0
	v_lshl_add_u64 v[4:5], v[26:27], 0, s[26:27]
	v_add_u32_e32 v2, s33, v1
	v_lshl_add_u64 v[6:7], v[4:5], 0, 7
	s_add_u32 s28, s0, 64
	v_cmp_gt_i64_e64 s[6:7], s[10:11], v[2:3]
	v_lshlrev_b64 v[28:29], 2, v[2:3]
	v_mul_lo_u32 v2, s11, v6
	v_mul_lo_u32 v8, s10, v7
	v_mad_u64_u32 v[6:7], s[18:19], s10, v6, 0
	s_addc_u32 s29, s1, 0
	s_waitcnt lgkmcnt(0)
	s_lshl_b32 s3, s3, 8
	v_add3_u32 v7, v7, v8, v2
	v_lshlrev_b64 v[6:7], 2, v[6:7]
	s_mul_i32 s17, s11, s3
	s_mul_hi_u32 s18, s10, s3
	v_lshl_add_u64 v[30:31], s[12:13], 0, v[6:7]
	s_add_i32 s19, s18, s17
	s_mul_i32 s18, s10, s3
	v_lshl_add_u64 v[32:33], s[14:15], 0, v[6:7]
	v_lshl_add_u64 v[6:7], v[4:5], 0, 6
	s_lshl_b64 s[30:31], s[18:19], 2
	v_mul_lo_u32 v2, s11, v6
	v_mul_lo_u32 v8, s10, v7
	v_mad_u64_u32 v[6:7], s[18:19], s10, v6, 0
	v_add3_u32 v7, v7, v8, v2
	v_lshlrev_b64 v[6:7], 2, v[6:7]
	v_lshl_add_u64 v[34:35], s[12:13], 0, v[6:7]
	v_lshl_add_u64 v[36:37], s[14:15], 0, v[6:7]
	v_lshl_add_u64 v[6:7], v[4:5], 0, 5
	v_mul_lo_u32 v2, s11, v6
	v_mul_lo_u32 v8, s10, v7
	v_mad_u64_u32 v[6:7], s[18:19], s10, v6, 0
	v_add3_u32 v7, v7, v8, v2
	v_lshlrev_b64 v[6:7], 2, v[6:7]
	v_lshl_add_u64 v[38:39], s[12:13], 0, v[6:7]
	v_lshl_add_u64 v[40:41], s[14:15], 0, v[6:7]
	v_lshl_add_u64 v[6:7], v[4:5], 0, 4
	;; [unrolled: 8-line block ×4, first 2 shown]
	v_mul_lo_u32 v2, s11, v6
	v_mul_lo_u32 v8, s10, v7
	v_mad_u64_u32 v[6:7], s[18:19], s10, v6, 0
	v_add3_u32 v7, v7, v8, v2
	v_lshlrev_b64 v[6:7], 2, v[6:7]
	v_lshl_add_u64 v[50:51], s[12:13], 0, v[6:7]
	v_lshl_add_u64 v[52:53], s[14:15], 0, v[6:7]
	v_mov_b64_e32 v[6:7], s[10:11]
	v_mad_u64_u32 v[6:7], s[18:19], s10, v4, v[6:7]
	v_mul_lo_u32 v2, s10, v5
	v_mul_lo_u32 v8, s11, v4
	v_mad_u64_u32 v[4:5], s[18:19], s10, v4, 0
	v_add3_u32 v7, v8, v7, v2
	v_add3_u32 v5, v5, v2, v8
	v_mbcnt_lo_u32_b32 v2, -1, 0
	v_mbcnt_hi_u32_b32 v2, -1, v2
	v_lshlrev_b64 v[6:7], 2, v[6:7]
	s_add_u32 s34, s26, 0xff
	v_lshlrev_b64 v[4:5], 2, v[4:5]
	s_movk_i32 s36, 0xff01
	s_movk_i32 s38, 0xff02
	s_movk_i32 s40, 0xff03
	s_movk_i32 s42, 0xff04
	s_movk_i32 s44, 0xff05
	s_movk_i32 s46, 0xff06
	s_movk_i32 s48, 0xff07
	s_movk_i32 s50, 0xff08
	v_lshlrev_b32_e32 v2, 2, v2
	s_mov_b32 s16, 0
	v_lshl_add_u64 v[54:55], s[12:13], 0, v[6:7]
	v_lshl_add_u64 v[56:57], s[14:15], 0, v[6:7]
	s_addc_u32 s35, 0, 0
	v_lshl_add_u64 v[58:59], s[12:13], 0, v[4:5]
	v_lshl_add_u64 v[60:61], s[14:15], 0, v[4:5]
	s_mov_b32 s37, -1
	s_mov_b32 s39, -1
	;; [unrolled: 1-line block ×8, first 2 shown]
	v_and_b32_e32 v65, 0x100, v2
	s_mov_b64 s[52:53], s[26:27]
	v_mov_b32_e32 v66, 0
.LBB161_3:                              ; =>This Inner Loop Header: Depth=1
	v_mov_b64_e32 v[4:5], s[8:9]
	v_cmp_ge_i64_e32 vcc, s[34:35], v[4:5]
	v_lshl_add_u64 v[62:63], v[26:27], 0, s[34:35]
	s_cbranch_vccz .LBB161_25
; %bb.4:                                ;   in Loop: Header=BB161_3 Depth=1
	s_load_dword s17, s[28:29], 0xc
	v_mov_b32_e32 v67, 0
	s_waitcnt lgkmcnt(0)
	s_and_b32 s17, s17, 0xffff
	v_mad_u32_u24 v2, v64, s17, v1
	v_and_b32_e32 v2, 63, v2
	v_cmp_gt_u32_e32 vcc, 8, v2
	s_and_saveexec_b64 s[18:19], vcc
	s_cbranch_execz .LBB161_8
; %bb.5:                                ;   in Loop: Header=BB161_3 Depth=1
	v_lshl_add_u64 v[4:5], v[62:63], 0, v[2:3]
	v_lshl_add_u64 v[4:5], v[4:5], 0, s[36:37]
	v_cmp_gt_i64_e32 vcc, s[8:9], v[4:5]
	v_mov_b32_e32 v67, 0
	s_and_saveexec_b64 s[20:21], vcc
	s_cbranch_execz .LBB161_7
; %bb.6:                                ;   in Loop: Header=BB161_3 Depth=1
	v_lshl_add_u64 v[4:5], v[4:5], 2, s[24:25]
	global_load_dword v67, v[4:5], off
.LBB161_7:                              ;   in Loop: Header=BB161_3 Depth=1
	s_or_b64 exec, exec, s[20:21]
.LBB161_8:                              ;   in Loop: Header=BB161_3 Depth=1
	s_or_b64 exec, exec, s[18:19]
	s_mov_b32 s17, s16
	s_mov_b32 s18, s16
	;; [unrolled: 1-line block ×7, first 2 shown]
	v_mov_b64_e32 v[10:11], s[16:17]
	v_lshl_add_u64 v[4:5], v[62:63], 0, s[36:37]
	v_mov_b64_e32 v[16:17], s[22:23]
	v_cmp_gt_i64_e32 vcc, s[8:9], v[4:5]
	v_mov_b64_e32 v[12:13], s[18:19]
	v_mov_b64_e32 v[14:15], s[20:21]
	;; [unrolled: 1-line block ×3, first 2 shown]
	s_and_b64 s[54:55], s[6:7], vcc
	v_mov_b64_e32 v[22:23], v[14:15]
	v_mov_b64_e32 v[20:21], v[12:13]
	;; [unrolled: 1-line block ×3, first 2 shown]
	s_and_saveexec_b64 s[18:19], s[54:55]
	s_cbranch_execz .LBB161_10
; %bb.9:                                ;   in Loop: Header=BB161_3 Depth=1
	v_lshl_add_u64 v[4:5], v[58:59], 0, v[28:29]
	global_load_dword v2, v[4:5], off
	v_lshl_add_u64 v[4:5], v[60:61], 0, v[28:29]
	global_load_dword v10, v[4:5], off
	v_mov_b32_e32 v8, v3
	v_mov_b32_e32 v9, v3
	;; [unrolled: 1-line block ×6, first 2 shown]
	s_waitcnt vmcnt(1)
	v_mov_b64_e32 v[24:25], v[8:9]
	v_mov_b32_e32 v11, v3
	v_mov_b32_e32 v12, v3
	;; [unrolled: 1-line block ×7, first 2 shown]
	v_mov_b64_e32 v[22:23], v[6:7]
	v_mov_b64_e32 v[20:21], v[4:5]
	;; [unrolled: 1-line block ×3, first 2 shown]
.LBB161_10:                             ;   in Loop: Header=BB161_3 Depth=1
	s_or_b64 exec, exec, s[18:19]
	v_lshl_add_u64 v[4:5], v[62:63], 0, s[38:39]
	v_cmp_gt_i64_e32 vcc, s[8:9], v[4:5]
	s_and_b64 s[20:21], s[6:7], vcc
	s_and_saveexec_b64 s[18:19], s[20:21]
	s_cbranch_execz .LBB161_12
; %bb.11:                               ;   in Loop: Header=BB161_3 Depth=1
	v_lshl_add_u64 v[4:5], v[54:55], 0, v[28:29]
	global_load_dword v19, v[4:5], off
	v_lshl_add_u64 v[4:5], v[56:57], 0, v[28:29]
	global_load_dword v11, v[4:5], off
.LBB161_12:                             ;   in Loop: Header=BB161_3 Depth=1
	s_or_b64 exec, exec, s[18:19]
	v_lshl_add_u64 v[4:5], v[62:63], 0, s[40:41]
	v_cmp_gt_i64_e32 vcc, s[8:9], v[4:5]
	s_and_b64 s[20:21], s[6:7], vcc
	s_and_saveexec_b64 s[18:19], s[20:21]
	s_cbranch_execz .LBB161_14
; %bb.13:                               ;   in Loop: Header=BB161_3 Depth=1
	v_lshl_add_u64 v[4:5], v[50:51], 0, v[28:29]
	global_load_dword v20, v[4:5], off
	v_lshl_add_u64 v[4:5], v[52:53], 0, v[28:29]
	global_load_dword v12, v[4:5], off
.LBB161_14:                             ;   in Loop: Header=BB161_3 Depth=1
	;; [unrolled: 12-line block ×7, first 2 shown]
	s_or_b64 exec, exec, s[18:19]
	s_waitcnt vmcnt(0)
	ds_bpermute_b32 v4, v65, v67 offset:4
	ds_bpermute_b32 v5, v65, v67 offset:8
	ds_bpermute_b32 v2, v65, v67
	v_mul_f32_e32 v8, v10, v18
	v_pk_mul_f32 v[10:11], v[10:11], v[18:19]
	v_pk_mul_f32 v[12:13], v[12:13], v[20:21]
	v_mov_b32_e32 v10, v11
	v_mov_b32_e32 v11, v12
	s_waitcnt lgkmcnt(1)
	v_pk_mul_f32 v[4:5], v[10:11], v[4:5]
	ds_bpermute_b32 v10, v65, v67 offset:12
	ds_bpermute_b32 v11, v65, v67 offset:16
	s_waitcnt lgkmcnt(2)
	v_fma_f32 v2, v8, v2, v66
	v_pk_mul_f32 v[8:9], v[14:15], v[22:23]
	v_add_f32_e32 v2, v2, v4
	v_add_f32_e32 v2, v2, v5
	v_mov_b32_e32 v4, v13
	v_mov_b32_e32 v5, v8
	s_waitcnt lgkmcnt(0)
	v_pk_mul_f32 v[4:5], v[4:5], v[10:11]
	ds_bpermute_b32 v10, v65, v67 offset:20
	ds_bpermute_b32 v11, v65, v67 offset:24
	v_pk_mul_f32 v[6:7], v[16:17], v[24:25]
	v_add_f32_e32 v2, v2, v4
	ds_bpermute_b32 v4, v65, v67 offset:28
	v_mov_b32_e32 v8, v9
	v_mov_b32_e32 v9, v6
	v_add_f32_e32 v2, v2, v5
	s_waitcnt lgkmcnt(1)
	v_pk_mul_f32 v[6:7], v[8:9], v[10:11]
	s_nop 0
	v_add_f32_e32 v2, v2, v6
	v_add_f32_e32 v2, v2, v7
	s_branch .LBB161_40
.LBB161_25:                             ;   in Loop: Header=BB161_3 Depth=1
                                        ; implicit-def: $vgpr2
                                        ; implicit-def: $vgpr10_vgpr11_vgpr12_vgpr13_vgpr14_vgpr15_vgpr16_vgpr17
                                        ; implicit-def: $vgpr18_vgpr19_vgpr20_vgpr21_vgpr22_vgpr23_vgpr24_vgpr25
                                        ; implicit-def: $vgpr4
	s_cbranch_execz .LBB161_40
; %bb.26:                               ;   in Loop: Header=BB161_3 Depth=1
	s_load_dword s17, s[28:29], 0x0
	v_mov_b32_e32 v67, 0
	s_waitcnt lgkmcnt(0)
	s_cmp_lt_u32 s2, s17
	s_cselect_b32 s17, 12, 18
	s_add_u32 s18, s28, s17
	s_addc_u32 s19, s29, 0
	global_load_ushort v2, v3, s[18:19]
	s_waitcnt vmcnt(0)
	v_mad_u32_u24 v2, v64, v2, v1
	v_and_b32_e32 v2, 63, v2
	v_cmp_gt_u32_e32 vcc, 8, v2
	s_and_saveexec_b64 s[18:19], vcc
	s_cbranch_execz .LBB161_30
; %bb.27:                               ;   in Loop: Header=BB161_3 Depth=1
	v_lshl_add_u64 v[4:5], v[62:63], 0, v[2:3]
	v_lshl_add_u64 v[4:5], v[4:5], 0, s[36:37]
	v_cmp_gt_i64_e32 vcc, s[8:9], v[4:5]
	v_mov_b32_e32 v67, 0
	s_and_saveexec_b64 s[20:21], vcc
	s_cbranch_execz .LBB161_29
; %bb.28:                               ;   in Loop: Header=BB161_3 Depth=1
	v_lshl_add_u64 v[4:5], v[4:5], 2, s[24:25]
	global_load_dword v67, v[4:5], off
.LBB161_29:                             ;   in Loop: Header=BB161_3 Depth=1
	s_or_b64 exec, exec, s[20:21]
.LBB161_30:                             ;   in Loop: Header=BB161_3 Depth=1
	s_or_b64 exec, exec, s[18:19]
	s_mov_b32 s17, s16
	s_mov_b32 s18, s16
	;; [unrolled: 1-line block ×7, first 2 shown]
	v_mov_b64_e32 v[10:11], s[16:17]
	v_mov_b64_e32 v[16:17], s[22:23]
	;; [unrolled: 1-line block ×8, first 2 shown]
	s_and_saveexec_b64 s[18:19], s[6:7]
	s_cbranch_execnz .LBB161_42
; %bb.31:                               ;   in Loop: Header=BB161_3 Depth=1
	s_or_b64 exec, exec, s[18:19]
	s_and_saveexec_b64 s[18:19], s[6:7]
	s_cbranch_execnz .LBB161_43
.LBB161_32:                             ;   in Loop: Header=BB161_3 Depth=1
	s_or_b64 exec, exec, s[18:19]
	s_and_saveexec_b64 s[18:19], s[6:7]
	s_cbranch_execnz .LBB161_44
.LBB161_33:                             ;   in Loop: Header=BB161_3 Depth=1
	s_or_b64 exec, exec, s[18:19]
	s_and_saveexec_b64 s[18:19], s[6:7]
	s_cbranch_execnz .LBB161_45
.LBB161_34:                             ;   in Loop: Header=BB161_3 Depth=1
	s_or_b64 exec, exec, s[18:19]
	s_and_saveexec_b64 s[18:19], s[6:7]
	s_cbranch_execnz .LBB161_46
.LBB161_35:                             ;   in Loop: Header=BB161_3 Depth=1
	s_or_b64 exec, exec, s[18:19]
	s_and_saveexec_b64 s[18:19], s[6:7]
	s_cbranch_execnz .LBB161_47
.LBB161_36:                             ;   in Loop: Header=BB161_3 Depth=1
	s_or_b64 exec, exec, s[18:19]
	s_and_saveexec_b64 s[18:19], s[6:7]
	s_cbranch_execnz .LBB161_48
.LBB161_37:                             ;   in Loop: Header=BB161_3 Depth=1
	s_or_b64 exec, exec, s[18:19]
	s_and_saveexec_b64 s[18:19], s[6:7]
	s_cbranch_execz .LBB161_39
.LBB161_38:                             ;   in Loop: Header=BB161_3 Depth=1
	v_lshl_add_u64 v[4:5], v[30:31], 0, v[28:29]
	global_load_dword v25, v[4:5], off
	v_lshl_add_u64 v[4:5], v[32:33], 0, v[28:29]
	global_load_dword v17, v[4:5], off
.LBB161_39:                             ;   in Loop: Header=BB161_3 Depth=1
	s_or_b64 exec, exec, s[18:19]
	s_waitcnt vmcnt(0)
	ds_bpermute_b32 v4, v65, v67 offset:4
	ds_bpermute_b32 v5, v65, v67 offset:8
	ds_bpermute_b32 v2, v65, v67
	v_mul_f32_e32 v8, v10, v18
	v_pk_mul_f32 v[10:11], v[10:11], v[18:19]
	v_pk_mul_f32 v[12:13], v[12:13], v[20:21]
	v_mov_b32_e32 v10, v11
	v_mov_b32_e32 v11, v12
	s_waitcnt lgkmcnt(1)
	v_pk_mul_f32 v[4:5], v[10:11], v[4:5]
	ds_bpermute_b32 v10, v65, v67 offset:12
	ds_bpermute_b32 v11, v65, v67 offset:16
	s_waitcnt lgkmcnt(2)
	v_fmac_f32_e32 v66, v8, v2
	v_pk_mul_f32 v[8:9], v[14:15], v[22:23]
	v_add_f32_e32 v2, v66, v4
	v_add_f32_e32 v2, v2, v5
	v_mov_b32_e32 v4, v13
	v_mov_b32_e32 v5, v8
	s_waitcnt lgkmcnt(0)
	v_pk_mul_f32 v[4:5], v[4:5], v[10:11]
	ds_bpermute_b32 v10, v65, v67 offset:20
	ds_bpermute_b32 v11, v65, v67 offset:24
	v_pk_mul_f32 v[6:7], v[16:17], v[24:25]
	v_add_f32_e32 v2, v2, v4
	v_mov_b32_e32 v8, v9
	v_mov_b32_e32 v9, v6
	v_add_f32_e32 v2, v2, v5
	s_waitcnt lgkmcnt(0)
	v_pk_mul_f32 v[6:7], v[8:9], v[10:11]
	ds_bpermute_b32 v4, v65, v67 offset:28
	v_add_f32_e32 v2, v2, v6
	v_add_f32_e32 v2, v2, v7
.LBB161_40:                             ;   in Loop: Header=BB161_3 Depth=1
	v_mul_f32_e32 v5, v25, v17
	s_add_u32 s52, s52, s3
	s_waitcnt lgkmcnt(0)
	v_fmac_f32_e32 v2, v5, v4
	s_addc_u32 s53, s53, 0
	v_mov_b64_e32 v[4:5], s[8:9]
	s_add_u32 s34, s34, s3
	v_cmp_lt_i64_e32 vcc, s[52:53], v[4:5]
	v_lshl_add_u64 v[30:31], v[30:31], 0, s[30:31]
	v_lshl_add_u64 v[32:33], v[32:33], 0, s[30:31]
	;; [unrolled: 1-line block ×14, first 2 shown]
	s_addc_u32 s35, s35, 0
	v_lshl_add_u64 v[58:59], v[58:59], 0, s[30:31]
	v_lshl_add_u64 v[60:61], v[60:61], 0, s[30:31]
	s_cbranch_vccz .LBB161_50
; %bb.41:                               ;   in Loop: Header=BB161_3 Depth=1
	v_mov_b32_e32 v66, v2
	s_branch .LBB161_3
.LBB161_42:                             ;   in Loop: Header=BB161_3 Depth=1
	v_lshl_add_u64 v[4:5], v[58:59], 0, v[28:29]
	global_load_dword v2, v[4:5], off
	v_lshl_add_u64 v[4:5], v[60:61], 0, v[28:29]
	global_load_dword v10, v[4:5], off
	v_mov_b32_e32 v8, v3
	v_mov_b32_e32 v9, v3
	;; [unrolled: 1-line block ×6, first 2 shown]
	s_waitcnt vmcnt(1)
	v_mov_b64_e32 v[24:25], v[8:9]
	v_mov_b32_e32 v11, v3
	v_mov_b32_e32 v12, v3
	;; [unrolled: 1-line block ×7, first 2 shown]
	v_mov_b64_e32 v[22:23], v[6:7]
	v_mov_b64_e32 v[20:21], v[4:5]
	;; [unrolled: 1-line block ×3, first 2 shown]
	s_or_b64 exec, exec, s[18:19]
	s_and_saveexec_b64 s[18:19], s[6:7]
	s_cbranch_execz .LBB161_32
.LBB161_43:                             ;   in Loop: Header=BB161_3 Depth=1
	v_lshl_add_u64 v[4:5], v[54:55], 0, v[28:29]
	global_load_dword v19, v[4:5], off
	v_lshl_add_u64 v[4:5], v[56:57], 0, v[28:29]
	global_load_dword v11, v[4:5], off
	s_or_b64 exec, exec, s[18:19]
	s_and_saveexec_b64 s[18:19], s[6:7]
	s_cbranch_execz .LBB161_33
.LBB161_44:                             ;   in Loop: Header=BB161_3 Depth=1
	v_lshl_add_u64 v[4:5], v[50:51], 0, v[28:29]
	global_load_dword v20, v[4:5], off
	v_lshl_add_u64 v[4:5], v[52:53], 0, v[28:29]
	global_load_dword v12, v[4:5], off
	s_or_b64 exec, exec, s[18:19]
	s_and_saveexec_b64 s[18:19], s[6:7]
	s_cbranch_execz .LBB161_34
.LBB161_45:                             ;   in Loop: Header=BB161_3 Depth=1
	v_lshl_add_u64 v[4:5], v[46:47], 0, v[28:29]
	global_load_dword v21, v[4:5], off
	v_lshl_add_u64 v[4:5], v[48:49], 0, v[28:29]
	global_load_dword v13, v[4:5], off
	s_or_b64 exec, exec, s[18:19]
	s_and_saveexec_b64 s[18:19], s[6:7]
	s_cbranch_execz .LBB161_35
.LBB161_46:                             ;   in Loop: Header=BB161_3 Depth=1
	v_lshl_add_u64 v[4:5], v[42:43], 0, v[28:29]
	global_load_dword v22, v[4:5], off
	v_lshl_add_u64 v[4:5], v[44:45], 0, v[28:29]
	global_load_dword v14, v[4:5], off
	s_or_b64 exec, exec, s[18:19]
	s_and_saveexec_b64 s[18:19], s[6:7]
	s_cbranch_execz .LBB161_36
.LBB161_47:                             ;   in Loop: Header=BB161_3 Depth=1
	v_lshl_add_u64 v[4:5], v[38:39], 0, v[28:29]
	global_load_dword v23, v[4:5], off
	v_lshl_add_u64 v[4:5], v[40:41], 0, v[28:29]
	global_load_dword v15, v[4:5], off
	s_or_b64 exec, exec, s[18:19]
	s_and_saveexec_b64 s[18:19], s[6:7]
	s_cbranch_execz .LBB161_37
.LBB161_48:                             ;   in Loop: Header=BB161_3 Depth=1
	v_lshl_add_u64 v[4:5], v[34:35], 0, v[28:29]
	global_load_dword v24, v[4:5], off
	v_lshl_add_u64 v[4:5], v[36:37], 0, v[28:29]
	global_load_dword v16, v[4:5], off
	s_or_b64 exec, exec, s[18:19]
	s_and_saveexec_b64 s[18:19], s[6:7]
	s_cbranch_execnz .LBB161_38
	s_branch .LBB161_39
.LBB161_49:
                                        ; implicit-def: $vgpr2
	s_branch .LBB161_51
.LBB161_50:
	s_cbranch_execnz .LBB161_83
.LBB161_51:
	s_and_b64 vcc, exec, s[4:5]
	v_mov_b32_e32 v2, 0
	s_cbranch_vccnz .LBB161_83
; %bb.52:
	v_and_b32_e32 v1, 0x3ff, v0
	v_add_u32_e32 v2, s33, v1
	v_mov_b32_e32 v3, 0
	v_bfe_u32 v92, v0, 10, 10
	v_lshlrev_b64 v[28:29], 2, v[2:3]
	v_lshlrev_b32_e32 v2, 5, v92
	v_lshl_add_u64 v[4:5], s[26:27], 2, v[2:3]
	v_lshl_add_u64 v[6:7], v[4:5], 0, 4
	v_mov_b64_e32 v[8:9], s[12:13]
	v_lshl_add_u64 v[10:11], v[4:5], 0, 8
	v_lshl_add_u64 v[12:13], v[4:5], 0, 12
	;; [unrolled: 1-line block ×6, first 2 shown]
	v_mad_u64_u32 v[30:31], s[4:5], s10, v6, v[8:9]
	v_mad_u64_u32 v[32:33], s[4:5], s10, v10, v[8:9]
	;; [unrolled: 1-line block ×7, first 2 shown]
	v_mov_b64_e32 v[8:9], s[14:15]
	v_lshlrev_b32_e32 v26, 3, v92
	v_mov_b32_e32 v27, v3
	v_mul_lo_u32 v2, s10, v7
	v_mul_lo_u32 v7, s11, v6
	v_mad_u64_u32 v[44:45], s[4:5], s10, v6, v[8:9]
	v_add3_u32 v31, v7, v31, v2
	v_mul_lo_u32 v5, s10, v5
	v_mul_lo_u32 v25, s11, v4
	v_add3_u32 v45, v7, v45, v2
	v_lshl_add_u64 v[6:7], v[26:27], 0, s[26:27]
	v_mad_u64_u32 v[56:57], s[4:5], s10, v4, v[8:9]
	v_add3_u32 v43, v25, v43, v5
	v_add3_u32 v57, v25, v57, v5
	v_lshl_add_u64 v[4:5], v[6:7], 0, 7
	v_mad_u64_u32 v[46:47], s[4:5], s10, v10, v[8:9]
	v_mad_u64_u32 v[48:49], s[4:5], s10, v12, v[8:9]
	;; [unrolled: 1-line block ×5, first 2 shown]
	v_mul_lo_u32 v8, s11, v4
	v_mul_lo_u32 v9, s10, v5
	v_mad_u64_u32 v[4:5], s[4:5], s10, v4, 0
	v_mul_lo_u32 v11, s10, v11
	v_mul_lo_u32 v20, s11, v10
	v_add3_u32 v5, v5, v9, v8
	v_lshl_add_u64 v[8:9], v[6:7], 0, 6
	v_add3_u32 v33, v20, v33, v11
	v_add3_u32 v47, v20, v47, v11
	v_mul_lo_u32 v10, s11, v8
	v_mul_lo_u32 v11, s10, v9
	v_mad_u64_u32 v[8:9], s[4:5], s10, v8, 0
	v_mul_lo_u32 v13, s10, v13
	v_mul_lo_u32 v21, s11, v12
	v_add3_u32 v9, v9, v11, v10
	v_lshl_add_u64 v[10:11], v[6:7], 0, 5
	v_add3_u32 v35, v21, v35, v13
	v_add3_u32 v49, v21, v49, v13
	;; [unrolled: 9-line block ×4, first 2 shown]
	v_mul_lo_u32 v16, s11, v14
	v_mul_lo_u32 v17, s10, v15
	v_mad_u64_u32 v[14:15], s[4:5], s10, v14, 0
	v_mul_lo_u32 v19, s10, v19
	v_mul_lo_u32 v24, s11, v18
	v_add3_u32 v15, v15, v17, v16
	v_lshl_add_u64 v[16:17], v[6:7], 0, 2
	s_load_dword s3, s[0:1], 0x44
	v_lshlrev_b64 v[4:5], 2, v[4:5]
	v_add3_u32 v41, v24, v41, v19
	v_add3_u32 v55, v24, v55, v19
	v_mul_lo_u32 v18, s11, v16
	v_mul_lo_u32 v19, s10, v17
	v_mad_u64_u32 v[16:17], s[4:5], s10, v16, 0
	v_lshl_add_u64 v[62:63], s[12:13], 0, v[4:5]
	v_lshl_add_u64 v[64:65], s[14:15], 0, v[4:5]
	v_lshlrev_b64 v[4:5], 2, v[8:9]
	v_add3_u32 v17, v17, v19, v18
	v_mov_b64_e32 v[18:19], s[10:11]
	v_lshl_add_u64 v[66:67], s[12:13], 0, v[4:5]
	v_lshl_add_u64 v[68:69], s[14:15], 0, v[4:5]
	v_lshlrev_b64 v[4:5], 2, v[10:11]
	v_mul_lo_u32 v2, s11, v6
	v_mad_u64_u32 v[18:19], s[4:5], s10, v6, v[18:19]
	v_mul_lo_u32 v20, s10, v7
	v_mad_u64_u32 v[6:7], s[4:5], s10, v6, 0
	v_lshl_add_u64 v[70:71], s[12:13], 0, v[4:5]
	v_lshl_add_u64 v[72:73], s[14:15], 0, v[4:5]
	v_lshlrev_b64 v[4:5], 2, v[12:13]
	s_add_u32 s4, s0, 64
	v_lshl_add_u64 v[74:75], s[12:13], 0, v[4:5]
	v_lshl_add_u64 v[76:77], s[14:15], 0, v[4:5]
	v_lshlrev_b64 v[4:5], 2, v[14:15]
	v_add3_u32 v7, v7, v20, v2
	v_add3_u32 v19, v2, v19, v20
	s_addc_u32 s5, s1, 0
	s_waitcnt lgkmcnt(0)
	s_lshl_b32 s3, s3, 8
	v_lshl_add_u64 v[78:79], s[12:13], 0, v[4:5]
	v_lshl_add_u64 v[80:81], s[14:15], 0, v[4:5]
	v_lshlrev_b64 v[4:5], 2, v[16:17]
	v_mbcnt_lo_u32_b32 v2, -1, 0
	s_add_u32 s6, s26, 0xff
	s_mul_i32 s17, s11, s3
	s_mul_hi_u32 s18, s10, s3
	v_lshlrev_b64 v[6:7], 2, v[6:7]
	v_lshl_add_u64 v[82:83], s[12:13], 0, v[4:5]
	v_lshl_add_u64 v[84:85], s[14:15], 0, v[4:5]
	v_lshlrev_b64 v[4:5], 2, v[18:19]
	v_mbcnt_hi_u32_b32 v2, -1, v2
	s_addc_u32 s7, 0, 0
	s_add_i32 s19, s18, s17
	s_mul_i32 s18, s10, s3
	v_lshl_add_u64 v[58:59], s[12:13], 0, v[6:7]
	v_lshl_add_u64 v[60:61], s[14:15], 0, v[6:7]
	;; [unrolled: 1-line block ×4, first 2 shown]
	s_movk_i32 s12, 0xff01
	s_movk_i32 s14, 0xff02
	;; [unrolled: 1-line block ×8, first 2 shown]
	v_lshlrev_b32_e32 v2, 2, v2
	s_mov_b32 s16, 0
	s_lshl_b64 s[28:29], s[18:19], 2
	s_mov_b32 s13, -1
	s_mov_b32 s15, -1
	;; [unrolled: 1-line block ×8, first 2 shown]
	v_and_b32_e32 v93, 0x100, v2
	v_mov_b32_e32 v94, 0
.LBB161_53:                             ; =>This Inner Loop Header: Depth=1
	v_mov_b64_e32 v[4:5], s[8:9]
	v_cmp_ge_i64_e32 vcc, s[6:7], v[4:5]
	v_lshl_add_u64 v[90:91], v[26:27], 0, s[6:7]
	s_cbranch_vccz .LBB161_75
; %bb.54:                               ;   in Loop: Header=BB161_53 Depth=1
	s_load_dword s17, s[4:5], 0xc
	v_mov_b32_e32 v95, 0
	s_waitcnt lgkmcnt(0)
	s_and_b32 s17, s17, 0xffff
	v_mad_u32_u24 v2, v92, s17, v1
	v_and_b32_e32 v2, 63, v2
	v_cmp_gt_u32_e32 vcc, 8, v2
	s_and_saveexec_b64 s[18:19], vcc
	s_cbranch_execz .LBB161_58
; %bb.55:                               ;   in Loop: Header=BB161_53 Depth=1
	v_lshl_add_u64 v[4:5], v[90:91], 0, v[2:3]
	v_lshl_add_u64 v[4:5], v[4:5], 0, s[12:13]
	v_cmp_gt_i64_e32 vcc, s[8:9], v[4:5]
	v_mov_b32_e32 v95, 0
	s_and_saveexec_b64 s[20:21], vcc
	s_cbranch_execz .LBB161_57
; %bb.56:                               ;   in Loop: Header=BB161_53 Depth=1
	v_lshl_add_u64 v[4:5], v[4:5], 2, s[24:25]
	global_load_dword v95, v[4:5], off
.LBB161_57:                             ;   in Loop: Header=BB161_53 Depth=1
	s_or_b64 exec, exec, s[20:21]
.LBB161_58:                             ;   in Loop: Header=BB161_53 Depth=1
	s_or_b64 exec, exec, s[18:19]
	s_mov_b32 s17, s16
	s_mov_b32 s18, s16
	;; [unrolled: 1-line block ×7, first 2 shown]
	v_mov_b64_e32 v[10:11], s[16:17]
	v_mov_b64_e32 v[16:17], s[22:23]
	v_lshl_add_u64 v[4:5], v[90:91], 0, s[12:13]
	v_mov_b64_e32 v[12:13], s[18:19]
	v_mov_b64_e32 v[14:15], s[20:21]
	;; [unrolled: 1-line block ×3, first 2 shown]
	v_cmp_gt_i64_e32 vcc, s[8:9], v[4:5]
	v_mov_b64_e32 v[22:23], v[14:15]
	v_mov_b64_e32 v[20:21], v[12:13]
	v_mov_b64_e32 v[18:19], v[10:11]
	s_and_saveexec_b64 s[18:19], vcc
	s_cbranch_execz .LBB161_60
; %bb.59:                               ;   in Loop: Header=BB161_53 Depth=1
	v_lshl_add_u64 v[4:5], v[58:59], 0, v[28:29]
	global_load_dword v2, v[4:5], off
	v_lshl_add_u64 v[4:5], v[60:61], 0, v[28:29]
	global_load_dword v10, v[4:5], off
	v_mov_b32_e32 v8, v3
	v_mov_b32_e32 v9, v3
	;; [unrolled: 1-line block ×6, first 2 shown]
	s_waitcnt vmcnt(1)
	v_mov_b64_e32 v[24:25], v[8:9]
	v_mov_b32_e32 v11, v3
	v_mov_b32_e32 v12, v3
	;; [unrolled: 1-line block ×7, first 2 shown]
	v_mov_b64_e32 v[22:23], v[6:7]
	v_mov_b64_e32 v[20:21], v[4:5]
	;; [unrolled: 1-line block ×3, first 2 shown]
.LBB161_60:                             ;   in Loop: Header=BB161_53 Depth=1
	s_or_b64 exec, exec, s[18:19]
	v_lshl_add_u64 v[4:5], v[90:91], 0, s[14:15]
	v_cmp_gt_i64_e32 vcc, s[8:9], v[4:5]
	s_and_saveexec_b64 s[18:19], vcc
	s_cbranch_execz .LBB161_62
; %bb.61:                               ;   in Loop: Header=BB161_53 Depth=1
	v_lshl_add_u64 v[4:5], v[86:87], 0, v[28:29]
	global_load_dword v19, v[4:5], off
	v_lshl_add_u64 v[4:5], v[88:89], 0, v[28:29]
	global_load_dword v11, v[4:5], off
.LBB161_62:                             ;   in Loop: Header=BB161_53 Depth=1
	s_or_b64 exec, exec, s[18:19]
	v_lshl_add_u64 v[4:5], v[90:91], 0, s[30:31]
	v_cmp_gt_i64_e32 vcc, s[8:9], v[4:5]
	s_and_saveexec_b64 s[18:19], vcc
	s_cbranch_execz .LBB161_64
; %bb.63:                               ;   in Loop: Header=BB161_53 Depth=1
	v_lshl_add_u64 v[4:5], v[82:83], 0, v[28:29]
	global_load_dword v20, v[4:5], off
	v_lshl_add_u64 v[4:5], v[84:85], 0, v[28:29]
	global_load_dword v12, v[4:5], off
.LBB161_64:                             ;   in Loop: Header=BB161_53 Depth=1
	;; [unrolled: 11-line block ×7, first 2 shown]
	s_or_b64 exec, exec, s[18:19]
	s_waitcnt vmcnt(0)
	ds_bpermute_b32 v4, v93, v95
	ds_bpermute_b32 v5, v93, v95 offset:4
	v_pk_mul_f32 v[8:9], v[14:15], v[22:23]
	ds_bpermute_b32 v14, v93, v95 offset:8
	ds_bpermute_b32 v15, v93, v95 offset:12
	v_pk_mul_f32 v[10:11], v[10:11], v[18:19]
	v_pk_mul_f32 v[12:13], v[12:13], v[20:21]
	s_waitcnt lgkmcnt(2)
	v_pk_mul_f32 v[4:5], v[10:11], v[4:5]
	ds_bpermute_b32 v10, v93, v95 offset:16
	ds_bpermute_b32 v11, v93, v95 offset:20
	v_add_f32_e32 v2, v94, v4
	v_add_f32_e32 v2, v2, v5
	s_waitcnt lgkmcnt(2)
	v_pk_mul_f32 v[4:5], v[12:13], v[14:15]
	ds_bpermute_b32 v12, v93, v95 offset:24
	ds_bpermute_b32 v13, v93, v95 offset:28
	v_add_f32_e32 v2, v2, v4
	v_add_f32_e32 v2, v2, v5
	s_waitcnt lgkmcnt(2)
	v_pk_mul_f32 v[4:5], v[8:9], v[10:11]
	v_pk_mul_f32 v[6:7], v[16:17], v[24:25]
	v_add_f32_e32 v2, v2, v4
	v_add_f32_e32 v2, v2, v5
	s_waitcnt lgkmcnt(0)
	v_pk_mul_f32 v[4:5], v[6:7], v[12:13]
	s_nop 0
	v_add_f32_e32 v2, v2, v4
	v_add_f32_e32 v2, v2, v5
	s_branch .LBB161_81
.LBB161_75:                             ;   in Loop: Header=BB161_53 Depth=1
                                        ; implicit-def: $vgpr2
	s_cbranch_execz .LBB161_81
; %bb.76:                               ;   in Loop: Header=BB161_53 Depth=1
	s_load_dword s17, s[4:5], 0x0
	v_mov_b32_e32 v6, 0
	s_waitcnt lgkmcnt(0)
	s_cmp_lt_u32 s2, s17
	s_cselect_b32 s17, 12, 18
	s_add_u32 s18, s4, s17
	s_addc_u32 s19, s5, 0
	global_load_ushort v2, v3, s[18:19]
	s_waitcnt vmcnt(0)
	v_mad_u32_u24 v2, v92, v2, v1
	v_and_b32_e32 v2, 63, v2
	v_cmp_gt_u32_e32 vcc, 8, v2
	s_and_saveexec_b64 s[18:19], vcc
	s_cbranch_execz .LBB161_80
; %bb.77:                               ;   in Loop: Header=BB161_53 Depth=1
	v_lshl_add_u64 v[4:5], v[90:91], 0, v[2:3]
	v_lshl_add_u64 v[4:5], v[4:5], 0, s[12:13]
	v_cmp_gt_i64_e32 vcc, s[8:9], v[4:5]
	v_mov_b32_e32 v6, 0
	s_and_saveexec_b64 s[20:21], vcc
	s_cbranch_execz .LBB161_79
; %bb.78:                               ;   in Loop: Header=BB161_53 Depth=1
	v_lshl_add_u64 v[4:5], v[4:5], 2, s[24:25]
	global_load_dword v6, v[4:5], off
.LBB161_79:                             ;   in Loop: Header=BB161_53 Depth=1
	s_or_b64 exec, exec, s[20:21]
.LBB161_80:                             ;   in Loop: Header=BB161_53 Depth=1
	s_or_b64 exec, exec, s[18:19]
	v_lshl_add_u64 v[4:5], v[58:59], 0, v[28:29]
	v_lshl_add_u64 v[10:11], v[30:31], 0, v[28:29]
	global_load_dword v4, v[4:5], off
	v_lshl_add_u64 v[8:9], v[60:61], 0, v[28:29]
	global_load_dword v5, v[10:11], off
	;; [unrolled: 2-line block ×15, first 2 shown]
	s_waitcnt vmcnt(15)
	ds_bpermute_b32 v24, v93, v6 offset:8
	global_load_dword v21, v[22:23], off
	ds_bpermute_b32 v22, v93, v6
	ds_bpermute_b32 v23, v93, v6 offset:4
	ds_bpermute_b32 v25, v93, v6 offset:12
	;; [unrolled: 1-line block ×6, first 2 shown]
	s_waitcnt vmcnt(12)
	v_pk_mul_f32 v[4:5], v[4:5], v[8:9]
	s_waitcnt lgkmcnt(5)
	v_pk_mul_f32 v[4:5], v[4:5], v[22:23]
	s_waitcnt vmcnt(8)
	v_pk_mul_f32 v[6:7], v[10:11], v[12:13]
	v_add_f32_e32 v2, v94, v4
	s_waitcnt lgkmcnt(4)
	v_pk_mul_f32 v[6:7], v[6:7], v[24:25]
	v_add_f32_e32 v2, v2, v5
	v_add_f32_e32 v2, v2, v6
	;; [unrolled: 1-line block ×3, first 2 shown]
	s_waitcnt vmcnt(4)
	v_pk_mul_f32 v[8:9], v[14:15], v[16:17]
	s_waitcnt lgkmcnt(2)
	v_pk_mul_f32 v[8:9], v[8:9], v[90:91]
	s_waitcnt vmcnt(0)
	v_pk_mul_f32 v[10:11], v[18:19], v[20:21]
	v_add_f32_e32 v2, v2, v8
	v_add_f32_e32 v2, v2, v9
	s_waitcnt lgkmcnt(0)
	v_pk_mul_f32 v[4:5], v[10:11], v[96:97]
	s_nop 0
	v_add_f32_e32 v2, v2, v4
	v_add_f32_e32 v2, v2, v5
.LBB161_81:                             ;   in Loop: Header=BB161_53 Depth=1
	s_add_u32 s26, s26, s3
	s_addc_u32 s27, s27, 0
	v_mov_b64_e32 v[4:5], s[8:9]
	s_add_u32 s6, s6, s3
	v_cmp_ge_i64_e32 vcc, s[26:27], v[4:5]
	s_addc_u32 s7, s7, 0
	v_lshl_add_u64 v[30:31], v[30:31], 0, s[28:29]
	v_lshl_add_u64 v[32:33], v[32:33], 0, s[28:29]
	;; [unrolled: 1-line block ×30, first 2 shown]
	s_cbranch_vccnz .LBB161_83
; %bb.82:                               ;   in Loop: Header=BB161_53 Depth=1
	v_mov_b32_e32 v94, v2
	s_branch .LBB161_53
.LBB161_83:
	v_and_b32_e32 v3, 0x3ff, v0
	v_bfe_u32 v0, v0, 10, 10
	v_mad_u32_u24 v4, v0, 33, v3
	v_lshl_add_u32 v5, v4, 2, 0
	ds_write_b32 v5, v2
	v_sub_u32_e32 v2, v4, v0
	s_movk_i32 s4, 0x800
	s_mov_b32 s3, 0
	v_mov_b32_e32 v1, 0
	v_cmp_gt_u32_e32 vcc, s4, v2
	ds_write_b32 v5, v1 offset:4224
	s_waitcnt lgkmcnt(0)
	s_barrier
	s_and_saveexec_b64 s[4:5], vcc
	s_cbranch_execz .LBB161_90
; %bb.84:
	v_mbcnt_lo_u32_b32 v4, -1, 0
	v_mbcnt_hi_u32_b32 v8, -1, v4
	v_lshrrev_b32_e32 v0, 6, v2
	v_and_b32_e32 v2, 63, v2
	v_and_b32_e32 v4, 64, v8
	s_load_dwordx2 s[14:15], s[0:1], 0x30
	v_cmp_gt_u32_e32 vcc, 32, v2
	v_add_u32_e32 v9, 64, v4
	v_cmp_ne_u32_e64 s[0:1], 0, v3
	v_mul_u32_u24_e32 v3, 0x84, v2
	v_xor_b32_e32 v2, 16, v8
	v_cmp_lt_i32_e64 s[4:5], v2, v9
	s_lshl_b64 s[6:7], s[2:3], 5
	s_waitcnt lgkmcnt(0)
	s_cmp_eq_u64 s[14:15], 0
	v_cndmask_b32_e64 v2, v8, v2, s[4:5]
	v_lshlrev_b32_e32 v4, 2, v2
	v_xor_b32_e32 v2, 8, v8
	v_cmp_lt_i32_e64 s[4:5], v2, v9
	s_cselect_b64 s[12:13], -1, 0
	s_lshl_b64 s[2:3], s[2:3], 7
	v_cndmask_b32_e64 v2, v8, v2, s[4:5]
	v_lshlrev_b32_e32 v5, 2, v2
	v_xor_b32_e32 v2, 4, v8
	v_cmp_lt_i32_e64 s[4:5], v2, v9
	s_add_u32 s2, s14, s2
	s_addc_u32 s3, s15, s3
	v_cndmask_b32_e64 v2, v8, v2, s[4:5]
	v_lshlrev_b32_e32 v6, 2, v2
	v_xor_b32_e32 v2, 2, v8
	v_cmp_lt_i32_e64 s[4:5], v2, v9
	s_mov_b64 s[8:9], 0
                                        ; implicit-def: $vgpr10
	s_nop 0
	v_cndmask_b32_e64 v2, v8, v2, s[4:5]
	v_lshlrev_b32_e32 v7, 2, v2
	v_xor_b32_e32 v2, 1, v8
	v_cmp_lt_i32_e64 s[4:5], v2, v9
	s_nop 1
	v_cndmask_b32_e64 v2, v8, v2, s[4:5]
	v_lshlrev_b32_e32 v8, 2, v2
	v_lshlrev_b32_e32 v2, 2, v0
	v_add3_u32 v9, v3, v2, 0
	v_mov_b32_e32 v3, v1
	v_lshl_add_u64 v[2:3], s[2:3], 0, v[2:3]
	s_branch .LBB161_86
.LBB161_85:                             ;   in Loop: Header=BB161_86 Depth=1
	s_or_b64 exec, exec, s[2:3]
	v_lshl_add_u64 v[0:1], v[0:1], 0, 16
	v_add_u32_e32 v11, -16, v0
	v_cmp_lt_u32_e64 s[2:3], 15, v11
	v_add_u32_e32 v9, 64, v9
	s_or_b64 s[8:9], s[2:3], s[8:9]
	v_lshl_add_u64 v[2:3], v[2:3], 0, 64
	s_andn2_b64 exec, exec, s[8:9]
	s_cbranch_execz .LBB161_90
.LBB161_86:                             ; =>This Inner Loop Header: Depth=1
	s_and_saveexec_b64 s[2:3], vcc
	s_cbranch_execz .LBB161_88
; %bb.87:                               ;   in Loop: Header=BB161_86 Depth=1
	ds_read_b32 v10, v9
.LBB161_88:                             ;   in Loop: Header=BB161_86 Depth=1
	s_or_b64 exec, exec, s[2:3]
	s_waitcnt lgkmcnt(0)
	ds_bpermute_b32 v11, v4, v10
	s_waitcnt lgkmcnt(0)
	v_add_f32_e32 v10, v10, v11
	ds_bpermute_b32 v11, v5, v10
	s_waitcnt lgkmcnt(0)
	v_add_f32_e32 v10, v10, v11
	;; [unrolled: 3-line block ×4, first 2 shown]
	ds_bpermute_b32 v13, v8, v12
	v_lshl_add_u64 v[10:11], s[6:7], 0, v[0:1]
	v_cmp_le_i64_e64 s[2:3], s[10:11], v[10:11]
	s_or_b64 s[2:3], s[0:1], s[2:3]
	s_or_b64 s[2:3], s[12:13], s[2:3]
	s_waitcnt lgkmcnt(0)
	v_add_f32_e32 v10, v12, v13
	s_xor_b64 s[4:5], s[2:3], -1
	s_and_saveexec_b64 s[2:3], s[4:5]
	s_cbranch_execz .LBB161_85
; %bb.89:                               ;   in Loop: Header=BB161_86 Depth=1
	global_store_dword v[2:3], v10, off
	s_branch .LBB161_85
.LBB161_90:
	s_endpgm
	.section	.rodata,"a",@progbits
	.p2align	6, 0x0
	.amdhsa_kernel _ZN2at6native12_GLOBAL__N_135GammaBetaBackwardCUDAKernelTemplateIffLj32ELj32ELj256ELb0ELb0ELb1EEEvllPKT_S5_PKT0_S8_PS3_S9_
		.amdhsa_group_segment_fixed_size 0
		.amdhsa_private_segment_fixed_size 0
		.amdhsa_kernarg_size 320
		.amdhsa_user_sgpr_count 2
		.amdhsa_user_sgpr_dispatch_ptr 0
		.amdhsa_user_sgpr_queue_ptr 0
		.amdhsa_user_sgpr_kernarg_segment_ptr 1
		.amdhsa_user_sgpr_dispatch_id 0
		.amdhsa_user_sgpr_kernarg_preload_length 0
		.amdhsa_user_sgpr_kernarg_preload_offset 0
		.amdhsa_user_sgpr_private_segment_size 0
		.amdhsa_uses_dynamic_stack 0
		.amdhsa_enable_private_segment 0
		.amdhsa_system_sgpr_workgroup_id_x 1
		.amdhsa_system_sgpr_workgroup_id_y 1
		.amdhsa_system_sgpr_workgroup_id_z 0
		.amdhsa_system_sgpr_workgroup_info 0
		.amdhsa_system_vgpr_workitem_id 1
		.amdhsa_next_free_vgpr 98
		.amdhsa_next_free_sgpr 56
		.amdhsa_accum_offset 100
		.amdhsa_reserve_vcc 1
		.amdhsa_float_round_mode_32 0
		.amdhsa_float_round_mode_16_64 0
		.amdhsa_float_denorm_mode_32 3
		.amdhsa_float_denorm_mode_16_64 3
		.amdhsa_dx10_clamp 1
		.amdhsa_ieee_mode 1
		.amdhsa_fp16_overflow 0
		.amdhsa_tg_split 0
		.amdhsa_exception_fp_ieee_invalid_op 0
		.amdhsa_exception_fp_denorm_src 0
		.amdhsa_exception_fp_ieee_div_zero 0
		.amdhsa_exception_fp_ieee_overflow 0
		.amdhsa_exception_fp_ieee_underflow 0
		.amdhsa_exception_fp_ieee_inexact 0
		.amdhsa_exception_int_div_zero 0
	.end_amdhsa_kernel
	.section	.text._ZN2at6native12_GLOBAL__N_135GammaBetaBackwardCUDAKernelTemplateIffLj32ELj32ELj256ELb0ELb0ELb1EEEvllPKT_S5_PKT0_S8_PS3_S9_,"axG",@progbits,_ZN2at6native12_GLOBAL__N_135GammaBetaBackwardCUDAKernelTemplateIffLj32ELj32ELj256ELb0ELb0ELb1EEEvllPKT_S5_PKT0_S8_PS3_S9_,comdat
.Lfunc_end161:
	.size	_ZN2at6native12_GLOBAL__N_135GammaBetaBackwardCUDAKernelTemplateIffLj32ELj32ELj256ELb0ELb0ELb1EEEvllPKT_S5_PKT0_S8_PS3_S9_, .Lfunc_end161-_ZN2at6native12_GLOBAL__N_135GammaBetaBackwardCUDAKernelTemplateIffLj32ELj32ELj256ELb0ELb0ELb1EEEvllPKT_S5_PKT0_S8_PS3_S9_
                                        ; -- End function
	.section	.AMDGPU.csdata,"",@progbits
; Kernel info:
; codeLenInByte = 6216
; NumSgprs: 62
; NumVgprs: 98
; NumAgprs: 0
; TotalNumVgprs: 98
; ScratchSize: 0
; MemoryBound: 0
; FloatMode: 240
; IeeeMode: 1
; LDSByteSize: 0 bytes/workgroup (compile time only)
; SGPRBlocks: 7
; VGPRBlocks: 12
; NumSGPRsForWavesPerEU: 62
; NumVGPRsForWavesPerEU: 98
; AccumOffset: 100
; Occupancy: 4
; WaveLimiterHint : 0
; COMPUTE_PGM_RSRC2:SCRATCH_EN: 0
; COMPUTE_PGM_RSRC2:USER_SGPR: 2
; COMPUTE_PGM_RSRC2:TRAP_HANDLER: 0
; COMPUTE_PGM_RSRC2:TGID_X_EN: 1
; COMPUTE_PGM_RSRC2:TGID_Y_EN: 1
; COMPUTE_PGM_RSRC2:TGID_Z_EN: 0
; COMPUTE_PGM_RSRC2:TIDIG_COMP_CNT: 1
; COMPUTE_PGM_RSRC3_GFX90A:ACCUM_OFFSET: 24
; COMPUTE_PGM_RSRC3_GFX90A:TG_SPLIT: 0
	.section	.text._ZN2at6native12_GLOBAL__N_118cuComputeGradInputIN3c104HalfEfLb1EEEvPKT_S7_llPKT0_SA_S7_PS5_,"axG",@progbits,_ZN2at6native12_GLOBAL__N_118cuComputeGradInputIN3c104HalfEfLb1EEEvPKT_S7_llPKT0_SA_S7_PS5_,comdat
	.globl	_ZN2at6native12_GLOBAL__N_118cuComputeGradInputIN3c104HalfEfLb1EEEvPKT_S7_llPKT0_SA_S7_PS5_ ; -- Begin function _ZN2at6native12_GLOBAL__N_118cuComputeGradInputIN3c104HalfEfLb1EEEvPKT_S7_llPKT0_SA_S7_PS5_
	.p2align	8
	.type	_ZN2at6native12_GLOBAL__N_118cuComputeGradInputIN3c104HalfEfLb1EEEvPKT_S7_llPKT0_SA_S7_PS5_,@function
_ZN2at6native12_GLOBAL__N_118cuComputeGradInputIN3c104HalfEfLb1EEEvPKT_S7_llPKT0_SA_S7_PS5_: ; @_ZN2at6native12_GLOBAL__N_118cuComputeGradInputIN3c104HalfEfLb1EEEvPKT_S7_llPKT0_SA_S7_PS5_
; %bb.0:
	s_load_dwordx4 s[16:19], s[0:1], 0x10
	s_mov_b32 s14, s3
	s_ashr_i32 s15, s3, 31
	s_waitcnt lgkmcnt(0)
	v_mov_b64_e32 v[2:3], s[16:17]
	v_cmp_ge_i64_e32 vcc, s[14:15], v[2:3]
	s_cbranch_vccnz .LBB162_49
; %bb.1:
	s_load_dword s8, s[0:1], 0x4c
	s_load_dwordx4 s[20:23], s[0:1], 0x30
	s_load_dword s33, s[0:1], 0x44
	s_load_dwordx4 s[24:27], s[0:1], 0x0
	s_load_dwordx2 s[28:29], s[0:1], 0x28
	s_waitcnt lgkmcnt(0)
	s_lshr_b32 s44, s8, 16
	s_and_b32 s45, s8, 0xffff
	s_cmp_lg_u64 s[20:21], 0
	s_cselect_b64 s[6:7], -1, 0
	s_xor_b32 s1, s18, s19
	s_flbit_i32 s0, s19
	s_ashr_i32 s1, s1, 31
	s_add_i32 s0, s0, -1
	s_add_i32 s1, s1, 32
	s_min_u32 s2, s0, s1
	s_lshl_b64 s[0:1], s[18:19], s2
	s_min_u32 s0, s0, 1
	s_or_b32 s0, s1, s0
	v_cvt_f32_i32_e32 v1, s0
	s_sub_i32 s0, 32, s2
	v_and_b32_e32 v12, 0x3ff, v0
	v_bfe_u32 v13, v0, 10, 10
	v_ldexp_f32 v15, v1, s0
	v_div_scale_f32 v1, s[0:1], v15, v15, 1.0
	v_rcp_f32_e32 v2, v1
	s_mul_i32 s30, s44, s45
	v_mad_u32_u24 v0, v13, s45, v12
	s_ashr_i32 s31, s30, 31
	v_fma_f32 v3, -v1, v2, 1.0
	v_fmac_f32_e32 v2, v3, v2
	v_div_scale_f32 v3, vcc, 1.0, v15, 1.0
	v_mul_f32_e32 v4, v3, v2
	v_fma_f32 v5, -v1, v4, v3
	v_fmac_f32_e32 v4, v5, v2
	v_fma_f32 v1, -v1, v4, v3
	v_div_fmas_f32 v1, v1, v2, v4
	v_add_u32_e32 v2, s30, v0
	v_ashrrev_i32_e32 v3, 31, v2
	v_mov_b32_e32 v4, s31
	v_subrev_co_u32_e32 v2, vcc, s30, v2
	v_mbcnt_lo_u32_b32 v6, -1, 0
	s_nop 0
	v_subb_co_u32_e32 v3, vcc, v3, v4, vcc
	v_cndmask_b32_e64 v4, 0, 1, s[6:7]
	v_cmp_gt_i64_e64 s[6:7], s[18:19], 0
	v_mbcnt_hi_u32_b32 v18, -1, v6
	v_div_fixup_f32 v17, v1, v15, 1.0
	v_mov_b32_e32 v1, 0
	v_cndmask_b32_e64 v5, 0, 1, s[6:7]
	v_and_b32_e32 v6, 64, v18
	v_lshl_add_u32 v14, v0, 3, 0
	v_cmp_eq_u32_e64 s[0:1], 0, v13
	v_cmp_ne_u32_e64 s[2:3], 0, v13
	v_lshl_add_u32 v16, v12, 3, 0
	v_cmp_gt_i64_e64 s[4:5], s[18:19], v[0:1]
	v_cmp_gt_u16_e64 s[34:35], s8, 1
	v_add_u32_e32 v19, 64, v6
	v_cmp_ne_u32_e64 s[6:7], 1, v4
	v_cmp_ne_u32_e64 s[8:9], 1, v5
	v_mov_b64_e32 v[4:5], s[18:19]
	v_mov_b64_e32 v[6:7], s[18:19]
	v_cmp_gt_u16_e64 s[36:37], s44, 1
	s_branch .LBB162_4
.LBB162_2:                              ;   in Loop: Header=BB162_4 Depth=1
	s_or_b64 exec, exec, s[12:13]
.LBB162_3:                              ;   in Loop: Header=BB162_4 Depth=1
	s_add_i32 s14, s33, s14
	s_ashr_i32 s15, s14, 31
	v_mov_b64_e32 v[8:9], s[16:17]
	v_cmp_ge_i64_e32 vcc, s[14:15], v[8:9]
	s_barrier
	s_cbranch_vccnz .LBB162_49
.LBB162_4:                              ; =>This Loop Header: Depth=1
                                        ;     Child Loop BB162_8 Depth 2
                                        ;     Child Loop BB162_20 Depth 2
	;; [unrolled: 1-line block ×6, first 2 shown]
	s_mul_i32 s10, s14, s19
	s_mul_hi_u32 s11, s14, s18
	s_add_i32 s10, s11, s10
	s_mul_i32 s11, s15, s18
	s_add_i32 s11, s10, s11
	s_lshl_b64 s[12:13], s[14:15], 2
	s_add_u32 s12, s28, s12
	s_mul_i32 s10, s14, s18
	s_addc_u32 s13, s29, s13
	s_load_dword s15, s[12:13], 0x0
	s_lshl_b64 s[42:43], s[10:11], 1
	s_add_u32 s38, s26, s42
	s_addc_u32 s39, s27, s43
	s_add_u32 s40, s24, s42
	s_addc_u32 s41, s25, s43
	s_and_b64 vcc, exec, s[6:7]
	s_cbranch_vccnz .LBB162_14
; %bb.5:                                ;   in Loop: Header=BB162_4 Depth=1
	s_and_b64 vcc, exec, s[8:9]
	s_cbranch_vccnz .LBB162_15
; %bb.6:                                ;   in Loop: Header=BB162_4 Depth=1
	s_mov_b32 s10, 0
	v_mov_b32_e32 v20, 0
	s_branch .LBB162_8
.LBB162_7:                              ;   in Loop: Header=BB162_8 Depth=2
	s_or_b64 exec, exec, s[12:13]
	s_waitcnt vmcnt(0)
	v_cvt_f32_f16_e32 v8, v10
	v_cvt_f32_f16_e32 v9, v21
	;; [unrolled: 1-line block ×3, first 2 shown]
	s_add_i32 s10, s10, s30
	s_ashr_i32 s11, s10, 31
	v_mul_f32_e32 v8, v8, v9
	v_mul_f32_e32 v8, v8, v10
	v_cmp_ge_i64_e32 vcc, s[10:11], v[4:5]
	s_waitcnt lgkmcnt(0)
	v_fmac_f32_e32 v20, s15, v8
	s_cbranch_vccnz .LBB162_16
.LBB162_8:                              ;   Parent Loop BB162_4 Depth=1
                                        ; =>  This Inner Loop Header: Depth=2
	v_add_u32_e32 v8, s10, v0
	v_ashrrev_i32_e32 v9, 31, v8
	v_cmp_gt_i64_e32 vcc, s[18:19], v[8:9]
	v_mov_b32_e32 v10, 0
	s_and_saveexec_b64 s[12:13], vcc
	s_cbranch_execz .LBB162_10
; %bb.9:                                ;   in Loop: Header=BB162_8 Depth=2
	v_lshl_add_u64 v[10:11], v[8:9], 1, s[20:21]
	global_load_ushort v10, v[10:11], off
.LBB162_10:                             ;   in Loop: Header=BB162_8 Depth=2
	s_or_b64 exec, exec, s[12:13]
	v_mov_b32_e32 v21, 0
	v_mov_b32_e32 v11, 0
	s_and_saveexec_b64 s[12:13], vcc
	s_cbranch_execz .LBB162_12
; %bb.11:                               ;   in Loop: Header=BB162_8 Depth=2
	v_lshl_add_u64 v[22:23], v[8:9], 1, s[38:39]
	global_load_ushort v11, v[22:23], off
.LBB162_12:                             ;   in Loop: Header=BB162_8 Depth=2
	s_or_b64 exec, exec, s[12:13]
	s_and_saveexec_b64 s[12:13], vcc
	s_cbranch_execz .LBB162_7
; %bb.13:                               ;   in Loop: Header=BB162_8 Depth=2
	v_lshl_add_u64 v[8:9], v[8:9], 1, s[40:41]
	global_load_ushort v21, v[8:9], off
	s_branch .LBB162_7
.LBB162_14:                             ;   in Loop: Header=BB162_4 Depth=1
                                        ; implicit-def: $vgpr20
	s_branch .LBB162_17
.LBB162_15:                             ;   in Loop: Header=BB162_4 Depth=1
	v_mov_b32_e32 v20, 0
.LBB162_16:                             ;   in Loop: Header=BB162_4 Depth=1
	s_cbranch_execnz .LBB162_25
.LBB162_17:                             ;   in Loop: Header=BB162_4 Depth=1
	s_and_b64 vcc, exec, s[8:9]
	s_cbranch_vccnz .LBB162_24
; %bb.18:                               ;   in Loop: Header=BB162_4 Depth=1
	s_mov_b32 s10, 0
	v_mov_b32_e32 v20, 0
	s_branch .LBB162_20
.LBB162_19:                             ;   in Loop: Header=BB162_20 Depth=2
	s_or_b64 exec, exec, s[12:13]
	s_waitcnt vmcnt(0)
	v_cvt_f32_f16_e32 v8, v10
	v_cvt_f32_f16_e32 v9, v11
	s_add_i32 s10, s10, s30
	s_ashr_i32 s11, s10, 31
	v_cmp_ge_i64_e32 vcc, s[10:11], v[6:7]
	v_mul_f32_e32 v8, v8, v9
	s_waitcnt lgkmcnt(0)
	v_fmac_f32_e32 v20, s15, v8
	s_cbranch_vccnz .LBB162_25
.LBB162_20:                             ;   Parent Loop BB162_4 Depth=1
                                        ; =>  This Inner Loop Header: Depth=2
	v_add_u32_e32 v8, s10, v0
	v_ashrrev_i32_e32 v9, 31, v8
	v_cmp_gt_i64_e32 vcc, s[18:19], v[8:9]
	v_mov_b32_e32 v10, 0
	s_and_saveexec_b64 s[12:13], vcc
	s_cbranch_execz .LBB162_22
; %bb.21:                               ;   in Loop: Header=BB162_20 Depth=2
	v_lshl_add_u64 v[10:11], v[8:9], 1, s[38:39]
	global_load_ushort v10, v[10:11], off
.LBB162_22:                             ;   in Loop: Header=BB162_20 Depth=2
	s_or_b64 exec, exec, s[12:13]
	v_mov_b32_e32 v11, 0
	s_and_saveexec_b64 s[12:13], vcc
	s_cbranch_execz .LBB162_19
; %bb.23:                               ;   in Loop: Header=BB162_20 Depth=2
	v_lshl_add_u64 v[8:9], v[8:9], 1, s[40:41]
	global_load_ushort v11, v[8:9], off
	s_branch .LBB162_19
.LBB162_24:                             ;   in Loop: Header=BB162_4 Depth=1
	v_mov_b32_e32 v20, 0
.LBB162_25:                             ;   in Loop: Header=BB162_4 Depth=1
	s_andn2_b64 vcc, exec, s[34:35]
	s_cbranch_vccnz .LBB162_28
; %bb.26:                               ;   in Loop: Header=BB162_4 Depth=1
	s_mov_b32 s10, s45
.LBB162_27:                             ;   Parent Loop BB162_4 Depth=1
                                        ; =>  This Inner Loop Header: Depth=2
	s_lshr_b32 s11, s10, 1
	v_xor_b32_e32 v8, s11, v18
	v_cmp_lt_i32_e32 vcc, v8, v19
	s_cmp_lt_u32 s10, 4
	s_mov_b32 s10, s11
	v_cndmask_b32_e32 v8, v18, v8, vcc
	v_lshlrev_b32_e32 v8, 2, v8
	ds_bpermute_b32 v8, v8, v20
	s_waitcnt lgkmcnt(0)
	v_add_f32_e32 v20, v20, v8
	s_cbranch_scc0 .LBB162_27
.LBB162_28:                             ;   in Loop: Header=BB162_4 Depth=1
	s_andn2_b64 vcc, exec, s[36:37]
	s_mov_b32 s46, s44
	s_cbranch_vccnz .LBB162_40
.LBB162_29:                             ;   Parent Loop BB162_4 Depth=1
                                        ; =>  This Inner Loop Header: Depth=2
	s_lshr_b32 s47, s46, 1
	s_and_b32 s12, s46, 0xfffe
	v_cmp_le_u32_e64 s[10:11], s47, v13
	v_cmp_gt_u32_e64 s[12:13], s12, v13
	v_cmp_gt_u32_e32 vcc, s47, v13
	s_and_b64 s[12:13], s[10:11], s[12:13]
	s_and_saveexec_b64 s[10:11], s[12:13]
	s_cbranch_execz .LBB162_31
; %bb.30:                               ;   in Loop: Header=BB162_29 Depth=2
	v_subrev_u32_e32 v8, s47, v13
	v_mad_i32_i24 v8, v8, s45, v12
	v_lshl_add_u32 v8, v8, 3, 0
	ds_write_b32 v8, v20 offset:4
.LBB162_31:                             ;   in Loop: Header=BB162_29 Depth=2
	s_or_b64 exec, exec, s[10:11]
	s_waitcnt lgkmcnt(0)
	s_barrier
	s_and_saveexec_b64 s[10:11], vcc
	s_cbranch_execz .LBB162_33
; %bb.32:                               ;   in Loop: Header=BB162_29 Depth=2
	ds_read_b32 v8, v14 offset:4
	s_waitcnt lgkmcnt(0)
	v_add_f32_e32 v20, v20, v8
.LBB162_33:                             ;   in Loop: Header=BB162_29 Depth=2
	s_or_b64 exec, exec, s[10:11]
	s_cmp_lt_u32 s46, 4
	s_barrier
	s_cbranch_scc1 .LBB162_35
; %bb.34:                               ;   in Loop: Header=BB162_29 Depth=2
	s_mov_b32 s46, s47
	s_branch .LBB162_29
.LBB162_35:                             ;   in Loop: Header=BB162_4 Depth=1
	s_and_saveexec_b64 s[10:11], s[0:1]
	s_cbranch_execz .LBB162_37
; %bb.36:                               ;   in Loop: Header=BB162_4 Depth=1
	ds_write_b32 v16, v20 offset:4
.LBB162_37:                             ;   in Loop: Header=BB162_4 Depth=1
	s_or_b64 exec, exec, s[10:11]
	s_waitcnt lgkmcnt(0)
	s_barrier
	s_and_saveexec_b64 s[10:11], s[2:3]
	s_cbranch_execz .LBB162_39
; %bb.38:                               ;   in Loop: Header=BB162_4 Depth=1
	ds_read_b32 v20, v16 offset:4
.LBB162_39:                             ;   in Loop: Header=BB162_4 Depth=1
	s_or_b64 exec, exec, s[10:11]
.LBB162_40:                             ;   in Loop: Header=BB162_4 Depth=1
	s_add_u32 s10, s22, s42
	s_addc_u32 s11, s23, s43
	s_and_b64 vcc, exec, s[6:7]
	s_waitcnt lgkmcnt(0)
	v_mul_f32_e32 v21, s15, v17
	s_cbranch_vccnz .LBB162_45
; %bb.41:                               ;   in Loop: Header=BB162_4 Depth=1
	s_and_saveexec_b64 s[12:13], s[4:5]
	s_cbranch_execz .LBB162_44
; %bb.42:                               ;   in Loop: Header=BB162_4 Depth=1
	s_mov_b64 s[42:43], 0
	v_mov_b64_e32 v[8:9], v[2:3]
	v_mov_b64_e32 v[10:11], v[0:1]
.LBB162_43:                             ;   Parent Loop BB162_4 Depth=1
                                        ; =>  This Inner Loop Header: Depth=2
	v_lshlrev_b64 v[10:11], 1, v[10:11]
	v_lshl_add_u64 v[22:23], s[38:39], 0, v[10:11]
	v_lshl_add_u64 v[24:25], s[40:41], 0, v[10:11]
	global_load_ushort v26, v[22:23], off
	global_load_ushort v27, v[24:25], off
	v_lshl_add_u64 v[22:23], s[20:21], 0, v[10:11]
	global_load_ushort v24, v[22:23], off
	v_lshl_add_u64 v[8:9], v[8:9], 0, s[30:31]
	v_cmp_le_i64_e32 vcc, s[18:19], v[8:9]
	v_lshl_add_u64 v[22:23], s[10:11], 0, v[10:11]
	v_ashrrev_i32_e32 v11, 31, v8
	v_mov_b32_e32 v10, v8
	s_or_b64 s[42:43], vcc, s[42:43]
	s_waitcnt vmcnt(2)
	v_cvt_f32_f16_e32 v25, v26
	s_waitcnt vmcnt(1)
	v_cvt_f32_f16_e32 v26, v27
	v_mul_f32_e32 v25, s15, v25
	v_mul_f32_e32 v26, v15, v26
	;; [unrolled: 1-line block ×3, first 2 shown]
	s_waitcnt vmcnt(0)
	v_fma_mix_f32 v24, v26, v24, -v25 op_sel_hi:[0,1,0]
	v_fma_mixlo_f16 v24, v21, v24, 0
	global_store_short v[22:23], v24, off
	s_andn2_b64 exec, exec, s[42:43]
	s_cbranch_execnz .LBB162_43
.LBB162_44:                             ;   in Loop: Header=BB162_4 Depth=1
	s_or_b64 exec, exec, s[12:13]
	s_cbranch_execnz .LBB162_3
	s_branch .LBB162_46
.LBB162_45:                             ;   in Loop: Header=BB162_4 Depth=1
.LBB162_46:                             ;   in Loop: Header=BB162_4 Depth=1
	s_and_saveexec_b64 s[12:13], s[4:5]
	s_cbranch_execz .LBB162_2
; %bb.47:                               ;   in Loop: Header=BB162_4 Depth=1
	s_mov_b64 s[42:43], 0
	v_mov_b64_e32 v[8:9], v[2:3]
	v_mov_b64_e32 v[10:11], v[0:1]
.LBB162_48:                             ;   Parent Loop BB162_4 Depth=1
                                        ; =>  This Inner Loop Header: Depth=2
	v_lshlrev_b64 v[10:11], 1, v[10:11]
	v_lshl_add_u64 v[22:23], s[38:39], 0, v[10:11]
	global_load_ushort v24, v[22:23], off
	v_lshl_add_u64 v[22:23], s[40:41], 0, v[10:11]
	global_load_ushort v25, v[22:23], off
	v_lshl_add_u64 v[8:9], v[8:9], 0, s[30:31]
	v_cmp_le_i64_e32 vcc, s[18:19], v[8:9]
	v_lshl_add_u64 v[22:23], s[10:11], 0, v[10:11]
	v_ashrrev_i32_e32 v11, 31, v8
	v_mov_b32_e32 v10, v8
	s_or_b64 s[42:43], vcc, s[42:43]
	s_waitcnt vmcnt(1)
	v_cvt_f32_f16_e32 v24, v24
	v_mul_f32_e32 v24, s15, v24
	v_mul_f32_e32 v24, v20, v24
	s_waitcnt vmcnt(0)
	v_fma_mix_f32 v24, v15, v25, -v24 op_sel_hi:[0,1,0]
	v_fma_mixlo_f16 v24, v21, v24, 0
	global_store_short v[22:23], v24, off
	s_andn2_b64 exec, exec, s[42:43]
	s_cbranch_execnz .LBB162_48
	s_branch .LBB162_2
.LBB162_49:
	s_endpgm
	.section	.rodata,"a",@progbits
	.p2align	6, 0x0
	.amdhsa_kernel _ZN2at6native12_GLOBAL__N_118cuComputeGradInputIN3c104HalfEfLb1EEEvPKT_S7_llPKT0_SA_S7_PS5_
		.amdhsa_group_segment_fixed_size 0
		.amdhsa_private_segment_fixed_size 0
		.amdhsa_kernarg_size 320
		.amdhsa_user_sgpr_count 2
		.amdhsa_user_sgpr_dispatch_ptr 0
		.amdhsa_user_sgpr_queue_ptr 0
		.amdhsa_user_sgpr_kernarg_segment_ptr 1
		.amdhsa_user_sgpr_dispatch_id 0
		.amdhsa_user_sgpr_kernarg_preload_length 0
		.amdhsa_user_sgpr_kernarg_preload_offset 0
		.amdhsa_user_sgpr_private_segment_size 0
		.amdhsa_uses_dynamic_stack 0
		.amdhsa_enable_private_segment 0
		.amdhsa_system_sgpr_workgroup_id_x 1
		.amdhsa_system_sgpr_workgroup_id_y 1
		.amdhsa_system_sgpr_workgroup_id_z 0
		.amdhsa_system_sgpr_workgroup_info 0
		.amdhsa_system_vgpr_workitem_id 1
		.amdhsa_next_free_vgpr 28
		.amdhsa_next_free_sgpr 48
		.amdhsa_accum_offset 28
		.amdhsa_reserve_vcc 1
		.amdhsa_float_round_mode_32 0
		.amdhsa_float_round_mode_16_64 0
		.amdhsa_float_denorm_mode_32 3
		.amdhsa_float_denorm_mode_16_64 3
		.amdhsa_dx10_clamp 1
		.amdhsa_ieee_mode 1
		.amdhsa_fp16_overflow 0
		.amdhsa_tg_split 0
		.amdhsa_exception_fp_ieee_invalid_op 0
		.amdhsa_exception_fp_denorm_src 0
		.amdhsa_exception_fp_ieee_div_zero 0
		.amdhsa_exception_fp_ieee_overflow 0
		.amdhsa_exception_fp_ieee_underflow 0
		.amdhsa_exception_fp_ieee_inexact 0
		.amdhsa_exception_int_div_zero 0
	.end_amdhsa_kernel
	.section	.text._ZN2at6native12_GLOBAL__N_118cuComputeGradInputIN3c104HalfEfLb1EEEvPKT_S7_llPKT0_SA_S7_PS5_,"axG",@progbits,_ZN2at6native12_GLOBAL__N_118cuComputeGradInputIN3c104HalfEfLb1EEEvPKT_S7_llPKT0_SA_S7_PS5_,comdat
.Lfunc_end162:
	.size	_ZN2at6native12_GLOBAL__N_118cuComputeGradInputIN3c104HalfEfLb1EEEvPKT_S7_llPKT0_SA_S7_PS5_, .Lfunc_end162-_ZN2at6native12_GLOBAL__N_118cuComputeGradInputIN3c104HalfEfLb1EEEvPKT_S7_llPKT0_SA_S7_PS5_
                                        ; -- End function
	.section	.AMDGPU.csdata,"",@progbits
; Kernel info:
; codeLenInByte = 1460
; NumSgprs: 54
; NumVgprs: 28
; NumAgprs: 0
; TotalNumVgprs: 28
; ScratchSize: 0
; MemoryBound: 0
; FloatMode: 240
; IeeeMode: 1
; LDSByteSize: 0 bytes/workgroup (compile time only)
; SGPRBlocks: 6
; VGPRBlocks: 3
; NumSGPRsForWavesPerEU: 54
; NumVGPRsForWavesPerEU: 28
; AccumOffset: 28
; Occupancy: 8
; WaveLimiterHint : 0
; COMPUTE_PGM_RSRC2:SCRATCH_EN: 0
; COMPUTE_PGM_RSRC2:USER_SGPR: 2
; COMPUTE_PGM_RSRC2:TRAP_HANDLER: 0
; COMPUTE_PGM_RSRC2:TGID_X_EN: 1
; COMPUTE_PGM_RSRC2:TGID_Y_EN: 1
; COMPUTE_PGM_RSRC2:TGID_Z_EN: 0
; COMPUTE_PGM_RSRC2:TIDIG_COMP_CNT: 1
; COMPUTE_PGM_RSRC3_GFX90A:ACCUM_OFFSET: 6
; COMPUTE_PGM_RSRC3_GFX90A:TG_SPLIT: 0
	.section	.text._ZN2at6native12_GLOBAL__N_128layer_norm_grad_input_kernelIN3c104HalfEfLb1EEEvPKT_S7_PKT0_SA_S7_PS5_i,"axG",@progbits,_ZN2at6native12_GLOBAL__N_128layer_norm_grad_input_kernelIN3c104HalfEfLb1EEEvPKT_S7_PKT0_SA_S7_PS5_i,comdat
	.globl	_ZN2at6native12_GLOBAL__N_128layer_norm_grad_input_kernelIN3c104HalfEfLb1EEEvPKT_S7_PKT0_SA_S7_PS5_i ; -- Begin function _ZN2at6native12_GLOBAL__N_128layer_norm_grad_input_kernelIN3c104HalfEfLb1EEEvPKT_S7_PKT0_SA_S7_PS5_i
	.p2align	8
	.type	_ZN2at6native12_GLOBAL__N_128layer_norm_grad_input_kernelIN3c104HalfEfLb1EEEvPKT_S7_PKT0_SA_S7_PS5_i,@function
_ZN2at6native12_GLOBAL__N_128layer_norm_grad_input_kernelIN3c104HalfEfLb1EEEvPKT_S7_PKT0_SA_S7_PS5_i: ; @_ZN2at6native12_GLOBAL__N_128layer_norm_grad_input_kernelIN3c104HalfEfLb1EEEvPKT_S7_PKT0_SA_S7_PS5_i
; %bb.0:
	s_load_dword s30, s[0:1], 0x30
	s_load_dwordx4 s[8:11], s[0:1], 0x0
	s_load_dwordx4 s[4:7], s[0:1], 0x18
	s_mov_b32 s3, 0
	v_lshlrev_b32_e32 v2, 2, v0
	s_waitcnt lgkmcnt(0)
	s_ashr_i32 s12, s30, 31
	s_mul_hi_u32 s13, s30, s2
	s_mul_i32 s12, s12, s2
	s_add_i32 s17, s13, s12
	s_mul_i32 s16, s30, s2
	s_lshl_b64 s[2:3], s[2:3], 2
	s_add_u32 s2, s4, s2
	s_addc_u32 s3, s5, s3
	s_load_dword s31, s[2:3], 0x0
	s_lshl_b64 s[14:15], s[16:17], 1
	s_add_u32 s4, s10, s14
	s_addc_u32 s5, s11, s15
	s_add_u32 s12, s8, s14
	v_or_b32_e32 v1, 3, v2
	s_addc_u32 s13, s9, s15
	v_cmp_gt_u32_e32 vcc, s30, v1
	v_mov_b32_e32 v1, 0
	s_and_saveexec_b64 s[18:19], vcc
	s_cbranch_execz .LBB163_12
; %bb.1:
	s_load_dword s2, s[0:1], 0x44
	s_cmp_lg_u64 s[6:7], 0
	s_cselect_b64 s[22:23], -1, 0
	v_cndmask_b32_e64 v1, 0, 1, s[22:23]
	s_mov_b64 s[20:21], 0
	s_waitcnt lgkmcnt(0)
	s_and_b32 s2, s2, 0xffff
	s_lshl_b32 s33, s2, 2
	s_add_u32 s24, s6, 2
	s_addc_u32 s25, s7, 0
	s_add_u32 s26, s6, 4
	s_addc_u32 s27, s7, 0
	s_add_u32 s28, s6, 6
	v_mov_b32_e32 v3, 0
	s_addc_u32 s29, s7, 0
	v_cmp_ne_u32_e64 s[2:3], 1, v1
	v_mov_b32_e32 v1, 0
	s_branch .LBB163_3
.LBB163_2:                              ;   in Loop: Header=BB163_3 Depth=1
	global_load_ushort v18, v[6:7], off offset:6
	global_load_ushort v19, v[4:5], off offset:6
	s_waitcnt vmcnt(6)
	v_cvt_f32_f16_e32 v5, v12
	v_cvt_f32_f16_e32 v4, v11
	s_waitcnt vmcnt(4)
	v_cvt_f32_f16_e32 v7, v15
	v_cvt_f32_f16_e32 v6, v14
	v_mul_f32_e32 v5, v9, v5
	s_waitcnt vmcnt(2)
	v_cvt_f32_f16_e32 v12, v17
	v_mul_f32_e32 v4, v5, v4
	v_cvt_f32_f16_e32 v11, v16
	v_mul_f32_e32 v7, v8, v7
	v_fmac_f32_e32 v1, s31, v4
	v_mul_f32_e32 v5, v7, v6
	v_add_u32_e32 v2, s33, v2
	v_mul_f32_e32 v8, v13, v12
	v_add_u32_e32 v14, 3, v2
	v_mul_f32_e32 v6, v8, v11
	v_fmac_f32_e32 v1, s31, v5
	v_cmp_le_u32_e32 vcc, s30, v14
	v_fmac_f32_e32 v1, s31, v6
	s_or_b64 s[20:21], vcc, s[20:21]
	s_waitcnt vmcnt(1)
	v_cvt_f32_f16_e32 v4, v18
	s_waitcnt vmcnt(0)
	v_cvt_f32_f16_e32 v7, v19
	v_mul_f32_e32 v4, v10, v4
	v_mul_f32_e32 v4, v4, v7
	v_fmac_f32_e32 v1, s31, v4
	s_andn2_b64 exec, exec, s[20:21]
	s_cbranch_execz .LBB163_11
.LBB163_3:                              ; =>This Inner Loop Header: Depth=1
	s_and_b64 vcc, exec, s[22:23]
	v_mov_b32_e32 v8, 1.0
	v_mov_b32_e32 v9, 1.0
	s_cbranch_vccz .LBB163_5
; %bb.4:                                ;   in Loop: Header=BB163_3 Depth=1
	v_lshl_add_u64 v[4:5], v[2:3], 1, s[6:7]
	global_load_ushort v4, v[4:5], off
	s_waitcnt vmcnt(0)
	v_cvt_f32_f16_e32 v9, v4
.LBB163_5:                              ;   in Loop: Header=BB163_3 Depth=1
	v_lshlrev_b64 v[6:7], 1, v[2:3]
	v_lshl_add_u64 v[4:5], s[4:5], 0, v[6:7]
	v_lshl_add_u64 v[6:7], s[12:13], 0, v[6:7]
	global_load_ushort v11, v[4:5], off
	global_load_ushort v12, v[6:7], off
	s_and_b64 vcc, exec, s[2:3]
	s_cbranch_vccnz .LBB163_7
; %bb.6:                                ;   in Loop: Header=BB163_3 Depth=1
	v_lshl_add_u64 v[14:15], v[2:3], 1, s[24:25]
	global_load_ushort v8, v[14:15], off
	s_waitcnt vmcnt(0)
	v_cvt_f32_f16_e32 v8, v8
.LBB163_7:                              ;   in Loop: Header=BB163_3 Depth=1
	global_load_ushort v14, v[4:5], off offset:2
	global_load_ushort v15, v[6:7], off offset:2
	s_and_b64 vcc, exec, s[2:3]
	v_mov_b32_e32 v10, 1.0
	v_mov_b32_e32 v13, 1.0
	s_cbranch_vccnz .LBB163_9
; %bb.8:                                ;   in Loop: Header=BB163_3 Depth=1
	v_lshl_add_u64 v[16:17], v[2:3], 1, s[26:27]
	global_load_ushort v13, v[16:17], off
	s_waitcnt vmcnt(0)
	v_cvt_f32_f16_e32 v13, v13
.LBB163_9:                              ;   in Loop: Header=BB163_3 Depth=1
	global_load_ushort v16, v[4:5], off offset:4
	global_load_ushort v17, v[6:7], off offset:4
	s_and_b64 vcc, exec, s[2:3]
	s_cbranch_vccnz .LBB163_2
; %bb.10:                               ;   in Loop: Header=BB163_3 Depth=1
	v_lshl_add_u64 v[18:19], v[2:3], 1, s[28:29]
	global_load_ushort v10, v[18:19], off
	s_waitcnt vmcnt(0)
	v_cvt_f32_f16_e32 v10, v10
	s_branch .LBB163_2
.LBB163_11:
	s_or_b64 exec, exec, s[20:21]
.LBB163_12:
	s_or_b64 exec, exec, s[18:19]
	v_cmp_gt_u32_e32 vcc, s30, v2
	s_and_saveexec_b64 s[18:19], vcc
	s_cbranch_execz .LBB163_19
; %bb.13:
	s_cmp_lg_u64 s[6:7], 0
	v_mov_b32_e32 v3, 0
	v_lshlrev_b64 v[6:7], 1, v[2:3]
	s_cselect_b64 s[2:3], -1, 0
	v_lshl_add_u64 v[8:9], s[16:17], 1, v[6:7]
	v_cndmask_b32_e64 v3, 0, 1, s[2:3]
	s_mov_b64 s[20:21], 0
	v_lshl_add_u64 v[4:5], s[6:7], 0, v[6:7]
	v_lshl_add_u64 v[6:7], s[10:11], 0, v[8:9]
	;; [unrolled: 1-line block ×3, first 2 shown]
	v_cmp_ne_u32_e64 s[2:3], 1, v3
	s_branch .LBB163_16
.LBB163_14:                             ;   in Loop: Header=BB163_16 Depth=1
	global_load_ushort v3, v[4:5], off
	s_waitcnt vmcnt(0)
	v_cvt_f32_f16_e32 v3, v3
.LBB163_15:                             ;   in Loop: Header=BB163_16 Depth=1
	global_load_ushort v10, v[8:9], off
	global_load_ushort v11, v[6:7], off
	v_add_u32_e32 v2, 1, v2
	v_cmp_le_u32_e32 vcc, s30, v2
	v_lshl_add_u64 v[4:5], v[4:5], 0, 2
	v_lshl_add_u64 v[6:7], v[6:7], 0, 2
	s_or_b64 s[20:21], vcc, s[20:21]
	v_lshl_add_u64 v[8:9], v[8:9], 0, 2
	s_waitcnt vmcnt(1)
	v_cvt_f32_f16_e32 v10, v10
	s_waitcnt vmcnt(0)
	v_cvt_f32_f16_e32 v11, v11
	v_mul_f32_e32 v3, v3, v10
	v_mul_f32_e32 v3, v3, v11
	s_waitcnt lgkmcnt(0)
	v_fmac_f32_e32 v1, s31, v3
	s_andn2_b64 exec, exec, s[20:21]
	s_cbranch_execz .LBB163_18
.LBB163_16:                             ; =>This Inner Loop Header: Depth=1
	s_and_b64 vcc, exec, s[2:3]
	s_cbranch_vccz .LBB163_14
; %bb.17:                               ;   in Loop: Header=BB163_16 Depth=1
	v_mov_b32_e32 v3, 1.0
	s_branch .LBB163_15
.LBB163_18:
	s_or_b64 exec, exec, s[20:21]
.LBB163_19:
	s_or_b64 exec, exec, s[18:19]
	v_mbcnt_lo_u32_b32 v2, -1, 0
	v_mbcnt_hi_u32_b32 v6, -1, v2
	v_and_b32_e32 v9, 63, v6
	v_cmp_gt_u32_e32 vcc, 32, v9
	s_waitcnt lgkmcnt(0)
	s_barrier
	v_cndmask_b32_e64 v2, 0, 1, vcc
	v_lshlrev_b32_e32 v2, 5, v2
	v_add_lshl_u32 v2, v2, v6, 2
	ds_bpermute_b32 v3, v2, v1
	v_cmp_gt_u32_e32 vcc, 48, v9
	s_waitcnt lgkmcnt(0)
	v_add_f32_e32 v3, v1, v3
	v_cndmask_b32_e64 v4, 0, 1, vcc
	v_lshlrev_b32_e32 v4, 4, v4
	v_add_lshl_u32 v1, v4, v6, 2
	ds_bpermute_b32 v4, v1, v3
	v_cmp_gt_u32_e32 vcc, 56, v9
	s_waitcnt lgkmcnt(0)
	v_add_f32_e32 v4, v3, v4
	;; [unrolled: 7-line block ×4, first 2 shown]
	v_cndmask_b32_e64 v8, 0, 1, vcc
	v_lshlrev_b32_e32 v8, 1, v8
	v_add_lshl_u32 v5, v8, v6, 2
	ds_bpermute_b32 v8, v5, v10
	v_cmp_ne_u32_e32 vcc, 63, v9
	v_and_b32_e32 v7, 63, v0
	s_waitcnt lgkmcnt(0)
	v_add_f32_e32 v8, v10, v8
	v_addc_co_u32_e32 v6, vcc, 0, v6, vcc
	v_lshlrev_b32_e32 v6, 2, v6
	ds_bpermute_b32 v9, v6, v8
	v_cmp_eq_u32_e32 vcc, 0, v7
	s_and_saveexec_b64 s[2:3], vcc
	s_cbranch_execz .LBB163_21
; %bb.20:
	v_lshrrev_b32_e32 v10, 4, v0
	v_add_u32_e32 v10, 0, v10
	s_waitcnt lgkmcnt(0)
	v_add_f32_e32 v8, v8, v9
	ds_write_b32 v10, v8
.LBB163_21:
	s_or_b64 exec, exec, s[2:3]
	s_waitcnt lgkmcnt(0)
	s_barrier
	s_load_dword s8, s[0:1], 0x44
	v_mov_b32_e32 v8, 0
	s_waitcnt lgkmcnt(0)
	s_bfe_u32 s2, s8, 0xa0006
	v_cmp_gt_u32_e32 vcc, s2, v0
	s_and_saveexec_b64 s[2:3], vcc
	s_cbranch_execnz .LBB163_32
; %bb.22:
	s_or_b64 exec, exec, s[2:3]
	v_cmp_gt_u32_e32 vcc, 64, v0
	s_and_saveexec_b64 s[2:3], vcc
	s_cbranch_execnz .LBB163_33
.LBB163_23:
	s_or_b64 exec, exec, s[2:3]
	v_cmp_eq_u32_e32 vcc, 0, v0
	s_and_saveexec_b64 s[2:3], vcc
	s_cbranch_execz .LBB163_25
.LBB163_24:
	v_mov_b32_e32 v1, 0
	s_waitcnt lgkmcnt(0)
	ds_write_b32 v1, v8 offset:4
.LBB163_25:
	s_or_b64 exec, exec, s[2:3]
	v_cmp_gt_i32_e32 vcc, s30, v0
	s_waitcnt lgkmcnt(0)
	s_barrier
	s_and_saveexec_b64 s[2:3], vcc
	s_cbranch_execz .LBB163_31
; %bb.26:
	v_cvt_f32_i32_e32 v2, s30
	s_load_dwordx2 s[0:1], s[0:1], 0x28
	v_mov_b32_e32 v1, 0
	ds_read_b32 v3, v1 offset:4
	v_div_scale_f32 v4, s[2:3], v2, v2, 1.0
	v_rcp_f32_e32 v5, v4
	v_div_scale_f32 v1, vcc, 1.0, v2, 1.0
	s_and_b32 s10, s8, 0xffff
	v_fma_f32 v6, -v4, v5, 1.0
	v_fmac_f32_e32 v5, v6, v5
	v_mul_f32_e32 v6, v1, v5
	v_fma_f32 v7, -v4, v6, v1
	v_fmac_f32_e32 v6, v7, v5
	s_waitcnt lgkmcnt(0)
	s_add_u32 s2, s0, s14
	v_fma_f32 v1, -v4, v6, v1
	s_addc_u32 s3, s1, s15
	v_div_fmas_f32 v1, v1, v5, v6
	s_cmp_lg_u64 s[6:7], 0
	v_div_fixup_f32 v1, v1, v2, 1.0
	s_cselect_b64 s[0:1], -1, 0
	v_mul_f32_e32 v4, s31, v1
	v_cndmask_b32_e64 v1, 0, 1, s[0:1]
	s_mov_b64 s[8:9], 0
	v_cmp_ne_u32_e64 s[0:1], 1, v1
	s_branch .LBB163_29
.LBB163_27:                             ;   in Loop: Header=BB163_29 Depth=1
	v_lshl_add_u64 v[8:9], v[0:1], 1, s[6:7]
	global_load_ushort v7, v[8:9], off
	s_waitcnt vmcnt(0)
	v_cvt_f32_f16_e32 v7, v7
.LBB163_28:                             ;   in Loop: Header=BB163_29 Depth=1
	s_waitcnt vmcnt(1)
	v_cvt_f32_f16_e32 v8, v6
	v_mul_f32_e32 v9, v7, v2
	v_lshl_add_u64 v[6:7], v[0:1], 1, s[2:3]
	v_add_u32_e32 v0, s10, v0
	v_mul_f32_e32 v1, s31, v8
	v_mul_f32_e32 v1, v3, v1
	s_waitcnt vmcnt(0)
	v_fma_mix_f32 v1, v9, v5, -v1 op_sel_hi:[0,1,0]
	v_cmp_le_i32_e32 vcc, s30, v0
	v_fma_mixlo_f16 v1, v4, v1, 0
	s_or_b64 s[8:9], vcc, s[8:9]
	global_store_short v[6:7], v1, off
	s_andn2_b64 exec, exec, s[8:9]
	s_cbranch_execz .LBB163_31
.LBB163_29:                             ; =>This Inner Loop Header: Depth=1
	v_ashrrev_i32_e32 v1, 31, v0
	v_lshlrev_b64 v[8:9], 1, v[0:1]
	v_lshl_add_u64 v[6:7], s[4:5], 0, v[8:9]
	v_lshl_add_u64 v[8:9], s[12:13], 0, v[8:9]
	global_load_ushort v6, v[6:7], off
	s_and_b64 vcc, exec, s[0:1]
	global_load_ushort v5, v[8:9], off
	s_cbranch_vccz .LBB163_27
; %bb.30:                               ;   in Loop: Header=BB163_29 Depth=1
	v_mov_b32_e32 v7, 1.0
	s_branch .LBB163_28
.LBB163_31:
	s_endpgm
.LBB163_32:
	v_lshl_add_u32 v7, v7, 2, 0
	ds_read_b32 v8, v7
	s_or_b64 exec, exec, s[2:3]
	v_cmp_gt_u32_e32 vcc, 64, v0
	s_and_saveexec_b64 s[2:3], vcc
	s_cbranch_execz .LBB163_23
.LBB163_33:
	s_waitcnt lgkmcnt(0)
	ds_bpermute_b32 v2, v2, v8
	s_waitcnt lgkmcnt(0)
	v_add_f32_e32 v2, v8, v2
	ds_bpermute_b32 v1, v1, v2
	s_waitcnt lgkmcnt(0)
	v_add_f32_e32 v1, v2, v1
	;; [unrolled: 3-line block ×6, first 2 shown]
	s_or_b64 exec, exec, s[2:3]
	v_cmp_eq_u32_e32 vcc, 0, v0
	s_and_saveexec_b64 s[2:3], vcc
	s_cbranch_execnz .LBB163_24
	s_branch .LBB163_25
	.section	.rodata,"a",@progbits
	.p2align	6, 0x0
	.amdhsa_kernel _ZN2at6native12_GLOBAL__N_128layer_norm_grad_input_kernelIN3c104HalfEfLb1EEEvPKT_S7_PKT0_SA_S7_PS5_i
		.amdhsa_group_segment_fixed_size 0
		.amdhsa_private_segment_fixed_size 0
		.amdhsa_kernarg_size 312
		.amdhsa_user_sgpr_count 2
		.amdhsa_user_sgpr_dispatch_ptr 0
		.amdhsa_user_sgpr_queue_ptr 0
		.amdhsa_user_sgpr_kernarg_segment_ptr 1
		.amdhsa_user_sgpr_dispatch_id 0
		.amdhsa_user_sgpr_kernarg_preload_length 0
		.amdhsa_user_sgpr_kernarg_preload_offset 0
		.amdhsa_user_sgpr_private_segment_size 0
		.amdhsa_uses_dynamic_stack 0
		.amdhsa_enable_private_segment 0
		.amdhsa_system_sgpr_workgroup_id_x 1
		.amdhsa_system_sgpr_workgroup_id_y 0
		.amdhsa_system_sgpr_workgroup_id_z 0
		.amdhsa_system_sgpr_workgroup_info 0
		.amdhsa_system_vgpr_workitem_id 0
		.amdhsa_next_free_vgpr 20
		.amdhsa_next_free_sgpr 34
		.amdhsa_accum_offset 20
		.amdhsa_reserve_vcc 1
		.amdhsa_float_round_mode_32 0
		.amdhsa_float_round_mode_16_64 0
		.amdhsa_float_denorm_mode_32 3
		.amdhsa_float_denorm_mode_16_64 3
		.amdhsa_dx10_clamp 1
		.amdhsa_ieee_mode 1
		.amdhsa_fp16_overflow 0
		.amdhsa_tg_split 0
		.amdhsa_exception_fp_ieee_invalid_op 0
		.amdhsa_exception_fp_denorm_src 0
		.amdhsa_exception_fp_ieee_div_zero 0
		.amdhsa_exception_fp_ieee_overflow 0
		.amdhsa_exception_fp_ieee_underflow 0
		.amdhsa_exception_fp_ieee_inexact 0
		.amdhsa_exception_int_div_zero 0
	.end_amdhsa_kernel
	.section	.text._ZN2at6native12_GLOBAL__N_128layer_norm_grad_input_kernelIN3c104HalfEfLb1EEEvPKT_S7_PKT0_SA_S7_PS5_i,"axG",@progbits,_ZN2at6native12_GLOBAL__N_128layer_norm_grad_input_kernelIN3c104HalfEfLb1EEEvPKT_S7_PKT0_SA_S7_PS5_i,comdat
.Lfunc_end163:
	.size	_ZN2at6native12_GLOBAL__N_128layer_norm_grad_input_kernelIN3c104HalfEfLb1EEEvPKT_S7_PKT0_SA_S7_PS5_i, .Lfunc_end163-_ZN2at6native12_GLOBAL__N_128layer_norm_grad_input_kernelIN3c104HalfEfLb1EEEvPKT_S7_PKT0_SA_S7_PS5_i
                                        ; -- End function
	.section	.AMDGPU.csdata,"",@progbits
; Kernel info:
; codeLenInByte = 1668
; NumSgprs: 40
; NumVgprs: 20
; NumAgprs: 0
; TotalNumVgprs: 20
; ScratchSize: 0
; MemoryBound: 0
; FloatMode: 240
; IeeeMode: 1
; LDSByteSize: 0 bytes/workgroup (compile time only)
; SGPRBlocks: 4
; VGPRBlocks: 2
; NumSGPRsForWavesPerEU: 40
; NumVGPRsForWavesPerEU: 20
; AccumOffset: 20
; Occupancy: 8
; WaveLimiterHint : 0
; COMPUTE_PGM_RSRC2:SCRATCH_EN: 0
; COMPUTE_PGM_RSRC2:USER_SGPR: 2
; COMPUTE_PGM_RSRC2:TRAP_HANDLER: 0
; COMPUTE_PGM_RSRC2:TGID_X_EN: 1
; COMPUTE_PGM_RSRC2:TGID_Y_EN: 0
; COMPUTE_PGM_RSRC2:TGID_Z_EN: 0
; COMPUTE_PGM_RSRC2:TIDIG_COMP_CNT: 0
; COMPUTE_PGM_RSRC3_GFX90A:ACCUM_OFFSET: 4
; COMPUTE_PGM_RSRC3_GFX90A:TG_SPLIT: 0
	.section	.text._ZN2at6native12_GLOBAL__N_133GammaBetaBackwardSimpleCUDAKernelIN3c104HalfEfLb1EEEvllPKT_S7_PKT0_SA_PS5_SB_,"axG",@progbits,_ZN2at6native12_GLOBAL__N_133GammaBetaBackwardSimpleCUDAKernelIN3c104HalfEfLb1EEEvllPKT_S7_PKT0_SA_PS5_SB_,comdat
	.globl	_ZN2at6native12_GLOBAL__N_133GammaBetaBackwardSimpleCUDAKernelIN3c104HalfEfLb1EEEvllPKT_S7_PKT0_SA_PS5_SB_ ; -- Begin function _ZN2at6native12_GLOBAL__N_133GammaBetaBackwardSimpleCUDAKernelIN3c104HalfEfLb1EEEvllPKT_S7_PKT0_SA_PS5_SB_
	.p2align	8
	.type	_ZN2at6native12_GLOBAL__N_133GammaBetaBackwardSimpleCUDAKernelIN3c104HalfEfLb1EEEvllPKT_S7_PKT0_SA_PS5_SB_,@function
_ZN2at6native12_GLOBAL__N_133GammaBetaBackwardSimpleCUDAKernelIN3c104HalfEfLb1EEEvllPKT_S7_PKT0_SA_PS5_SB_: ; @_ZN2at6native12_GLOBAL__N_133GammaBetaBackwardSimpleCUDAKernelIN3c104HalfEfLb1EEEvllPKT_S7_PKT0_SA_PS5_SB_
; %bb.0:
	s_load_dword s3, s[0:1], 0x4c
	s_load_dwordx8 s[4:11], s[0:1], 0x0
	v_mov_b32_e32 v1, 0
	v_mov_b32_e32 v2, s2
	s_waitcnt lgkmcnt(0)
	s_and_b32 s3, s3, 0xffff
	v_mad_u64_u32 v[2:3], s[2:3], s3, v2, v[0:1]
	v_cmp_gt_i64_e32 vcc, s[6:7], v[2:3]
	s_and_saveexec_b64 s[2:3], vcc
	s_cbranch_execz .LBB164_9
; %bb.1:
	s_load_dwordx4 s[12:15], s[0:1], 0x28
	v_cmp_lt_i64_e64 s[0:1], s[4:5], 1
	s_and_b64 vcc, exec, s[0:1]
	s_cbranch_vccnz .LBB164_7
; %bb.2:
	s_waitcnt lgkmcnt(0)
	s_cmp_lg_u64 s[14:15], 0
	s_cselect_b64 s[0:1], -1, 0
	v_cndmask_b32_e64 v5, 0, 1, s[0:1]
	v_lshlrev_b64 v[0:1], 1, v[2:3]
	s_lshl_b64 s[2:3], s[6:7], 1
	v_mov_b32_e32 v4, 0
	v_cmp_ne_u32_e64 s[0:1], 1, v5
	s_branch .LBB164_4
.LBB164_3:                              ;   in Loop: Header=BB164_4 Depth=1
	s_add_u32 s4, s4, -1
	s_addc_u32 s5, s5, -1
	s_add_u32 s12, s12, 4
	s_addc_u32 s13, s13, 0
	v_add_f32_e32 v4, v4, v5
	s_cmp_eq_u64 s[4:5], 0
	v_lshl_add_u64 v[0:1], v[0:1], 0, s[2:3]
	s_cbranch_scc1 .LBB164_6
.LBB164_4:                              ; =>This Inner Loop Header: Depth=1
	s_and_b64 vcc, exec, s[0:1]
	v_mov_b32_e32 v5, 0
	s_cbranch_vccnz .LBB164_3
; %bb.5:                                ;   in Loop: Header=BB164_4 Depth=1
	v_lshl_add_u64 v[6:7], s[8:9], 0, v[0:1]
	global_load_ushort v5, v[6:7], off
	v_lshl_add_u64 v[6:7], s[10:11], 0, v[0:1]
	global_load_ushort v6, v[6:7], off
	s_load_dword s6, s[12:13], 0x0
	s_waitcnt vmcnt(1)
	v_cvt_f32_f16_e32 v5, v5
	s_waitcnt vmcnt(0)
	v_cvt_f32_f16_e32 v6, v6
	v_mul_f32_e32 v5, v5, v6
	s_waitcnt lgkmcnt(0)
	v_mul_f32_e32 v5, s6, v5
	s_branch .LBB164_3
.LBB164_6:
	v_cvt_f16_f32_e32 v1, v4
.LBB164_7:
	s_waitcnt lgkmcnt(0)
	s_cmp_lg_u64 s[14:15], 0
	s_cbranch_scc0 .LBB164_9
; %bb.8:
	v_lshl_add_u64 v[2:3], v[2:3], 1, s[14:15]
	global_store_short v[2:3], v1, off
.LBB164_9:
	s_endpgm
	.section	.rodata,"a",@progbits
	.p2align	6, 0x0
	.amdhsa_kernel _ZN2at6native12_GLOBAL__N_133GammaBetaBackwardSimpleCUDAKernelIN3c104HalfEfLb1EEEvllPKT_S7_PKT0_SA_PS5_SB_
		.amdhsa_group_segment_fixed_size 0
		.amdhsa_private_segment_fixed_size 0
		.amdhsa_kernarg_size 320
		.amdhsa_user_sgpr_count 2
		.amdhsa_user_sgpr_dispatch_ptr 0
		.amdhsa_user_sgpr_queue_ptr 0
		.amdhsa_user_sgpr_kernarg_segment_ptr 1
		.amdhsa_user_sgpr_dispatch_id 0
		.amdhsa_user_sgpr_kernarg_preload_length 0
		.amdhsa_user_sgpr_kernarg_preload_offset 0
		.amdhsa_user_sgpr_private_segment_size 0
		.amdhsa_uses_dynamic_stack 0
		.amdhsa_enable_private_segment 0
		.amdhsa_system_sgpr_workgroup_id_x 1
		.amdhsa_system_sgpr_workgroup_id_y 0
		.amdhsa_system_sgpr_workgroup_id_z 0
		.amdhsa_system_sgpr_workgroup_info 0
		.amdhsa_system_vgpr_workitem_id 0
		.amdhsa_next_free_vgpr 8
		.amdhsa_next_free_sgpr 16
		.amdhsa_accum_offset 8
		.amdhsa_reserve_vcc 1
		.amdhsa_float_round_mode_32 0
		.amdhsa_float_round_mode_16_64 0
		.amdhsa_float_denorm_mode_32 3
		.amdhsa_float_denorm_mode_16_64 3
		.amdhsa_dx10_clamp 1
		.amdhsa_ieee_mode 1
		.amdhsa_fp16_overflow 0
		.amdhsa_tg_split 0
		.amdhsa_exception_fp_ieee_invalid_op 0
		.amdhsa_exception_fp_denorm_src 0
		.amdhsa_exception_fp_ieee_div_zero 0
		.amdhsa_exception_fp_ieee_overflow 0
		.amdhsa_exception_fp_ieee_underflow 0
		.amdhsa_exception_fp_ieee_inexact 0
		.amdhsa_exception_int_div_zero 0
	.end_amdhsa_kernel
	.section	.text._ZN2at6native12_GLOBAL__N_133GammaBetaBackwardSimpleCUDAKernelIN3c104HalfEfLb1EEEvllPKT_S7_PKT0_SA_PS5_SB_,"axG",@progbits,_ZN2at6native12_GLOBAL__N_133GammaBetaBackwardSimpleCUDAKernelIN3c104HalfEfLb1EEEvllPKT_S7_PKT0_SA_PS5_SB_,comdat
.Lfunc_end164:
	.size	_ZN2at6native12_GLOBAL__N_133GammaBetaBackwardSimpleCUDAKernelIN3c104HalfEfLb1EEEvllPKT_S7_PKT0_SA_PS5_SB_, .Lfunc_end164-_ZN2at6native12_GLOBAL__N_133GammaBetaBackwardSimpleCUDAKernelIN3c104HalfEfLb1EEEvllPKT_S7_PKT0_SA_PS5_SB_
                                        ; -- End function
	.section	.AMDGPU.csdata,"",@progbits
; Kernel info:
; codeLenInByte = 284
; NumSgprs: 22
; NumVgprs: 8
; NumAgprs: 0
; TotalNumVgprs: 8
; ScratchSize: 0
; MemoryBound: 0
; FloatMode: 240
; IeeeMode: 1
; LDSByteSize: 0 bytes/workgroup (compile time only)
; SGPRBlocks: 2
; VGPRBlocks: 0
; NumSGPRsForWavesPerEU: 22
; NumVGPRsForWavesPerEU: 8
; AccumOffset: 8
; Occupancy: 8
; WaveLimiterHint : 0
; COMPUTE_PGM_RSRC2:SCRATCH_EN: 0
; COMPUTE_PGM_RSRC2:USER_SGPR: 2
; COMPUTE_PGM_RSRC2:TRAP_HANDLER: 0
; COMPUTE_PGM_RSRC2:TGID_X_EN: 1
; COMPUTE_PGM_RSRC2:TGID_Y_EN: 0
; COMPUTE_PGM_RSRC2:TGID_Z_EN: 0
; COMPUTE_PGM_RSRC2:TIDIG_COMP_CNT: 0
; COMPUTE_PGM_RSRC3_GFX90A:ACCUM_OFFSET: 1
; COMPUTE_PGM_RSRC3_GFX90A:TG_SPLIT: 0
	.section	.text._ZN2at6native12_GLOBAL__N_135GammaBetaBackwardCUDAKernelTemplateIN3c104HalfEfLj64ELj1ELj32ELb1ELb1ELb1EEEvllPKT_S7_PKT0_SA_PS5_SB_,"axG",@progbits,_ZN2at6native12_GLOBAL__N_135GammaBetaBackwardCUDAKernelTemplateIN3c104HalfEfLj64ELj1ELj32ELb1ELb1ELb1EEEvllPKT_S7_PKT0_SA_PS5_SB_,comdat
	.globl	_ZN2at6native12_GLOBAL__N_135GammaBetaBackwardCUDAKernelTemplateIN3c104HalfEfLj64ELj1ELj32ELb1ELb1ELb1EEEvllPKT_S7_PKT0_SA_PS5_SB_ ; -- Begin function _ZN2at6native12_GLOBAL__N_135GammaBetaBackwardCUDAKernelTemplateIN3c104HalfEfLj64ELj1ELj32ELb1ELb1ELb1EEEvllPKT_S7_PKT0_SA_PS5_SB_
	.p2align	8
	.type	_ZN2at6native12_GLOBAL__N_135GammaBetaBackwardCUDAKernelTemplateIN3c104HalfEfLj64ELj1ELj32ELb1ELb1ELb1EEEvllPKT_S7_PKT0_SA_PS5_SB_,@function
_ZN2at6native12_GLOBAL__N_135GammaBetaBackwardCUDAKernelTemplateIN3c104HalfEfLj64ELj1ELj32ELb1ELb1ELb1EEEvllPKT_S7_PKT0_SA_PS5_SB_: ; @_ZN2at6native12_GLOBAL__N_135GammaBetaBackwardCUDAKernelTemplateIN3c104HalfEfLj64ELj1ELj32ELb1ELb1ELb1EEEvllPKT_S7_PKT0_SA_PS5_SB_
; %bb.0:
	s_load_dwordx4 s[8:11], s[0:1], 0x0
	s_load_dwordx2 s[16:17], s[0:1], 0x30
	s_lshl_b32 s18, s3, 5
	s_mov_b32 s19, 0
	s_mov_b32 s6, s3
	s_waitcnt lgkmcnt(0)
	v_mov_b64_e32 v[2:3], s[8:9]
	v_cmp_ge_i64_e32 vcc, s[18:19], v[2:3]
	v_mov_b32_e32 v1, 0
	v_bfe_u32 v2, v0, 10, 10
	s_cbranch_vccnz .LBB165_8
; %bb.1:
	s_load_dword s3, s[0:1], 0x4c
	s_load_dword s7, s[0:1], 0x44
	s_load_dwordx4 s[12:15], s[0:1], 0x10
	s_load_dwordx2 s[22:23], s[0:1], 0x28
	v_and_b32_e32 v1, 0x3ff, v0
	s_waitcnt lgkmcnt(0)
	s_and_b32 s3, s3, 0xffff
	v_mad_u32_u24 v3, v2, s3, v1
	v_lshlrev_b32_e32 v4, 5, v2
	v_mov_b32_e32 v5, 0
	v_lshl_or_b32 v10, s2, 6, v1
	v_mbcnt_lo_u32_b32 v1, -1, 0
	v_and_b32_e32 v6, 63, v3
	v_mov_b32_e32 v7, v5
	v_mbcnt_hi_u32_b32 v1, -1, v1
	s_lshl_b32 s20, s7, 5
	v_lshl_add_u64 v[12:13], v[4:5], 0, s[18:19]
	v_cmp_gt_u32_e64 s[4:5], 32, v6
	v_mov_b32_e32 v11, v5
	v_lshlrev_b32_e32 v1, 2, v1
	v_lshl_add_u64 v[6:7], v[12:13], 0, v[6:7]
	v_mul_lo_u32 v4, s11, v12
	v_mul_lo_u32 v44, s10, v13
	v_mad_u64_u32 v[12:13], s[24:25], s10, v12, 0
	s_mul_i32 s3, s11, s20
	s_mul_hi_u32 s7, s10, s20
	v_and_b32_e32 v1, 0x100, v1
	s_mov_b32 s21, s19
	v_add3_u32 v13, v13, v44, v4
	v_lshlrev_b64 v[10:11], 1, v[10:11]
	s_add_i32 s25, s7, s3
	s_mul_i32 s24, s10, s20
	v_or_b32_e32 v3, 4, v1
	v_or_b32_e32 v14, 8, v1
	;; [unrolled: 1-line block ×31, first 2 shown]
	v_lshl_add_u64 v[8:9], v[6:7], 2, s[22:23]
	s_lshl_b64 s[22:23], s[20:21], 2
	v_lshl_add_u64 v[10:11], v[12:13], 1, v[10:11]
	s_lshl_b64 s[24:25], s[24:25], 1
	s_lshl_b64 s[26:27], s[10:11], 1
	v_mov_b64_e32 v[12:13], s[8:9]
	s_branch .LBB165_4
.LBB165_2:                              ;   in Loop: Header=BB165_4 Depth=1
	s_or_b64 exec, exec, s[30:31]
.LBB165_3:                              ;   in Loop: Header=BB165_4 Depth=1
	s_or_b64 exec, exec, s[28:29]
	v_lshl_add_u64 v[44:45], s[12:13], 0, v[10:11]
	v_lshl_add_u64 v[46:47], s[14:15], 0, v[10:11]
	global_load_ushort v48, v[44:45], off
	global_load_ushort v49, v[46:47], off
	v_lshl_add_u64 v[44:45], v[44:45], 0, s[26:27]
	v_lshl_add_u64 v[46:47], v[46:47], 0, s[26:27]
	global_load_ushort v50, v[44:45], off
	global_load_ushort v51, v[46:47], off
	;; [unrolled: 4-line block ×6, first 2 shown]
	s_waitcnt vmcnt(12)
	ds_bpermute_b32 v60, v1, v4
	v_lshl_add_u64 v[44:45], v[44:45], 0, s[26:27]
	v_lshl_add_u64 v[46:47], v[46:47], 0, s[26:27]
	s_add_u32 s18, s18, s20
	s_addc_u32 s19, s19, 0
	v_cmp_lt_i64_e32 vcc, s[18:19], v[12:13]
	v_lshl_add_u64 v[8:9], v[8:9], 0, s[22:23]
	v_lshl_add_u64 v[6:7], v[6:7], 0, s[20:21]
	;; [unrolled: 1-line block ×3, first 2 shown]
	s_and_b64 vcc, exec, vcc
	s_waitcnt vmcnt(11)
	v_cvt_f32_f16_e32 v48, v48
	s_waitcnt vmcnt(10)
	v_cvt_f32_f16_e32 v49, v49
	;; [unrolled: 2-line block ×4, first 2 shown]
	v_mul_f32_e32 v48, v48, v49
	ds_bpermute_b32 v49, v3, v4
	s_waitcnt lgkmcnt(1)
	v_fmac_f32_e32 v5, v48, v60
	v_mul_f32_e32 v50, v50, v51
	ds_bpermute_b32 v48, v14, v4
	ds_bpermute_b32 v60, v15, v4
	s_waitcnt lgkmcnt(2)
	v_fmac_f32_e32 v5, v50, v49
	s_waitcnt vmcnt(7)
	v_cvt_f32_f16_e32 v50, v52
	s_waitcnt vmcnt(6)
	v_cvt_f32_f16_e32 v52, v53
	ds_bpermute_b32 v51, v16, v4
	s_waitcnt vmcnt(3)
	v_cvt_f32_f16_e32 v56, v56
	s_waitcnt vmcnt(2)
	v_cvt_f32_f16_e32 v57, v57
	v_mul_f32_e32 v50, v50, v52
	s_waitcnt lgkmcnt(2)
	v_fmac_f32_e32 v5, v50, v48
	v_cvt_f32_f16_e32 v50, v54
	v_cvt_f32_f16_e32 v54, v55
	global_load_ushort v53, v[44:45], off
	v_lshl_add_u64 v[44:45], v[44:45], 0, s[26:27]
	v_mul_f32_e32 v56, v56, v57
	v_mul_f32_e32 v50, v50, v54
	s_waitcnt lgkmcnt(1)
	v_fmac_f32_e32 v5, v50, v60
	global_load_ushort v52, v[46:47], off
	v_lshl_add_u64 v[46:47], v[46:47], 0, s[26:27]
	global_load_ushort v48, v[44:45], off
	v_lshl_add_u64 v[44:45], v[44:45], 0, s[26:27]
	s_waitcnt lgkmcnt(0)
	v_fmac_f32_e32 v5, v56, v51
	s_waitcnt vmcnt(4)
	v_cvt_f32_f16_e32 v56, v58
	s_waitcnt vmcnt(3)
	v_cvt_f32_f16_e32 v58, v59
	global_load_ushort v55, v[46:47], off
	v_lshl_add_u64 v[46:47], v[46:47], 0, s[26:27]
	global_load_ushort v54, v[44:45], off
	v_lshl_add_u64 v[44:45], v[44:45], 0, s[26:27]
	;; [unrolled: 2-line block ×4, first 2 shown]
	global_load_ushort v57, v[46:47], off
	global_load_ushort v51, v[44:45], off
	v_lshl_add_u64 v[44:45], v[44:45], 0, s[26:27]
	v_mul_f32_e32 v56, v56, v58
	global_load_ushort v58, v[44:45], off
	v_lshl_add_u64 v[46:47], v[46:47], 0, s[26:27]
	global_load_ushort v59, v[46:47], off
	ds_bpermute_b32 v49, v17, v4
	v_lshl_add_u64 v[46:47], v[46:47], 0, s[26:27]
	v_lshl_add_u64 v[44:45], v[44:45], 0, s[26:27]
	s_waitcnt lgkmcnt(0)
	v_fmac_f32_e32 v5, v56, v49
	global_load_ushort v49, v[46:47], off
	ds_bpermute_b32 v56, v18, v4
	v_lshl_add_u64 v[46:47], v[46:47], 0, s[26:27]
	s_waitcnt vmcnt(11)
	v_cvt_f32_f16_e32 v53, v53
	s_waitcnt vmcnt(10)
	v_cvt_f32_f16_e32 v52, v52
	;; [unrolled: 2-line block ×3, first 2 shown]
	v_mul_f32_e32 v52, v53, v52
	s_waitcnt lgkmcnt(0)
	v_fmac_f32_e32 v5, v52, v56
	global_load_ushort v52, v[46:47], off
	s_waitcnt vmcnt(9)
	v_cvt_f32_f16_e32 v55, v55
	ds_bpermute_b32 v56, v19, v4
	s_waitcnt vmcnt(8)
	v_cvt_f32_f16_e32 v54, v54
	v_lshl_add_u64 v[46:47], v[46:47], 0, s[26:27]
	s_waitcnt vmcnt(7)
	v_cvt_f32_f16_e32 v50, v50
	v_mul_f32_e32 v48, v48, v55
	s_waitcnt vmcnt(6)
	v_cvt_f32_f16_e32 v60, v60
	s_waitcnt lgkmcnt(0)
	v_fmac_f32_e32 v5, v48, v56
	s_waitcnt vmcnt(5)
	v_cvt_f32_f16_e32 v57, v57
	v_mul_f32_e32 v50, v54, v50
	global_load_ushort v48, v[46:47], off
	ds_bpermute_b32 v56, v20, v4
	s_waitcnt vmcnt(4)
	v_cvt_f32_f16_e32 v53, v58
	global_load_ushort v58, v[44:45], off
	v_lshl_add_u64 v[44:45], v[44:45], 0, s[26:27]
	global_load_ushort v55, v[44:45], off
	v_lshl_add_u64 v[44:45], v[44:45], 0, s[26:27]
	global_load_ushort v54, v[44:45], off
	v_lshl_add_u64 v[44:45], v[44:45], 0, s[26:27]
	v_mul_f32_e32 v57, v60, v57
	global_load_ushort v60, v[44:45], off
	v_lshl_add_u64 v[46:47], v[46:47], 0, s[26:27]
	s_waitcnt lgkmcnt(0)
	v_fmac_f32_e32 v5, v50, v56
	global_load_ushort v50, v[46:47], off
	ds_bpermute_b32 v56, v21, v4
	v_lshl_add_u64 v[46:47], v[46:47], 0, s[26:27]
	v_cvt_f32_f16_e32 v51, v51
	s_waitcnt vmcnt(8)
	v_cvt_f32_f16_e32 v59, v59
	v_lshl_add_u64 v[44:45], v[44:45], 0, s[26:27]
	s_waitcnt lgkmcnt(0)
	v_fmac_f32_e32 v5, v57, v56
	global_load_ushort v56, v[46:47], off
	ds_bpermute_b32 v57, v22, v4
	v_mul_f32_e32 v51, v51, v59
	v_lshl_add_u64 v[46:47], v[46:47], 0, s[26:27]
	global_load_ushort v59, v[44:45], off
	s_waitcnt vmcnt(9)
	v_cvt_f32_f16_e32 v49, v49
	s_waitcnt lgkmcnt(0)
	v_fmac_f32_e32 v5, v51, v57
	global_load_ushort v51, v[46:47], off
	ds_bpermute_b32 v57, v23, v4
	v_lshl_add_u64 v[44:45], v[44:45], 0, s[26:27]
	v_mul_f32_e32 v49, v53, v49
	v_lshl_add_u64 v[46:47], v[46:47], 0, s[26:27]
	global_load_ushort v53, v[44:45], off
	s_waitcnt lgkmcnt(0)
	v_fmac_f32_e32 v5, v49, v57
	global_load_ushort v49, v[46:47], off
	v_lshl_add_u64 v[44:45], v[44:45], 0, s[26:27]
	v_lshl_add_u64 v[46:47], v[46:47], 0, s[26:27]
	s_waitcnt vmcnt(11)
	v_cvt_f32_f16_e32 v52, v52
	s_waitcnt vmcnt(10)
	v_cvt_f32_f16_e32 v48, v48
	;; [unrolled: 2-line block ×4, first 2 shown]
	v_mul_f32_e32 v52, v57, v52
	global_load_ushort v57, v[44:45], off
	v_mul_f32_e32 v48, v55, v48
	s_waitcnt vmcnt(7)
	v_cvt_f32_f16_e32 v58, v60
	ds_bpermute_b32 v60, v24, v4
	v_cvt_f32_f16_e32 v54, v54
	s_waitcnt vmcnt(6)
	v_cvt_f32_f16_e32 v50, v50
	v_lshl_add_u64 v[44:45], v[44:45], 0, s[26:27]
	global_load_ushort v55, v[44:45], off
	s_waitcnt lgkmcnt(0)
	v_fmac_f32_e32 v5, v52, v60
	ds_bpermute_b32 v60, v25, v4
	global_load_ushort v52, v[46:47], off
	v_lshl_add_u64 v[46:47], v[46:47], 0, s[26:27]
	v_mul_f32_e32 v50, v54, v50
	s_waitcnt vmcnt(7)
	v_cvt_f32_f16_e32 v56, v56
	s_waitcnt lgkmcnt(0)
	v_fmac_f32_e32 v5, v48, v60
	ds_bpermute_b32 v60, v26, v4
	global_load_ushort v48, v[46:47], off
	v_lshl_add_u64 v[44:45], v[44:45], 0, s[26:27]
	v_lshl_add_u64 v[46:47], v[46:47], 0, s[26:27]
	global_load_ushort v54, v[44:45], off
	s_waitcnt lgkmcnt(0)
	v_fmac_f32_e32 v5, v50, v60
	ds_bpermute_b32 v60, v27, v4
	global_load_ushort v50, v[46:47], off
	v_mul_f32_e32 v56, v58, v56
	s_waitcnt vmcnt(9)
	v_cvt_f32_f16_e32 v59, v59
	s_waitcnt vmcnt(8)
	v_cvt_f32_f16_e32 v51, v51
	s_waitcnt lgkmcnt(0)
	v_fmac_f32_e32 v5, v56, v60
	ds_bpermute_b32 v60, v28, v4
	v_lshl_add_u64 v[44:45], v[44:45], 0, s[26:27]
	v_lshl_add_u64 v[46:47], v[46:47], 0, s[26:27]
	global_load_ushort v58, v[44:45], off
	global_load_ushort v56, v[46:47], off
	v_lshl_add_u64 v[44:45], v[44:45], 0, s[26:27]
	v_mul_f32_e32 v51, v59, v51
	v_lshl_add_u64 v[46:47], v[46:47], 0, s[26:27]
	global_load_ushort v59, v[44:45], off
	s_waitcnt lgkmcnt(0)
	v_fmac_f32_e32 v5, v51, v60
	global_load_ushort v51, v[46:47], off
	s_waitcnt vmcnt(11)
	v_cvt_f32_f16_e32 v53, v53
	s_waitcnt vmcnt(10)
	v_cvt_f32_f16_e32 v49, v49
	ds_bpermute_b32 v60, v29, v4
	v_lshl_add_u64 v[44:45], v[44:45], 0, s[26:27]
	v_lshl_add_u64 v[46:47], v[46:47], 0, s[26:27]
	v_mul_f32_e32 v49, v53, v49
	global_load_ushort v53, v[44:45], off
	s_waitcnt lgkmcnt(0)
	v_fmac_f32_e32 v5, v49, v60
	global_load_ushort v49, v[46:47], off
	ds_bpermute_b32 v60, v30, v4
	v_lshl_add_u64 v[44:45], v[44:45], 0, s[26:27]
	v_lshl_add_u64 v[46:47], v[46:47], 0, s[26:27]
	s_waitcnt vmcnt(11)
	v_cvt_f32_f16_e32 v57, v57
	s_waitcnt vmcnt(10)
	v_cvt_f32_f16_e32 v55, v55
	;; [unrolled: 2-line block ×3, first 2 shown]
	v_mul_f32_e32 v52, v57, v52
	s_waitcnt lgkmcnt(0)
	v_fmac_f32_e32 v5, v52, v60
	s_waitcnt vmcnt(8)
	v_cvt_f32_f16_e32 v48, v48
	ds_bpermute_b32 v60, v31, v4
	global_load_ushort v57, v[44:45], off
	s_waitcnt vmcnt(8)
	v_cvt_f32_f16_e32 v54, v54
	v_mul_f32_e32 v48, v55, v48
	v_lshl_add_u64 v[44:45], v[44:45], 0, s[26:27]
	s_waitcnt vmcnt(7)
	v_cvt_f32_f16_e32 v50, v50
	s_waitcnt lgkmcnt(0)
	v_fmac_f32_e32 v5, v48, v60
	ds_bpermute_b32 v60, v32, v4
	global_load_ushort v52, v[46:47], off
	v_mul_f32_e32 v50, v54, v50
	global_load_ushort v55, v[44:45], off
	v_lshl_add_u64 v[46:47], v[46:47], 0, s[26:27]
	s_waitcnt lgkmcnt(0)
	v_fmac_f32_e32 v5, v50, v60
	s_waitcnt vmcnt(8)
	v_cvt_f32_f16_e32 v58, v58
	s_waitcnt vmcnt(7)
	v_cvt_f32_f16_e32 v56, v56
	ds_bpermute_b32 v60, v33, v4
	v_lshl_add_u64 v[44:45], v[44:45], 0, s[26:27]
	global_load_ushort v48, v[46:47], off
	s_waitcnt vmcnt(7)
	v_cvt_f32_f16_e32 v59, v59
	global_load_ushort v54, v[44:45], off
	s_waitcnt vmcnt(7)
	v_cvt_f32_f16_e32 v51, v51
	v_lshl_add_u64 v[46:47], v[46:47], 0, s[26:27]
	v_lshl_add_u64 v[44:45], v[44:45], 0, s[26:27]
	global_load_ushort v50, v[46:47], off
	v_mul_f32_e32 v56, v58, v56
	global_load_ushort v58, v[44:45], off
	v_lshl_add_u64 v[46:47], v[46:47], 0, s[26:27]
	v_lshl_add_u64 v[44:45], v[44:45], 0, s[26:27]
	s_waitcnt lgkmcnt(0)
	v_fmac_f32_e32 v5, v56, v60
	global_load_ushort v56, v[46:47], off
	v_mul_f32_e32 v51, v59, v51
	global_load_ushort v59, v[44:45], off
	ds_bpermute_b32 v60, v34, v4
	s_waitcnt vmcnt(10)
	v_cvt_f32_f16_e32 v53, v53
	s_waitcnt vmcnt(9)
	v_cvt_f32_f16_e32 v49, v49
	v_lshl_add_u64 v[46:47], v[46:47], 0, s[26:27]
	v_lshl_add_u64 v[44:45], v[44:45], 0, s[26:27]
	s_waitcnt lgkmcnt(0)
	v_fmac_f32_e32 v5, v51, v60
	ds_bpermute_b32 v60, v35, v4
	global_load_ushort v51, v[46:47], off
	v_mul_f32_e32 v49, v53, v49
	global_load_ushort v53, v[44:45], off
	v_lshl_add_u64 v[46:47], v[46:47], 0, s[26:27]
	v_lshl_add_u64 v[44:45], v[44:45], 0, s[26:27]
	s_waitcnt lgkmcnt(0)
	v_fmac_f32_e32 v5, v49, v60
	global_load_ushort v49, v[46:47], off
	global_load_ushort v60, v[44:45], off
	v_lshl_add_u64 v[46:47], v[46:47], 0, s[26:27]
	v_lshl_add_u64 v[44:45], v[44:45], 0, s[26:27]
	global_load_ushort v61, v[44:45], off
	global_load_ushort v62, v[46:47], off
	v_lshl_add_u64 v[44:45], v[46:47], 0, s[26:27]
	global_load_ushort v44, v[44:45], off
	s_waitcnt vmcnt(15)
	v_cvt_f32_f16_e32 v45, v57
	s_waitcnt vmcnt(14)
	v_cvt_f32_f16_e32 v46, v52
	;; [unrolled: 2-line block ×3, first 2 shown]
	v_mul_f32_e32 v45, v45, v46
	ds_bpermute_b32 v46, v37, v4
	s_waitcnt vmcnt(12)
	v_cvt_f32_f16_e32 v48, v48
	s_waitcnt vmcnt(11)
	v_cvt_f32_f16_e32 v52, v54
	v_mul_f32_e32 v47, v47, v48
	s_waitcnt vmcnt(10)
	v_cvt_f32_f16_e32 v50, v50
	s_waitcnt vmcnt(9)
	v_cvt_f32_f16_e32 v54, v58
	;; [unrolled: 2-line block ×4, first 2 shown]
	ds_bpermute_b32 v59, v36, v4
	s_waitcnt lgkmcnt(0)
	v_fmac_f32_e32 v5, v45, v59
	ds_bpermute_b32 v45, v38, v4
	v_fmac_f32_e32 v5, v47, v46
	ds_bpermute_b32 v46, v39, v4
	v_mul_f32_e32 v47, v52, v50
	s_waitcnt vmcnt(6)
	v_cvt_f32_f16_e32 v51, v51
	s_waitcnt lgkmcnt(1)
	v_fmac_f32_e32 v5, v47, v45
	ds_bpermute_b32 v45, v40, v4
	v_mul_f32_e32 v47, v54, v55
	s_waitcnt vmcnt(5)
	v_cvt_f32_f16_e32 v53, v53
	s_waitcnt vmcnt(4)
	v_cvt_f32_f16_e32 v49, v49
	s_waitcnt lgkmcnt(1)
	v_fmac_f32_e32 v5, v47, v46
	v_mul_f32_e32 v46, v56, v51
	ds_bpermute_b32 v47, v41, v4
	s_waitcnt vmcnt(3)
	v_cvt_f32_f16_e32 v57, v60
	s_waitcnt vmcnt(1)
	v_cvt_f32_f16_e32 v58, v62
	s_waitcnt lgkmcnt(1)
	v_fmac_f32_e32 v5, v46, v45
	ds_bpermute_b32 v45, v42, v4
	v_cvt_f32_f16_e32 v60, v61
	s_waitcnt vmcnt(0)
	v_cvt_f32_f16_e32 v44, v44
	ds_bpermute_b32 v4, v43, v4
	v_mul_f32_e32 v46, v53, v49
	s_waitcnt lgkmcnt(2)
	v_fmac_f32_e32 v5, v46, v47
	v_mul_f32_e32 v46, v57, v58
	s_waitcnt lgkmcnt(1)
	v_fmac_f32_e32 v5, v46, v45
	;; [unrolled: 3-line block ×3, first 2 shown]
	s_cbranch_vccz .LBB165_7
.LBB165_4:                              ; =>This Inner Loop Header: Depth=1
	v_mov_b32_e32 v4, 0
	s_and_saveexec_b64 s[28:29], s[4:5]
	s_cbranch_execz .LBB165_3
; %bb.5:                                ;   in Loop: Header=BB165_4 Depth=1
	v_cmp_gt_i64_e32 vcc, s[8:9], v[6:7]
	v_mov_b32_e32 v4, 0
	s_and_saveexec_b64 s[30:31], vcc
	s_cbranch_execz .LBB165_2
; %bb.6:                                ;   in Loop: Header=BB165_4 Depth=1
	global_load_dword v4, v[8:9], off
	s_branch .LBB165_2
.LBB165_7:
	v_cvt_f16_f32_e32 v1, v5
.LBB165_8:
	s_cmp_eq_u64 s[16:17], 0
	s_cbranch_scc1 .LBB165_10
; %bb.9:
	s_load_dword s0, s[0:1], 0x4c
	v_mov_b32_e32 v3, 0
	v_mov_b32_e32 v4, s6
	s_mov_b32 s3, 0
	v_and_b32_e32 v0, 0x3ff, v0
	s_waitcnt lgkmcnt(0)
	s_lshr_b32 s0, s0, 16
	v_mad_u64_u32 v[4:5], s[0:1], s0, v4, v[2:3]
	v_mul_lo_u32 v2, v5, s10
	v_mul_lo_u32 v6, v4, s11
	v_mad_u64_u32 v[4:5], s[0:1], v4, s10, 0
	s_lshl_b64 s[0:1], s[2:3], 7
	s_add_u32 s0, s0, s16
	v_add3_u32 v5, v5, v6, v2
	s_addc_u32 s1, s1, s17
	v_lshl_add_u64 v[4:5], v[4:5], 1, s[0:1]
	v_lshlrev_b32_e32 v2, 1, v0
	v_lshl_add_u64 v[2:3], v[4:5], 0, v[2:3]
	global_store_short v[2:3], v1, off
.LBB165_10:
	s_endpgm
	.section	.rodata,"a",@progbits
	.p2align	6, 0x0
	.amdhsa_kernel _ZN2at6native12_GLOBAL__N_135GammaBetaBackwardCUDAKernelTemplateIN3c104HalfEfLj64ELj1ELj32ELb1ELb1ELb1EEEvllPKT_S7_PKT0_SA_PS5_SB_
		.amdhsa_group_segment_fixed_size 0
		.amdhsa_private_segment_fixed_size 0
		.amdhsa_kernarg_size 320
		.amdhsa_user_sgpr_count 2
		.amdhsa_user_sgpr_dispatch_ptr 0
		.amdhsa_user_sgpr_queue_ptr 0
		.amdhsa_user_sgpr_kernarg_segment_ptr 1
		.amdhsa_user_sgpr_dispatch_id 0
		.amdhsa_user_sgpr_kernarg_preload_length 0
		.amdhsa_user_sgpr_kernarg_preload_offset 0
		.amdhsa_user_sgpr_private_segment_size 0
		.amdhsa_uses_dynamic_stack 0
		.amdhsa_enable_private_segment 0
		.amdhsa_system_sgpr_workgroup_id_x 1
		.amdhsa_system_sgpr_workgroup_id_y 1
		.amdhsa_system_sgpr_workgroup_id_z 0
		.amdhsa_system_sgpr_workgroup_info 0
		.amdhsa_system_vgpr_workitem_id 1
		.amdhsa_next_free_vgpr 63
		.amdhsa_next_free_sgpr 32
		.amdhsa_accum_offset 64
		.amdhsa_reserve_vcc 1
		.amdhsa_float_round_mode_32 0
		.amdhsa_float_round_mode_16_64 0
		.amdhsa_float_denorm_mode_32 3
		.amdhsa_float_denorm_mode_16_64 3
		.amdhsa_dx10_clamp 1
		.amdhsa_ieee_mode 1
		.amdhsa_fp16_overflow 0
		.amdhsa_tg_split 0
		.amdhsa_exception_fp_ieee_invalid_op 0
		.amdhsa_exception_fp_denorm_src 0
		.amdhsa_exception_fp_ieee_div_zero 0
		.amdhsa_exception_fp_ieee_overflow 0
		.amdhsa_exception_fp_ieee_underflow 0
		.amdhsa_exception_fp_ieee_inexact 0
		.amdhsa_exception_int_div_zero 0
	.end_amdhsa_kernel
	.section	.text._ZN2at6native12_GLOBAL__N_135GammaBetaBackwardCUDAKernelTemplateIN3c104HalfEfLj64ELj1ELj32ELb1ELb1ELb1EEEvllPKT_S7_PKT0_SA_PS5_SB_,"axG",@progbits,_ZN2at6native12_GLOBAL__N_135GammaBetaBackwardCUDAKernelTemplateIN3c104HalfEfLj64ELj1ELj32ELb1ELb1ELb1EEEvllPKT_S7_PKT0_SA_PS5_SB_,comdat
.Lfunc_end165:
	.size	_ZN2at6native12_GLOBAL__N_135GammaBetaBackwardCUDAKernelTemplateIN3c104HalfEfLj64ELj1ELj32ELb1ELb1ELb1EEEvllPKT_S7_PKT0_SA_PS5_SB_, .Lfunc_end165-_ZN2at6native12_GLOBAL__N_135GammaBetaBackwardCUDAKernelTemplateIN3c104HalfEfLj64ELj1ELj32ELb1ELb1ELb1EEEvllPKT_S7_PKT0_SA_PS5_SB_
                                        ; -- End function
	.section	.AMDGPU.csdata,"",@progbits
; Kernel info:
; codeLenInByte = 2860
; NumSgprs: 38
; NumVgprs: 63
; NumAgprs: 0
; TotalNumVgprs: 63
; ScratchSize: 0
; MemoryBound: 0
; FloatMode: 240
; IeeeMode: 1
; LDSByteSize: 0 bytes/workgroup (compile time only)
; SGPRBlocks: 4
; VGPRBlocks: 7
; NumSGPRsForWavesPerEU: 38
; NumVGPRsForWavesPerEU: 63
; AccumOffset: 64
; Occupancy: 8
; WaveLimiterHint : 0
; COMPUTE_PGM_RSRC2:SCRATCH_EN: 0
; COMPUTE_PGM_RSRC2:USER_SGPR: 2
; COMPUTE_PGM_RSRC2:TRAP_HANDLER: 0
; COMPUTE_PGM_RSRC2:TGID_X_EN: 1
; COMPUTE_PGM_RSRC2:TGID_Y_EN: 1
; COMPUTE_PGM_RSRC2:TGID_Z_EN: 0
; COMPUTE_PGM_RSRC2:TIDIG_COMP_CNT: 1
; COMPUTE_PGM_RSRC3_GFX90A:ACCUM_OFFSET: 15
; COMPUTE_PGM_RSRC3_GFX90A:TG_SPLIT: 0
	.section	.text._ZN2at6native12_GLOBAL__N_135GammaBetaBackwardCUDAKernelTemplateIN3c104HalfEfLj64ELj1ELj32ELb1ELb0ELb1EEEvllPKT_S7_PKT0_SA_PS5_SB_,"axG",@progbits,_ZN2at6native12_GLOBAL__N_135GammaBetaBackwardCUDAKernelTemplateIN3c104HalfEfLj64ELj1ELj32ELb1ELb0ELb1EEEvllPKT_S7_PKT0_SA_PS5_SB_,comdat
	.globl	_ZN2at6native12_GLOBAL__N_135GammaBetaBackwardCUDAKernelTemplateIN3c104HalfEfLj64ELj1ELj32ELb1ELb0ELb1EEEvllPKT_S7_PKT0_SA_PS5_SB_ ; -- Begin function _ZN2at6native12_GLOBAL__N_135GammaBetaBackwardCUDAKernelTemplateIN3c104HalfEfLj64ELj1ELj32ELb1ELb0ELb1EEEvllPKT_S7_PKT0_SA_PS5_SB_
	.p2align	8
	.type	_ZN2at6native12_GLOBAL__N_135GammaBetaBackwardCUDAKernelTemplateIN3c104HalfEfLj64ELj1ELj32ELb1ELb0ELb1EEEvllPKT_S7_PKT0_SA_PS5_SB_,@function
_ZN2at6native12_GLOBAL__N_135GammaBetaBackwardCUDAKernelTemplateIN3c104HalfEfLj64ELj1ELj32ELb1ELb0ELb1EEEvllPKT_S7_PKT0_SA_PS5_SB_: ; @_ZN2at6native12_GLOBAL__N_135GammaBetaBackwardCUDAKernelTemplateIN3c104HalfEfLj64ELj1ELj32ELb1ELb0ELb1EEEvllPKT_S7_PKT0_SA_PS5_SB_
; %bb.0:
	s_load_dwordx8 s[12:19], s[0:1], 0x0
	s_load_dwordx2 s[10:11], s[0:1], 0x28
	s_mov_b32 s8, s3
	s_lshl_b32 s3, s2, 6
	v_mov_b32_e32 v206, v0
	s_or_b32 s20, s3, 63
	s_mov_b32 s21, 0
	s_waitcnt lgkmcnt(0)
	v_mov_b64_e32 v[0:1], s[14:15]
	v_cmp_ge_i64_e32 vcc, s[20:21], v[0:1]
	s_lshl_b32 s20, s8, 5
	v_mov_b64_e32 v[0:1], s[12:13]
	v_cmp_lt_i64_e64 s[4:5], s[20:21], v[0:1]
	s_nop 1
	v_cndmask_b32_e64 v0, 0, 1, s[4:5]
	v_cmp_ne_u32_e64 s[4:5], 1, v0
	s_cbranch_vccz .LBB166_145
; %bb.1:
	s_and_b64 vcc, exec, s[4:5]
	v_mov_b32_e32 v31, 0
	s_cbranch_vccnz .LBB166_146
; %bb.2:
	v_mov_b32_e32 v1, 0
	v_bfe_u32 v161, v206, 10, 10
	v_lshlrev_b32_e32 v2, 5, v161
	v_mov_b32_e32 v3, v1
	v_and_b32_e32 v160, 0x3ff, v206
	v_lshl_add_u64 v[130:131], v[2:3], 0, s[20:21]
	v_add_u32_e32 v0, s3, v160
	v_lshl_add_u64 v[6:7], v[130:131], 0, 31
	v_cmp_gt_i64_e64 s[6:7], s[14:15], v[0:1]
	v_lshlrev_b64 v[4:5], 1, v[0:1]
	v_mul_lo_u32 v0, s15, v6
	v_mul_lo_u32 v8, s14, v7
	v_mad_u64_u32 v[6:7], s[28:29], s14, v6, 0
	v_lshl_add_u64 v[10:11], v[130:131], 0, 30
	v_add3_u32 v7, v7, v8, v0
	v_mul_lo_u32 v0, s15, v10
	v_mul_lo_u32 v12, s14, v11
	v_mad_u64_u32 v[10:11], s[30:31], s14, v10, 0
	v_lshl_add_u64 v[14:15], v[130:131], 0, 29
	v_add3_u32 v11, v11, v12, v0
	;; [unrolled: 5-line block ×6, first 2 shown]
	v_mul_lo_u32 v0, s15, v30
	v_mul_lo_u32 v32, s14, v31
	v_mad_u64_u32 v[30:31], s[30:31], s14, v30, 0
	v_add3_u32 v31, v31, v32, v0
	v_lshlrev_b64 v[30:31], 1, v[30:31]
	v_lshl_add_u64 v[178:179], s[16:17], 0, v[30:31]
	v_lshl_add_u64 v[32:33], s[18:19], 0, v[30:31]
	v_lshl_add_u64 v[30:31], v[130:131], 0, 24
	v_mul_lo_u32 v0, s15, v30
	v_mul_lo_u32 v34, s14, v31
	v_mad_u64_u32 v[30:31], s[30:31], s14, v30, 0
	v_add3_u32 v31, v31, v34, v0
	v_lshlrev_b64 v[30:31], 1, v[30:31]
	v_lshl_add_u64 v[34:35], s[16:17], 0, v[30:31]
	v_lshl_add_u64 v[36:37], s[18:19], 0, v[30:31]
	v_lshl_add_u64 v[30:31], v[130:131], 0, 23
	;; [unrolled: 8-line block ×23, first 2 shown]
	v_mul_lo_u32 v0, s15, v30
	v_mul_lo_u32 v122, s14, v31
	v_mad_u64_u32 v[30:31], s[30:31], s14, v30, 0
	v_add3_u32 v31, v31, v122, v0
	v_lshlrev_b64 v[30:31], 1, v[30:31]
	s_load_dword s9, s[0:1], 0x44
	v_lshl_add_u64 v[122:123], s[16:17], 0, v[30:31]
	v_lshl_add_u64 v[124:125], s[18:19], 0, v[30:31]
	v_mov_b64_e32 v[30:31], s[14:15]
	v_mad_u64_u32 v[30:31], s[30:31], s14, v130, v[30:31]
	v_mul_lo_u32 v0, s14, v131
	v_mul_lo_u32 v131, s15, v130
	v_add3_u32 v31, v131, v31, v0
	v_lshlrev_b64 v[30:31], 1, v[30:31]
	s_add_u32 s24, s0, 64
	v_lshl_add_u64 v[126:127], s[16:17], 0, v[30:31]
	v_lshl_add_u64 v[128:129], s[18:19], 0, v[30:31]
	v_mad_u64_u32 v[30:31], s[30:31], s14, v130, 0
	s_addc_u32 s25, s1, 0
	s_waitcnt lgkmcnt(0)
	s_lshl_b32 s22, s9, 5
	v_add3_u32 v31, v31, v0, v131
	v_mbcnt_lo_u32_b32 v0, -1, 0
	s_mul_i32 s9, s15, s22
	s_mul_hi_u32 s28, s14, s22
	v_mbcnt_hi_u32_b32 v0, -1, v0
	v_lshlrev_b64 v[8:9], 1, v[6:7]
	s_add_i32 s29, s28, s9
	s_mul_i32 s28, s14, s22
	v_lshlrev_b64 v[12:13], 1, v[10:11]
	v_lshlrev_b64 v[16:17], 1, v[14:15]
	;; [unrolled: 1-line block ×6, first 2 shown]
	v_lshlrev_b32_e32 v0, 2, v0
	s_mov_b32 s23, 0
	s_mov_b64 s[26:27], 31
	v_lshl_add_u64 v[6:7], s[16:17], 0, v[8:9]
	s_lshl_b64 s[28:29], s[28:29], 1
	v_lshl_add_u64 v[8:9], s[18:19], 0, v[8:9]
	v_lshl_add_u64 v[10:11], s[16:17], 0, v[12:13]
	;; [unrolled: 1-line block ×13, first 2 shown]
	v_and_b32_e32 v162, 0x100, v0
	s_mov_b64 s[30:31], s[20:21]
	v_mov_b32_e32 v163, 0
.LBB166_3:                              ; =>This Inner Loop Header: Depth=1
	s_add_u32 s34, s20, s26
	s_addc_u32 s35, 0, s27
	v_mov_b64_e32 v[30:31], s[12:13]
	v_cmp_ge_i64_e32 vcc, s[34:35], v[30:31]
	v_lshl_add_u64 v[134:135], s[20:21], 0, v[2:3]
	s_cbranch_vccz .LBB166_73
; %bb.4:                                ;   in Loop: Header=BB166_3 Depth=1
	s_load_dword s9, s[24:25], 0xc
	v_mov_b32_e32 v165, 0
	v_mov_b32_e32 v164, 0
	s_waitcnt lgkmcnt(0)
	s_and_b32 s9, s9, 0xffff
	v_mad_u32_u24 v0, v161, s9, v160
	v_and_b32_e32 v0, 63, v0
	v_cmp_gt_u32_e32 vcc, 32, v0
	s_and_saveexec_b64 s[34:35], vcc
	s_cbranch_execz .LBB166_8
; %bb.5:                                ;   in Loop: Header=BB166_3 Depth=1
	v_lshl_add_u64 v[136:137], v[134:135], 0, v[0:1]
	v_cmp_gt_i64_e32 vcc, s[12:13], v[136:137]
	v_mov_b32_e32 v164, 0
	s_and_saveexec_b64 s[36:37], vcc
	s_cbranch_execz .LBB166_7
; %bb.6:                                ;   in Loop: Header=BB166_3 Depth=1
	v_lshl_add_u64 v[30:31], v[136:137], 2, s[10:11]
	global_load_dword v164, v[30:31], off
.LBB166_7:                              ;   in Loop: Header=BB166_3 Depth=1
	s_or_b64 exec, exec, s[36:37]
.LBB166_8:                              ;   in Loop: Header=BB166_3 Depth=1
	s_or_b64 exec, exec, s[34:35]
	v_cmp_gt_i64_e32 vcc, s[12:13], v[134:135]
	s_and_b64 s[36:37], s[6:7], vcc
	v_mov_b32_e32 v0, 0
	s_and_saveexec_b64 s[34:35], s[36:37]
	s_cbranch_execz .LBB166_10
; %bb.9:                                ;   in Loop: Header=BB166_3 Depth=1
	v_lshl_add_u64 v[30:31], v[130:131], 0, v[4:5]
	global_load_ushort v0, v[30:31], off
	v_lshl_add_u64 v[30:31], v[132:133], 0, v[4:5]
	global_load_ushort v30, v[30:31], off
	s_waitcnt vmcnt(1)
	v_cvt_f32_f16_e32 v165, v0
	s_waitcnt vmcnt(0)
	v_cvt_f32_f16_e32 v0, v30
.LBB166_10:                             ;   in Loop: Header=BB166_3 Depth=1
	s_or_b64 exec, exec, s[34:35]
	v_lshl_add_u64 v[30:31], v[134:135], 0, 1
	v_cmp_gt_i64_e32 vcc, s[12:13], v[30:31]
	s_and_b64 s[36:37], s[6:7], vcc
	v_mov_b32_e32 v166, 0
	v_mov_b32_e32 v167, 0
	v_mov_b32_e32 v168, 0
	s_and_saveexec_b64 s[34:35], s[36:37]
	s_cbranch_execz .LBB166_12
; %bb.11:                               ;   in Loop: Header=BB166_3 Depth=1
	v_lshl_add_u64 v[30:31], v[126:127], 0, v[4:5]
	global_load_ushort v136, v[30:31], off
	v_lshl_add_u64 v[30:31], v[128:129], 0, v[4:5]
	global_load_ushort v30, v[30:31], off
	s_waitcnt vmcnt(1)
	v_cvt_f32_f16_e32 v167, v136
	s_waitcnt vmcnt(0)
	v_cvt_f32_f16_e32 v168, v30
.LBB166_12:                             ;   in Loop: Header=BB166_3 Depth=1
	s_or_b64 exec, exec, s[34:35]
	v_lshl_add_u64 v[30:31], v[134:135], 0, 2
	v_cmp_gt_i64_e32 vcc, s[12:13], v[30:31]
	s_and_b64 s[36:37], s[6:7], vcc
	v_mov_b32_e32 v169, 0
	s_and_saveexec_b64 s[34:35], s[36:37]
	s_cbranch_execz .LBB166_14
; %bb.13:                               ;   in Loop: Header=BB166_3 Depth=1
	v_lshl_add_u64 v[30:31], v[122:123], 0, v[4:5]
	global_load_ushort v136, v[30:31], off
	v_lshl_add_u64 v[30:31], v[124:125], 0, v[4:5]
	global_load_ushort v30, v[30:31], off
	s_waitcnt vmcnt(1)
	v_cvt_f32_f16_e32 v166, v136
	s_waitcnt vmcnt(0)
	v_cvt_f32_f16_e32 v169, v30
.LBB166_14:                             ;   in Loop: Header=BB166_3 Depth=1
	s_or_b64 exec, exec, s[34:35]
	v_lshl_add_u64 v[30:31], v[134:135], 0, 3
	v_cmp_gt_i64_e32 vcc, s[12:13], v[30:31]
	s_and_b64 s[36:37], s[6:7], vcc
	v_mov_b32_e32 v170, 0
	v_mov_b32_e32 v171, 0
	v_mov_b32_e32 v172, 0
	s_and_saveexec_b64 s[34:35], s[36:37]
	s_cbranch_execz .LBB166_16
; %bb.15:                               ;   in Loop: Header=BB166_3 Depth=1
	v_lshl_add_u64 v[30:31], v[118:119], 0, v[4:5]
	global_load_ushort v136, v[30:31], off
	v_lshl_add_u64 v[30:31], v[120:121], 0, v[4:5]
	global_load_ushort v30, v[30:31], off
	s_waitcnt vmcnt(1)
	v_cvt_f32_f16_e32 v171, v136
	s_waitcnt vmcnt(0)
	v_cvt_f32_f16_e32 v172, v30
.LBB166_16:                             ;   in Loop: Header=BB166_3 Depth=1
	s_or_b64 exec, exec, s[34:35]
	v_lshl_add_u64 v[30:31], v[134:135], 0, 4
	v_cmp_gt_i64_e32 vcc, s[12:13], v[30:31]
	s_and_b64 s[36:37], s[6:7], vcc
	v_mov_b32_e32 v173, 0
	s_and_saveexec_b64 s[34:35], s[36:37]
	s_cbranch_execz .LBB166_18
; %bb.17:                               ;   in Loop: Header=BB166_3 Depth=1
	v_lshl_add_u64 v[30:31], v[114:115], 0, v[4:5]
	global_load_ushort v136, v[30:31], off
	v_lshl_add_u64 v[30:31], v[116:117], 0, v[4:5]
	global_load_ushort v30, v[30:31], off
	s_waitcnt vmcnt(1)
	v_cvt_f32_f16_e32 v170, v136
	s_waitcnt vmcnt(0)
	v_cvt_f32_f16_e32 v173, v30
.LBB166_18:                             ;   in Loop: Header=BB166_3 Depth=1
	;; [unrolled: 36-line block ×15, first 2 shown]
	s_or_b64 exec, exec, s[34:35]
	v_lshl_add_u64 v[204:205], v[134:135], 0, 31
	v_cmp_gt_i64_e32 vcc, s[12:13], v[204:205]
	s_and_b64 s[36:37], s[6:7], vcc
	v_mov_b32_e32 v199, 0
	s_and_saveexec_b64 s[34:35], s[36:37]
	s_cbranch_execz .LBB166_72
; %bb.71:                               ;   in Loop: Header=BB166_3 Depth=1
	v_lshl_add_u64 v[204:205], v[6:7], 0, v[4:5]
	global_load_ushort v199, v[204:205], off
	v_lshl_add_u64 v[204:205], v[8:9], 0, v[4:5]
	global_load_ushort v203, v[204:205], off
	s_waitcnt vmcnt(1)
	v_cvt_f32_f16_e32 v199, v199
	s_waitcnt vmcnt(0)
	v_cvt_f32_f16_e32 v203, v203
	v_mul_f32_e32 v199, v199, v203
.LBB166_72:                             ;   in Loop: Header=BB166_3 Depth=1
	s_or_b64 exec, exec, s[34:35]
	s_waitcnt vmcnt(0)
	ds_bpermute_b32 v203, v162, v164
	ds_bpermute_b32 v204, v162, v164 offset:4
	v_mul_f32_e32 v0, v165, v0
	v_mul_f32_e32 v165, v167, v168
	ds_bpermute_b32 v167, v162, v164 offset:8
	s_waitcnt lgkmcnt(2)
	v_fma_f32 v0, v0, v203, v163
	s_waitcnt lgkmcnt(1)
	v_fmac_f32_e32 v0, v165, v204
	ds_bpermute_b32 v165, v162, v164 offset:12
	v_mul_f32_e32 v166, v166, v169
	s_waitcnt lgkmcnt(1)
	v_fmac_f32_e32 v0, v166, v167
	ds_bpermute_b32 v166, v162, v164 offset:16
	v_mul_f32_e32 v167, v171, v172
	;; [unrolled: 4-line block ×11, first 2 shown]
	s_waitcnt lgkmcnt(1)
	v_fmac_f32_e32 v0, v165, v30
	v_mul_f32_e32 v30, v191, v192
	ds_bpermute_b32 v165, v162, v164 offset:56
	s_waitcnt lgkmcnt(1)
	v_fmac_f32_e32 v0, v30, v31
	ds_bpermute_b32 v30, v162, v164 offset:60
	ds_bpermute_b32 v166, v162, v164 offset:64
	v_mul_f32_e32 v31, v190, v193
	s_waitcnt lgkmcnt(2)
	v_fmac_f32_e32 v0, v31, v165
	v_mul_f32_e32 v31, v195, v196
	s_waitcnt lgkmcnt(1)
	v_fmac_f32_e32 v0, v31, v30
	;; [unrolled: 3-line block ×3, first 2 shown]
	ds_bpermute_b32 v30, v162, v164 offset:76
	ds_bpermute_b32 v31, v162, v164 offset:80
	;; [unrolled: 1-line block ×4, first 2 shown]
	v_pk_mul_f32 v[136:137], v[136:137], v[138:139]
	v_mul_f32_e32 v166, v200, v201
	s_waitcnt lgkmcnt(2)
	v_pk_mul_f32 v[30:31], v[136:137], v[30:31]
	ds_bpermute_b32 v136, v162, v164 offset:84
	ds_bpermute_b32 v137, v162, v164 offset:88
	s_waitcnt lgkmcnt(3)
	v_fmac_f32_e32 v0, v166, v165
	v_mul_f32_e32 v165, v198, v202
	s_waitcnt lgkmcnt(2)
	v_fmac_f32_e32 v0, v165, v167
	v_add_f32_e32 v0, v0, v30
	ds_bpermute_b32 v138, v162, v164 offset:92
	ds_bpermute_b32 v139, v162, v164 offset:96
	v_add_f32_e32 v0, v0, v31
	v_pk_mul_f32 v[30:31], v[140:141], v[142:143]
	s_waitcnt lgkmcnt(2)
	v_pk_mul_f32 v[30:31], v[30:31], v[136:137]
	ds_bpermute_b32 v136, v162, v164 offset:100
	v_add_f32_e32 v0, v0, v30
	ds_bpermute_b32 v137, v162, v164 offset:104
	v_add_f32_e32 v0, v0, v31
	v_pk_mul_f32 v[30:31], v[144:145], v[146:147]
	s_waitcnt lgkmcnt(2)
	v_pk_mul_f32 v[30:31], v[30:31], v[138:139]
	ds_bpermute_b32 v138, v162, v164 offset:108
	v_add_f32_e32 v0, v0, v30
	;; [unrolled: 7-line block ×3, first 2 shown]
	v_add_f32_e32 v0, v0, v31
	v_pk_mul_f32 v[30:31], v[152:153], v[154:155]
	ds_bpermute_b32 v137, v162, v164 offset:120
	s_waitcnt lgkmcnt(2)
	v_pk_mul_f32 v[30:31], v[30:31], v[138:139]
	s_nop 0
	v_add_f32_e32 v0, v0, v30
	v_add_f32_e32 v138, v0, v31
	ds_bpermute_b32 v0, v162, v164 offset:124
	v_pk_mul_f32 v[30:31], v[156:157], v[158:159]
	s_waitcnt lgkmcnt(1)
	v_pk_mul_f32 v[30:31], v[30:31], v[136:137]
	s_nop 0
	v_add_f32_e32 v30, v138, v30
	v_add_f32_e32 v31, v30, v31
	s_branch .LBB166_141
.LBB166_73:                             ;   in Loop: Header=BB166_3 Depth=1
                                        ; implicit-def: $vgpr31
                                        ; implicit-def: $vgpr199
                                        ; implicit-def: $vgpr0
	s_cbranch_execz .LBB166_141
; %bb.74:                               ;   in Loop: Header=BB166_3 Depth=1
	s_load_dword s9, s[24:25], 0x0
	v_mov_b32_e32 v159, 0
	v_mov_b32_e32 v158, 0
	s_waitcnt lgkmcnt(0)
	s_cmp_lt_u32 s2, s9
	s_cselect_b32 s9, 12, 18
	s_add_u32 s34, s24, s9
	s_addc_u32 s35, s25, 0
	global_load_ushort v0, v1, s[34:35]
	s_waitcnt vmcnt(0)
	v_mad_u32_u24 v0, v161, v0, v160
	v_and_b32_e32 v0, 63, v0
	v_cmp_gt_u32_e32 vcc, 32, v0
	s_and_saveexec_b64 s[34:35], vcc
	s_cbranch_execz .LBB166_78
; %bb.75:                               ;   in Loop: Header=BB166_3 Depth=1
	v_lshl_add_u64 v[134:135], v[134:135], 0, v[0:1]
	v_cmp_gt_i64_e32 vcc, s[12:13], v[134:135]
	v_mov_b32_e32 v158, 0
	s_and_saveexec_b64 s[36:37], vcc
	s_cbranch_execz .LBB166_77
; %bb.76:                               ;   in Loop: Header=BB166_3 Depth=1
	v_lshl_add_u64 v[30:31], v[134:135], 2, s[10:11]
	global_load_dword v158, v[30:31], off
.LBB166_77:                             ;   in Loop: Header=BB166_3 Depth=1
	s_or_b64 exec, exec, s[36:37]
.LBB166_78:                             ;   in Loop: Header=BB166_3 Depth=1
	s_or_b64 exec, exec, s[34:35]
	v_mov_b32_e32 v0, 0
	s_and_saveexec_b64 s[34:35], s[6:7]
	s_cbranch_execz .LBB166_80
; %bb.79:                               ;   in Loop: Header=BB166_3 Depth=1
	v_lshl_add_u64 v[30:31], v[130:131], 0, v[4:5]
	global_load_ushort v0, v[30:31], off
	v_lshl_add_u64 v[30:31], v[132:133], 0, v[4:5]
	global_load_ushort v30, v[30:31], off
	s_waitcnt vmcnt(1)
	v_cvt_f32_f16_e32 v159, v0
	s_waitcnt vmcnt(0)
	v_cvt_f32_f16_e32 v0, v30
.LBB166_80:                             ;   in Loop: Header=BB166_3 Depth=1
	s_or_b64 exec, exec, s[34:35]
	v_mov_b32_e32 v164, 0
	v_mov_b32_e32 v30, 0
	v_mov_b32_e32 v31, 0
	s_and_saveexec_b64 s[34:35], s[6:7]
	s_cbranch_execz .LBB166_82
; %bb.81:                               ;   in Loop: Header=BB166_3 Depth=1
	v_lshl_add_u64 v[30:31], v[126:127], 0, v[4:5]
	global_load_ushort v134, v[30:31], off
	v_lshl_add_u64 v[30:31], v[128:129], 0, v[4:5]
	global_load_ushort v31, v[30:31], off
	s_waitcnt vmcnt(1)
	v_cvt_f32_f16_e32 v30, v134
	s_waitcnt vmcnt(0)
	v_cvt_f32_f16_e32 v31, v31
.LBB166_82:                             ;   in Loop: Header=BB166_3 Depth=1
	s_or_b64 exec, exec, s[34:35]
	v_mov_b32_e32 v165, 0
	s_and_saveexec_b64 s[34:35], s[6:7]
	s_cbranch_execz .LBB166_84
; %bb.83:                               ;   in Loop: Header=BB166_3 Depth=1
	v_lshl_add_u64 v[134:135], v[122:123], 0, v[4:5]
	global_load_ushort v136, v[134:135], off
	v_lshl_add_u64 v[134:135], v[124:125], 0, v[4:5]
	global_load_ushort v134, v[134:135], off
	s_waitcnt vmcnt(1)
	v_cvt_f32_f16_e32 v164, v136
	s_waitcnt vmcnt(0)
	v_cvt_f32_f16_e32 v165, v134
.LBB166_84:                             ;   in Loop: Header=BB166_3 Depth=1
	s_or_b64 exec, exec, s[34:35]
	v_mov_b32_e32 v166, 0
	v_mov_b32_e32 v167, 0
	v_mov_b32_e32 v168, 0
	s_and_saveexec_b64 s[34:35], s[6:7]
	s_cbranch_execz .LBB166_86
; %bb.85:                               ;   in Loop: Header=BB166_3 Depth=1
	v_lshl_add_u64 v[134:135], v[118:119], 0, v[4:5]
	global_load_ushort v136, v[134:135], off
	v_lshl_add_u64 v[134:135], v[120:121], 0, v[4:5]
	global_load_ushort v134, v[134:135], off
	s_waitcnt vmcnt(1)
	v_cvt_f32_f16_e32 v167, v136
	s_waitcnt vmcnt(0)
	v_cvt_f32_f16_e32 v168, v134
.LBB166_86:                             ;   in Loop: Header=BB166_3 Depth=1
	;; [unrolled: 30-line block ×5, first 2 shown]
	s_or_b64 exec, exec, s[34:35]
	v_mov_b32_e32 v183, 0
	s_and_saveexec_b64 s[34:35], s[6:7]
	s_cbranch_execz .LBB166_100
; %bb.99:                               ;   in Loop: Header=BB166_3 Depth=1
	v_lshl_add_u64 v[134:135], v[90:91], 0, v[4:5]
	global_load_ushort v136, v[134:135], off
	v_lshl_add_u64 v[134:135], v[92:93], 0, v[4:5]
	global_load_ushort v134, v[134:135], off
	s_waitcnt vmcnt(1)
	v_cvt_f32_f16_e32 v180, v136
	s_waitcnt vmcnt(0)
	v_cvt_f32_f16_e32 v183, v134
.LBB166_100:                            ;   in Loop: Header=BB166_3 Depth=1
	s_or_b64 exec, exec, s[34:35]
	v_mov_b32_e32 v184, 0
	v_mov_b32_e32 v185, 0
	v_mov_b32_e32 v186, 0
	s_and_saveexec_b64 s[34:35], s[6:7]
	s_cbranch_execz .LBB166_102
; %bb.101:                              ;   in Loop: Header=BB166_3 Depth=1
	v_lshl_add_u64 v[134:135], v[86:87], 0, v[4:5]
	global_load_ushort v136, v[134:135], off
	v_lshl_add_u64 v[134:135], v[88:89], 0, v[4:5]
	global_load_ushort v134, v[134:135], off
	s_waitcnt vmcnt(1)
	v_cvt_f32_f16_e32 v185, v136
	s_waitcnt vmcnt(0)
	v_cvt_f32_f16_e32 v186, v134
.LBB166_102:                            ;   in Loop: Header=BB166_3 Depth=1
	s_or_b64 exec, exec, s[34:35]
	v_mov_b32_e32 v187, 0
	s_and_saveexec_b64 s[34:35], s[6:7]
	s_cbranch_execz .LBB166_104
; %bb.103:                              ;   in Loop: Header=BB166_3 Depth=1
	v_lshl_add_u64 v[134:135], v[82:83], 0, v[4:5]
	global_load_ushort v136, v[134:135], off
	v_lshl_add_u64 v[134:135], v[84:85], 0, v[4:5]
	global_load_ushort v134, v[134:135], off
	s_waitcnt vmcnt(1)
	v_cvt_f32_f16_e32 v184, v136
	s_waitcnt vmcnt(0)
	v_cvt_f32_f16_e32 v187, v134
.LBB166_104:                            ;   in Loop: Header=BB166_3 Depth=1
	s_or_b64 exec, exec, s[34:35]
	v_mov_b32_e32 v188, 0
	v_mov_b32_e32 v189, 0
	v_mov_b32_e32 v190, 0
	s_and_saveexec_b64 s[34:35], s[6:7]
	s_cbranch_execz .LBB166_106
; %bb.105:                              ;   in Loop: Header=BB166_3 Depth=1
	v_lshl_add_u64 v[134:135], v[78:79], 0, v[4:5]
	global_load_ushort v136, v[134:135], off
	v_lshl_add_u64 v[134:135], v[80:81], 0, v[4:5]
	global_load_ushort v134, v[134:135], off
	s_waitcnt vmcnt(1)
	v_cvt_f32_f16_e32 v189, v136
	s_waitcnt vmcnt(0)
	v_cvt_f32_f16_e32 v190, v134
.LBB166_106:                            ;   in Loop: Header=BB166_3 Depth=1
	s_or_b64 exec, exec, s[34:35]
	v_mov_b32_e32 v191, 0
	s_and_saveexec_b64 s[34:35], s[6:7]
	s_cbranch_execz .LBB166_108
; %bb.107:                              ;   in Loop: Header=BB166_3 Depth=1
	v_lshl_add_u64 v[134:135], v[74:75], 0, v[4:5]
	global_load_ushort v136, v[134:135], off
	v_lshl_add_u64 v[134:135], v[76:77], 0, v[4:5]
	global_load_ushort v134, v[134:135], off
	s_waitcnt vmcnt(1)
	v_cvt_f32_f16_e32 v188, v136
	s_waitcnt vmcnt(0)
	v_cvt_f32_f16_e32 v191, v134
.LBB166_108:                            ;   in Loop: Header=BB166_3 Depth=1
	;; [unrolled: 30-line block ×9, first 2 shown]
	s_or_b64 exec, exec, s[34:35]
	v_mov_b32_e32 v155, 0
	v_mov_b32_e32 v154, 0
	;; [unrolled: 1-line block ×3, first 2 shown]
	s_and_saveexec_b64 s[34:35], s[6:7]
	s_cbranch_execnz .LBB166_143
; %bb.137:                              ;   in Loop: Header=BB166_3 Depth=1
	s_or_b64 exec, exec, s[34:35]
	v_mov_b32_e32 v157, 0
	s_and_saveexec_b64 s[34:35], s[6:7]
	s_cbranch_execnz .LBB166_144
.LBB166_138:                            ;   in Loop: Header=BB166_3 Depth=1
	s_or_b64 exec, exec, s[34:35]
	v_mov_b32_e32 v199, 0
	s_and_saveexec_b64 s[34:35], s[6:7]
	s_cbranch_execz .LBB166_140
.LBB166_139:                            ;   in Loop: Header=BB166_3 Depth=1
	v_lshl_add_u64 v[202:203], v[6:7], 0, v[4:5]
	global_load_ushort v199, v[202:203], off
	v_lshl_add_u64 v[202:203], v[8:9], 0, v[4:5]
	global_load_ushort v201, v[202:203], off
	s_waitcnt vmcnt(1)
	v_cvt_f32_f16_e32 v199, v199
	s_waitcnt vmcnt(0)
	v_cvt_f32_f16_e32 v201, v201
	v_mul_f32_e32 v199, v199, v201
.LBB166_140:                            ;   in Loop: Header=BB166_3 Depth=1
	s_or_b64 exec, exec, s[34:35]
	s_waitcnt vmcnt(0)
	ds_bpermute_b32 v201, v162, v158
	ds_bpermute_b32 v202, v162, v158 offset:4
	v_mul_f32_e32 v0, v159, v0
	v_mul_f32_e32 v30, v30, v31
	ds_bpermute_b32 v31, v162, v158 offset:8
	s_waitcnt lgkmcnt(2)
	v_fmac_f32_e32 v163, v0, v201
	ds_bpermute_b32 v0, v162, v158 offset:12
	s_waitcnt lgkmcnt(2)
	v_fmac_f32_e32 v163, v30, v202
	v_mul_f32_e32 v30, v164, v165
	s_waitcnt lgkmcnt(1)
	v_fmac_f32_e32 v163, v30, v31
	ds_bpermute_b32 v30, v162, v158 offset:16
	v_mul_f32_e32 v31, v167, v168
	s_waitcnt lgkmcnt(1)
	v_fmac_f32_e32 v163, v31, v0
	ds_bpermute_b32 v0, v162, v158 offset:20
	;; [unrolled: 4-line block ×10, first 2 shown]
	v_mul_f32_e32 v31, v184, v187
	s_waitcnt lgkmcnt(1)
	v_fmac_f32_e32 v163, v31, v30
	v_mul_f32_e32 v30, v189, v190
	ds_bpermute_b32 v31, v162, v158 offset:56
	s_waitcnt lgkmcnt(1)
	v_fmac_f32_e32 v163, v30, v0
	ds_bpermute_b32 v0, v162, v158 offset:60
	ds_bpermute_b32 v159, v162, v158 offset:64
	v_mul_f32_e32 v30, v188, v191
	s_waitcnt lgkmcnt(2)
	v_fmac_f32_e32 v163, v30, v31
	v_mul_f32_e32 v30, v193, v194
	s_waitcnt lgkmcnt(1)
	v_fmac_f32_e32 v163, v30, v0
	v_mul_f32_e32 v0, v192, v195
	ds_bpermute_b32 v30, v162, v158 offset:76
	ds_bpermute_b32 v31, v162, v158 offset:80
	s_waitcnt lgkmcnt(2)
	v_fmac_f32_e32 v163, v0, v159
	ds_bpermute_b32 v0, v162, v158 offset:68
	ds_bpermute_b32 v164, v162, v158 offset:72
	v_pk_mul_f32 v[134:135], v[134:135], v[136:137]
	v_mul_f32_e32 v159, v197, v198
	s_waitcnt lgkmcnt(2)
	v_pk_mul_f32 v[30:31], v[134:135], v[30:31]
	ds_bpermute_b32 v134, v162, v158 offset:84
	ds_bpermute_b32 v135, v162, v158 offset:88
	s_waitcnt lgkmcnt(3)
	v_fmac_f32_e32 v163, v159, v0
	v_mul_f32_e32 v0, v196, v200
	s_waitcnt lgkmcnt(2)
	v_fmac_f32_e32 v163, v0, v164
	v_add_f32_e32 v0, v163, v30
	ds_bpermute_b32 v136, v162, v158 offset:92
	ds_bpermute_b32 v137, v162, v158 offset:96
	v_add_f32_e32 v0, v0, v31
	v_pk_mul_f32 v[30:31], v[138:139], v[140:141]
	s_waitcnt lgkmcnt(2)
	v_pk_mul_f32 v[30:31], v[30:31], v[134:135]
	ds_bpermute_b32 v134, v162, v158 offset:100
	v_add_f32_e32 v0, v0, v30
	ds_bpermute_b32 v135, v162, v158 offset:104
	v_add_f32_e32 v0, v0, v31
	v_pk_mul_f32 v[30:31], v[142:143], v[144:145]
	s_waitcnt lgkmcnt(2)
	v_pk_mul_f32 v[30:31], v[30:31], v[136:137]
	ds_bpermute_b32 v136, v162, v158 offset:108
	v_add_f32_e32 v0, v0, v30
	;; [unrolled: 7-line block ×3, first 2 shown]
	ds_bpermute_b32 v135, v162, v158 offset:120
	v_add_f32_e32 v0, v0, v31
	v_pk_mul_f32 v[30:31], v[150:151], v[152:153]
	s_waitcnt lgkmcnt(2)
	v_pk_mul_f32 v[30:31], v[30:31], v[136:137]
	s_nop 0
	v_add_f32_e32 v0, v0, v30
	v_add_f32_e32 v136, v0, v31
	v_pk_mul_f32 v[30:31], v[154:155], v[156:157]
	ds_bpermute_b32 v0, v162, v158 offset:124
	s_waitcnt lgkmcnt(1)
	v_pk_mul_f32 v[30:31], v[30:31], v[134:135]
	s_nop 0
	v_add_f32_e32 v30, v136, v30
	v_add_f32_e32 v31, v30, v31
.LBB166_141:                            ;   in Loop: Header=BB166_3 Depth=1
	s_add_u32 s30, s30, s22
	s_addc_u32 s31, s31, 0
	v_mov_b64_e32 v[134:135], s[12:13]
	s_add_u32 s26, s26, s22
	v_cmp_lt_i64_e32 vcc, s[30:31], v[134:135]
	s_waitcnt lgkmcnt(0)
	v_fmac_f32_e32 v31, v199, v0
	v_lshl_add_u64 v[6:7], v[6:7], 0, s[28:29]
	v_lshl_add_u64 v[8:9], v[8:9], 0, s[28:29]
	;; [unrolled: 1-line block ×65, first 2 shown]
	s_addc_u32 s27, s27, 0
	s_cbranch_vccz .LBB166_146
; %bb.142:                              ;   in Loop: Header=BB166_3 Depth=1
	v_mov_b32_e32 v163, v31
	s_branch .LBB166_3
.LBB166_143:                            ;   in Loop: Header=BB166_3 Depth=1
	v_lshl_add_u64 v[156:157], v[14:15], 0, v[4:5]
	global_load_ushort v154, v[156:157], off
	v_lshl_add_u64 v[156:157], v[16:17], 0, v[4:5]
	global_load_ushort v156, v[156:157], off
	s_waitcnt vmcnt(1)
	v_cvt_f32_f16_e32 v154, v154
	s_waitcnt vmcnt(0)
	v_cvt_f32_f16_e32 v156, v156
	s_or_b64 exec, exec, s[34:35]
	v_mov_b32_e32 v157, 0
	s_and_saveexec_b64 s[34:35], s[6:7]
	s_cbranch_execz .LBB166_138
.LBB166_144:                            ;   in Loop: Header=BB166_3 Depth=1
	v_lshl_add_u64 v[202:203], v[10:11], 0, v[4:5]
	global_load_ushort v155, v[202:203], off
	v_lshl_add_u64 v[202:203], v[12:13], 0, v[4:5]
	global_load_ushort v157, v[202:203], off
	s_waitcnt vmcnt(1)
	v_cvt_f32_f16_e32 v155, v155
	s_waitcnt vmcnt(0)
	v_cvt_f32_f16_e32 v157, v157
	s_or_b64 exec, exec, s[34:35]
	v_mov_b32_e32 v199, 0
	s_and_saveexec_b64 s[34:35], s[6:7]
	s_cbranch_execnz .LBB166_139
	s_branch .LBB166_140
.LBB166_145:
                                        ; implicit-def: $vgpr31
	s_load_dwordx2 s[6:7], s[0:1], 0x30
	s_branch .LBB166_147
.LBB166_146:
	s_load_dwordx2 s[6:7], s[0:1], 0x30
	s_cbranch_execnz .LBB166_228
.LBB166_147:
	s_and_b64 vcc, exec, s[4:5]
	v_mov_b32_e32 v31, 0
	s_cbranch_vccnz .LBB166_228
; %bb.148:
	v_and_b32_e32 v0, 0x3ff, v206
	v_add_u32_e32 v130, s3, v0
	v_mov_b32_e32 v131, 0
	v_bfe_u32 v31, v206, 10, 10
	v_lshlrev_b64 v[4:5], 1, v[130:131]
	v_lshlrev_b32_e32 v130, 6, v31
	v_accvgpr_write_b32 a1, v0
	v_lshl_add_u64 v[0:1], s[20:21], 1, v[130:131]
	v_lshl_add_u64 v[6:7], v[0:1], 0, 2
	v_mov_b64_e32 v[2:3], s[16:17]
	v_mad_u64_u32 v[8:9], s[4:5], s14, v6, v[2:3]
	v_mul_lo_u32 v7, s14, v7
	v_mul_lo_u32 v24, s15, v6
	v_add3_u32 v9, v24, v9, v7
	v_accvgpr_write_b32 a6, v8
	v_lshl_add_u64 v[10:11], v[0:1], 0, 4
	v_accvgpr_write_b32 a7, v9
	v_mad_u64_u32 v[8:9], s[4:5], s14, v10, v[2:3]
	v_mul_lo_u32 v11, s14, v11
	v_mul_lo_u32 v25, s15, v10
	v_add3_u32 v9, v25, v9, v11
	v_accvgpr_write_b32 a8, v8
	v_lshl_add_u64 v[12:13], v[0:1], 0, 6
	v_accvgpr_write_b32 a9, v9
	;; [unrolled: 7-line block ×6, first 2 shown]
	v_mad_u64_u32 v[8:9], s[4:5], s14, v20, v[2:3]
	v_mul_lo_u32 v21, s14, v21
	v_mul_lo_u32 v30, s15, v20
	v_add3_u32 v9, v30, v9, v21
	v_accvgpr_write_b32 a19, v9
	v_accvgpr_write_b32 a18, v8
	v_mov_b64_e32 v[8:9], s[18:19]
	v_mad_u64_u32 v[34:35], s[4:5], s14, v6, v[8:9]
	v_add3_u32 v35, v24, v35, v7
	v_mad_u64_u32 v[6:7], s[4:5], s14, v10, v[8:9]
	v_add3_u32 v7, v25, v7, v11
	v_mad_u64_u32 v[10:11], s[4:5], s14, v12, v[8:9]
	v_accvgpr_write_b32 a25, v7
	v_add3_u32 v11, v26, v11, v13
	v_accvgpr_write_b32 a24, v6
	v_lshl_add_u64 v[6:7], v[0:1], 0, 18
	v_accvgpr_write_b32 a27, v11
	v_accvgpr_write_b32 a26, v10
	v_mad_u64_u32 v[10:11], s[4:5], s14, v6, v[2:3]
	v_mul_lo_u32 v7, s14, v7
	v_mad_u64_u32 v[12:13], s[4:5], s14, v14, v[8:9]
	v_mul_lo_u32 v14, s15, v6
	v_add3_u32 v11, v14, v11, v7
	v_add3_u32 v13, v27, v13, v15
	v_accvgpr_write_b32 a29, v11
	v_accvgpr_write_b32 a31, v13
	;; [unrolled: 1-line block ×3, first 2 shown]
	v_mad_u64_u32 v[10:11], s[4:5], s14, v16, v[8:9]
	v_accvgpr_write_b32 a30, v12
	v_add3_u32 v11, v28, v11, v17
	v_mad_u64_u32 v[12:13], s[4:5], s14, v18, v[8:9]
	v_accvgpr_write_b32 a33, v11
	v_add3_u32 v13, v29, v13, v19
	v_accvgpr_write_b32 a32, v10
	v_lshl_add_u64 v[10:11], v[0:1], 0, 20
	v_accvgpr_write_b32 a35, v13
	v_accvgpr_write_b32 a34, v12
	v_mad_u64_u32 v[12:13], s[4:5], s14, v10, v[2:3]
	v_mul_lo_u32 v11, s14, v11
	v_mul_lo_u32 v15, s15, v10
	v_add3_u32 v13, v15, v13, v11
	v_lshl_add_u64 v[22:23], v[0:1], 0, 16
	v_mad_u64_u32 v[16:17], s[4:5], s14, v20, v[8:9]
	v_accvgpr_write_b32 a37, v13
	v_mul_lo_u32 v23, s14, v23
	v_mul_lo_u32 v24, s15, v22
	v_add3_u32 v17, v30, v17, v21
	v_accvgpr_write_b32 a36, v12
	v_mad_u64_u32 v[12:13], s[4:5], s14, v22, v[8:9]
	v_accvgpr_write_b32 a39, v17
	v_add3_u32 v13, v24, v13, v23
	v_accvgpr_write_b32 a38, v16
	v_accvgpr_write_b32 a41, v13
	v_mad_u64_u32 v[16:17], s[4:5], s14, v6, v[8:9]
	v_accvgpr_write_b32 a40, v12
	v_lshl_add_u64 v[12:13], v[0:1], 0, 22
	v_add3_u32 v17, v14, v17, v7
	v_mad_u64_u32 v[18:19], s[4:5], s14, v10, v[8:9]
	v_accvgpr_write_b32 a43, v17
	v_mul_lo_u32 v6, s14, v13
	v_add3_u32 v19, v15, v19, v11
	v_mul_lo_u32 v7, s15, v12
	v_mad_u64_u32 v[10:11], s[4:5], s14, v12, v[8:9]
	v_accvgpr_write_b32 a42, v16
	v_mad_u64_u32 v[16:17], s[4:5], s14, v12, v[2:3]
	v_add3_u32 v11, v7, v11, v6
	v_add3_u32 v17, v7, v17, v6
	v_accvgpr_write_b32 a49, v11
	v_lshl_add_u64 v[6:7], v[0:1], 0, 24
	v_accvgpr_write_b32 a48, v10
	v_mul_lo_u32 v7, s14, v7
	v_mul_lo_u32 v10, s15, v6
	v_mad_u64_u32 v[12:13], s[4:5], s14, v6, v[2:3]
	v_add3_u32 v13, v10, v13, v7
	v_accvgpr_write_b32 a51, v13
	v_accvgpr_write_b32 a50, v12
	v_mad_u64_u32 v[12:13], s[4:5], s14, v6, v[8:9]
	v_add3_u32 v13, v10, v13, v7
	v_accvgpr_write_b32 a53, v13
	v_lshl_add_u64 v[6:7], v[0:1], 0, 26
	v_accvgpr_write_b32 a52, v12
	v_mul_lo_u32 v7, s14, v7
	v_mul_lo_u32 v10, s15, v6
	v_mad_u64_u32 v[12:13], s[4:5], s14, v6, v[2:3]
	v_add3_u32 v13, v10, v13, v7
	v_accvgpr_write_b32 a55, v13
	v_accvgpr_write_b32 a54, v12
	v_mad_u64_u32 v[12:13], s[4:5], s14, v6, v[8:9]
	;; [unrolled: 11-line block ×4, first 2 shown]
	v_add3_u32 v13, v10, v13, v7
	v_lshl_add_u64 v[6:7], v[0:1], 0, 32
	v_mul_lo_u32 v7, s14, v7
	v_mul_lo_u32 v10, s15, v6
	v_mad_u64_u32 v[66:67], s[4:5], s14, v6, v[2:3]
	v_mad_u64_u32 v[68:69], s[4:5], s14, v6, v[8:9]
	v_add3_u32 v67, v10, v67, v7
	v_add3_u32 v69, v10, v69, v7
	v_lshl_add_u64 v[6:7], v[0:1], 0, 34
	v_mul_lo_u32 v7, s14, v7
	v_mul_lo_u32 v10, s15, v6
	v_mad_u64_u32 v[70:71], s[4:5], s14, v6, v[2:3]
	v_mad_u64_u32 v[72:73], s[4:5], s14, v6, v[8:9]
	v_add3_u32 v71, v10, v71, v7
	;; [unrolled: 7-line block ×14, first 2 shown]
	v_add3_u32 v121, v10, v121, v7
	v_lshl_add_u64 v[6:7], v[0:1], 0, 60
	v_mul_lo_u32 v7, s14, v7
	v_mul_lo_u32 v10, s15, v6
	v_mad_u64_u32 v[122:123], s[4:5], s14, v6, v[2:3]
	v_mad_u64_u32 v[124:125], s[4:5], s14, v6, v[8:9]
	v_lshl_add_u64 v[0:1], v[0:1], 0, 62
	v_lshlrev_b32_e32 v130, 5, v31
	v_add3_u32 v123, v10, v123, v7
	v_add3_u32 v125, v10, v125, v7
	v_mad_u64_u32 v[126:127], s[4:5], s14, v0, v[2:3]
	v_mad_u64_u32 v[128:129], s[4:5], s14, v0, v[8:9]
	v_mul_lo_u32 v1, s14, v1
	v_mul_lo_u32 v0, s15, v0
	v_lshl_add_u64 v[6:7], v[130:131], 0, s[20:21]
	v_add3_u32 v127, v0, v127, v1
	v_add3_u32 v129, v0, v129, v1
	v_lshl_add_u64 v[0:1], v[6:7], 0, 31
	v_mad_u64_u32 v[32:33], s[4:5], s14, v22, v[2:3]
	v_mul_lo_u32 v2, s15, v0
	v_mul_lo_u32 v1, s14, v1
	v_mad_u64_u32 v[136:137], s[4:5], s14, v0, 0
	v_add3_u32 v137, v137, v1, v2
	v_lshl_add_u64 v[2:3], v[6:7], 0, 30
	v_mul_lo_u32 v0, s15, v2
	v_mul_lo_u32 v1, s14, v3
	v_mad_u64_u32 v[2:3], s[4:5], s14, v2, 0
	v_lshl_add_u64 v[8:9], v[6:7], 0, 29
	v_accvgpr_write_b32 a65, v13
	v_add3_u32 v3, v3, v1, v0
	v_mul_lo_u32 v0, s15, v8
	v_mul_lo_u32 v1, s14, v9
	v_mad_u64_u32 v[8:9], s[4:5], s14, v8, 0
	v_lshl_add_u64 v[10:11], v[6:7], 0, 28
	v_accvgpr_write_b32 a64, v12
	v_add3_u32 v9, v9, v1, v0
	;; [unrolled: 6-line block ×3, first 2 shown]
	v_mul_lo_u32 v0, s15, v12
	v_mul_lo_u32 v1, s14, v13
	v_mad_u64_u32 v[12:13], s[4:5], s14, v12, 0
	v_lshl_add_u64 v[14:15], v[6:7], 0, 26
	v_accvgpr_write_b32 a47, v19
	v_accvgpr_write_b32 a44, v16
	v_add3_u32 v13, v13, v1, v0
	v_mul_lo_u32 v0, s15, v14
	v_mul_lo_u32 v1, s14, v15
	v_mad_u64_u32 v[14:15], s[4:5], s14, v14, 0
	v_lshl_add_u64 v[16:17], v[6:7], 0, 25
	v_accvgpr_write_b32 a46, v18
	v_add3_u32 v15, v15, v1, v0
	v_mul_lo_u32 v0, s15, v16
	v_mul_lo_u32 v1, s14, v17
	v_mad_u64_u32 v[16:17], s[4:5], s14, v16, 0
	v_lshl_add_u64 v[18:19], v[6:7], 0, 24
	v_add3_u32 v17, v17, v1, v0
	v_mul_lo_u32 v0, s15, v18
	v_mul_lo_u32 v1, s14, v19
	v_mad_u64_u32 v[18:19], s[4:5], s14, v18, 0
	v_lshl_add_u64 v[20:21], v[6:7], 0, 23
	v_add3_u32 v33, v24, v33, v23
	v_add3_u32 v19, v19, v1, v0
	v_mul_lo_u32 v0, s15, v20
	v_mul_lo_u32 v1, s14, v21
	v_mad_u64_u32 v[20:21], s[4:5], s14, v20, 0
	v_lshl_add_u64 v[22:23], v[6:7], 0, 22
	v_lshlrev_b64 v[2:3], 1, v[2:3]
	v_add3_u32 v21, v21, v1, v0
	v_mul_lo_u32 v0, s15, v22
	v_mul_lo_u32 v1, s14, v23
	v_mad_u64_u32 v[22:23], s[4:5], s14, v22, 0
	v_lshl_add_u64 v[24:25], v[6:7], 0, 21
	v_lshl_add_u64 v[140:141], s[16:17], 0, v[2:3]
	v_lshl_add_u64 v[142:143], s[18:19], 0, v[2:3]
	v_lshlrev_b64 v[2:3], 1, v[8:9]
	v_add3_u32 v23, v23, v1, v0
	v_mul_lo_u32 v0, s15, v24
	v_mul_lo_u32 v1, s14, v25
	v_mad_u64_u32 v[24:25], s[4:5], s14, v24, 0
	v_lshl_add_u64 v[26:27], v[6:7], 0, 20
	v_lshl_add_u64 v[144:145], s[16:17], 0, v[2:3]
	v_lshl_add_u64 v[146:147], s[18:19], 0, v[2:3]
	v_lshlrev_b64 v[2:3], 1, v[10:11]
	v_add3_u32 v25, v25, v1, v0
	v_mul_lo_u32 v0, s15, v26
	v_mul_lo_u32 v1, s14, v27
	v_mad_u64_u32 v[26:27], s[4:5], s14, v26, 0
	v_lshl_add_u64 v[28:29], v[6:7], 0, 19
	v_lshl_add_u64 v[148:149], s[16:17], 0, v[2:3]
	v_lshl_add_u64 v[150:151], s[18:19], 0, v[2:3]
	v_lshlrev_b64 v[2:3], 1, v[12:13]
	v_accvgpr_write_b32 a20, v32
	v_accvgpr_write_b32 a4, v31
	v_add3_u32 v27, v27, v1, v0
	v_mul_lo_u32 v0, s15, v28
	v_mul_lo_u32 v1, s14, v29
	v_mad_u64_u32 v[28:29], s[4:5], s14, v28, 0
	v_lshl_add_u64 v[30:31], v[6:7], 0, 18
	v_lshl_add_u64 v[152:153], s[16:17], 0, v[2:3]
	;; [unrolled: 1-line block ×3, first 2 shown]
	v_lshlrev_b64 v[2:3], 1, v[14:15]
	v_accvgpr_write_b32 a22, v34
	v_accvgpr_write_b32 a21, v33
	v_add3_u32 v29, v29, v1, v0
	v_mul_lo_u32 v0, s15, v30
	v_mul_lo_u32 v1, s14, v31
	v_mad_u64_u32 v[30:31], s[4:5], s14, v30, 0
	v_lshl_add_u64 v[32:33], v[6:7], 0, 17
	v_lshl_add_u64 v[156:157], s[16:17], 0, v[2:3]
	;; [unrolled: 1-line block ×3, first 2 shown]
	v_lshlrev_b64 v[2:3], 1, v[16:17]
	v_accvgpr_write_b32 a23, v35
	v_add3_u32 v31, v31, v1, v0
	v_mul_lo_u32 v0, s15, v32
	v_mul_lo_u32 v1, s14, v33
	v_mad_u64_u32 v[32:33], s[4:5], s14, v32, 0
	v_lshl_add_u64 v[34:35], v[6:7], 0, 16
	v_lshl_add_u64 v[160:161], s[16:17], 0, v[2:3]
	v_lshl_add_u64 v[162:163], s[18:19], 0, v[2:3]
	v_lshlrev_b64 v[2:3], 1, v[18:19]
	v_add3_u32 v33, v33, v1, v0
	v_mul_lo_u32 v0, s15, v34
	v_mul_lo_u32 v1, s14, v35
	v_mad_u64_u32 v[34:35], s[4:5], s14, v34, 0
	v_lshl_add_u64 v[36:37], v[6:7], 0, 15
	v_lshl_add_u64 v[164:165], s[16:17], 0, v[2:3]
	v_lshl_add_u64 v[166:167], s[18:19], 0, v[2:3]
	v_lshlrev_b64 v[2:3], 1, v[20:21]
	;; [unrolled: 8-line block ×11, first 2 shown]
	v_accvgpr_write_b32 a0, v206
	v_add3_u32 v53, v53, v1, v0
	v_mul_lo_u32 v0, s15, v54
	v_mul_lo_u32 v1, s14, v55
	v_mad_u64_u32 v[54:55], s[4:5], s14, v54, 0
	v_lshl_add_u64 v[56:57], v[6:7], 0, 5
	v_lshl_add_u64 v[204:205], s[16:17], 0, v[2:3]
	v_lshl_add_u64 v[206:207], s[18:19], 0, v[2:3]
	v_lshlrev_b64 v[2:3], 1, v[40:41]
	v_add3_u32 v55, v55, v1, v0
	v_mul_lo_u32 v0, s15, v56
	v_mul_lo_u32 v1, s14, v57
	v_mad_u64_u32 v[56:57], s[4:5], s14, v56, 0
	v_lshl_add_u64 v[132:133], v[6:7], 0, 4
	v_lshl_add_u64 v[208:209], s[16:17], 0, v[2:3]
	v_lshl_add_u64 v[210:211], s[18:19], 0, v[2:3]
	v_lshlrev_b64 v[2:3], 1, v[42:43]
	;; [unrolled: 8-line block ×4, first 2 shown]
	v_add3_u32 v249, v249, v1, v0
	v_mul_lo_u32 v0, s15, v132
	v_mul_lo_u32 v1, s14, v133
	v_mad_u64_u32 v[252:253], s[4:5], s14, v132, 0
	v_mov_b64_e32 v[132:133], s[14:15]
	s_load_dword s3, s[0:1], 0x44
	v_lshl_add_u64 v[220:221], s[16:17], 0, v[2:3]
	v_lshl_add_u64 v[222:223], s[18:19], 0, v[2:3]
	v_lshlrev_b64 v[2:3], 1, v[48:49]
	v_add3_u32 v253, v253, v1, v0
	v_mad_u64_u32 v[0:1], s[4:5], s14, v6, v[132:133]
	v_mul_lo_u32 v58, s15, v6
	v_mul_lo_u32 v59, s14, v7
	v_mad_u64_u32 v[6:7], s[4:5], s14, v6, 0
	v_lshl_add_u64 v[224:225], s[16:17], 0, v[2:3]
	v_lshl_add_u64 v[226:227], s[18:19], 0, v[2:3]
	v_lshlrev_b64 v[2:3], 1, v[50:51]
	v_add3_u32 v7, v7, v59, v58
	v_lshl_add_u64 v[228:229], s[16:17], 0, v[2:3]
	v_lshl_add_u64 v[230:231], s[18:19], 0, v[2:3]
	v_lshlrev_b64 v[2:3], 1, v[52:53]
	v_lshlrev_b64 v[6:7], 1, v[6:7]
	v_lshl_add_u64 v[232:233], s[16:17], 0, v[2:3]
	v_lshl_add_u64 v[234:235], s[18:19], 0, v[2:3]
	v_lshlrev_b64 v[2:3], 1, v[54:55]
	s_add_u32 s22, s0, 64
	v_lshl_add_u64 v[132:133], s[16:17], 0, v[6:7]
	v_lshl_add_u64 v[134:135], s[18:19], 0, v[6:7]
	v_lshlrev_b64 v[6:7], 1, v[136:137]
	v_lshl_add_u64 v[236:237], s[16:17], 0, v[2:3]
	v_lshl_add_u64 v[238:239], s[18:19], 0, v[2:3]
	v_lshlrev_b64 v[2:3], 1, v[56:57]
	s_addc_u32 s23, s1, 0
	s_waitcnt lgkmcnt(0)
	s_lshl_b32 s4, s3, 5
	v_lshl_add_u64 v[136:137], s[16:17], 0, v[6:7]
	v_lshl_add_u64 v[138:139], s[18:19], 0, v[6:7]
	;; [unrolled: 1-line block ×4, first 2 shown]
	v_lshlrev_b64 v[2:3], 1, v[244:245]
	v_mbcnt_lo_u32_b32 v6, -1, 0
	v_add3_u32 v1, v58, v1, v59
	s_mul_i32 s3, s15, s4
	s_mul_hi_u32 s9, s14, s4
	v_lshl_add_u64 v[244:245], s[16:17], 0, v[2:3]
	v_lshl_add_u64 v[246:247], s[18:19], 0, v[2:3]
	v_lshlrev_b64 v[2:3], 1, v[248:249]
	v_mbcnt_hi_u32_b32 v6, -1, v6
	s_add_i32 s25, s9, s3
	s_mul_i32 s24, s14, s4
	v_lshl_add_u64 v[248:249], s[16:17], 0, v[2:3]
	v_lshl_add_u64 v[250:251], s[18:19], 0, v[2:3]
	v_lshlrev_b64 v[2:3], 1, v[252:253]
	v_lshlrev_b64 v[0:1], 1, v[0:1]
	v_lshlrev_b32_e32 v6, 2, v6
	v_accvgpr_write_b32 a3, v131
	s_mov_b32 s5, 0
	s_lshl_b64 s[24:25], s[24:25], 1
	s_mov_b64 s[26:27], 31
	v_lshl_add_u64 v[252:253], s[16:17], 0, v[2:3]
	v_lshl_add_u64 v[254:255], s[18:19], 0, v[2:3]
	;; [unrolled: 1-line block ×4, first 2 shown]
	v_and_b32_e32 v30, 0x100, v6
	s_mov_b64 s[16:17], s[20:21]
	v_mov_b32_e32 v36, 0
.LBB166_149:                            ; =>This Inner Loop Header: Depth=1
	s_add_u32 s18, s20, s26
	s_addc_u32 s19, 0, s27
	v_mov_b64_e32 v[6:7], s[12:13]
	v_cmp_ge_i64_e32 vcc, s[18:19], v[6:7]
	v_lshl_add_u64 v[6:7], s[20:21], 0, v[130:131]
	s_cbranch_vccz .LBB166_219
; %bb.150:                              ;   in Loop: Header=BB166_149 Depth=1
	s_load_dword s3, s[22:23], 0xc
	v_mov_b32_e32 v8, 0
	v_accvgpr_write_b32 a72, v8             ;  Reload Reuse
	v_accvgpr_read_b32 v8, a1
	v_accvgpr_read_b32 v9, a4
	s_waitcnt lgkmcnt(0)
	s_and_b32 s3, s3, 0xffff
	v_mad_u32_u24 v8, v9, s3, v8
	v_and_b32_e32 v8, 63, v8
	v_accvgpr_read_b32 v9, a3
	v_accvgpr_write_b32 a2, v8
	v_accvgpr_write_b32 a3, v9
	v_cmp_gt_u32_e32 vcc, 32, v8
	v_mov_b32_e32 v32, 0
	s_and_saveexec_b64 s[18:19], vcc
	s_cbranch_execz .LBB166_154
; %bb.151:                              ;   in Loop: Header=BB166_149 Depth=1
	v_accvgpr_read_b32 v9, a3
	v_accvgpr_read_b32 v8, a2
	v_lshl_add_u64 v[8:9], v[6:7], 0, v[8:9]
	v_cmp_gt_i64_e32 vcc, s[12:13], v[8:9]
	v_mov_b32_e32 v32, 0
	s_and_saveexec_b64 s[28:29], vcc
	s_cbranch_execz .LBB166_153
; %bb.152:                              ;   in Loop: Header=BB166_149 Depth=1
	v_lshl_add_u64 v[8:9], v[8:9], 2, s[10:11]
	global_load_dword v32, v[8:9], off
.LBB166_153:                            ;   in Loop: Header=BB166_149 Depth=1
	s_or_b64 exec, exec, s[28:29]
.LBB166_154:                            ;   in Loop: Header=BB166_149 Depth=1
	s_or_b64 exec, exec, s[18:19]
	v_cmp_gt_i64_e32 vcc, s[12:13], v[6:7]
	v_mov_b32_e32 v34, 0
	s_and_saveexec_b64 s[18:19], vcc
	s_cbranch_execz .LBB166_156
; %bb.155:                              ;   in Loop: Header=BB166_149 Depth=1
	v_lshl_add_u64 v[8:9], v[132:133], 0, v[4:5]
	global_load_ushort v10, v[8:9], off
	v_lshl_add_u64 v[8:9], v[134:135], 0, v[4:5]
	global_load_ushort v8, v[8:9], off
	s_waitcnt vmcnt(1)
	v_cvt_f32_f16_e32 v9, v10
	s_waitcnt vmcnt(0)
	v_cvt_f32_f16_e32 v34, v8
	v_accvgpr_write_b32 a72, v9             ;  Reload Reuse
.LBB166_156:                            ;   in Loop: Header=BB166_149 Depth=1
	s_or_b64 exec, exec, s[18:19]
	v_lshl_add_u64 v[8:9], v[6:7], 0, 1
	v_cmp_gt_i64_e32 vcc, s[12:13], v[8:9]
	v_mov_b32_e32 v8, 0
	v_accvgpr_write_b32 a73, v8             ;  Reload Reuse
	v_mov_b32_e32 v8, 0
	v_accvgpr_write_b32 a74, v8             ;  Reload Reuse
	;; [unrolled: 2-line block ×3, first 2 shown]
	s_and_saveexec_b64 s[18:19], vcc
	s_cbranch_execz .LBB166_158
; %bb.157:                              ;   in Loop: Header=BB166_149 Depth=1
	v_lshl_add_u64 v[8:9], v[2:3], 0, v[4:5]
	global_load_ushort v10, v[8:9], off
	v_lshl_add_u64 v[8:9], v[0:1], 0, v[4:5]
	global_load_ushort v8, v[8:9], off
	s_waitcnt vmcnt(1)
	v_cvt_f32_f16_e32 v9, v10
	s_waitcnt vmcnt(0)
	v_cvt_f32_f16_e32 v8, v8
	v_accvgpr_write_b32 a74, v9             ;  Reload Reuse
	v_accvgpr_write_b32 a75, v8             ;  Reload Reuse
.LBB166_158:                            ;   in Loop: Header=BB166_149 Depth=1
	s_or_b64 exec, exec, s[18:19]
	v_lshl_add_u64 v[8:9], v[6:7], 0, 2
	v_cmp_gt_i64_e32 vcc, s[12:13], v[8:9]
	v_mov_b32_e32 v60, 0
	s_and_saveexec_b64 s[18:19], vcc
	s_cbranch_execz .LBB166_160
; %bb.159:                              ;   in Loop: Header=BB166_149 Depth=1
	v_lshl_add_u64 v[8:9], v[252:253], 0, v[4:5]
	global_load_ushort v10, v[8:9], off
	v_lshl_add_u64 v[8:9], v[254:255], 0, v[4:5]
	global_load_ushort v8, v[8:9], off
	s_waitcnt vmcnt(1)
	v_cvt_f32_f16_e32 v9, v10
	s_waitcnt vmcnt(0)
	v_cvt_f32_f16_e32 v60, v8
	v_accvgpr_write_b32 a73, v9             ;  Reload Reuse
.LBB166_160:                            ;   in Loop: Header=BB166_149 Depth=1
	s_or_b64 exec, exec, s[18:19]
	v_lshl_add_u64 v[8:9], v[6:7], 0, 3
	v_cmp_gt_i64_e32 vcc, s[12:13], v[8:9]
	v_mov_b32_e32 v8, 0
	v_accvgpr_write_b32 a76, v8             ;  Reload Reuse
	v_mov_b32_e32 v8, 0
	v_accvgpr_write_b32 a77, v8             ;  Reload Reuse
	;; [unrolled: 2-line block ×3, first 2 shown]
	s_and_saveexec_b64 s[18:19], vcc
	s_cbranch_execz .LBB166_162
; %bb.161:                              ;   in Loop: Header=BB166_149 Depth=1
	v_lshl_add_u64 v[8:9], v[248:249], 0, v[4:5]
	global_load_ushort v10, v[8:9], off
	v_lshl_add_u64 v[8:9], v[250:251], 0, v[4:5]
	global_load_ushort v8, v[8:9], off
	s_waitcnt vmcnt(1)
	v_cvt_f32_f16_e32 v9, v10
	s_waitcnt vmcnt(0)
	v_cvt_f32_f16_e32 v8, v8
	v_accvgpr_write_b32 a77, v9             ;  Reload Reuse
	v_accvgpr_write_b32 a78, v8             ;  Reload Reuse
.LBB166_162:                            ;   in Loop: Header=BB166_149 Depth=1
	s_or_b64 exec, exec, s[18:19]
	v_lshl_add_u64 v[8:9], v[6:7], 0, 4
	v_cmp_gt_i64_e32 vcc, s[12:13], v[8:9]
	v_mov_b32_e32 v8, 0
	v_accvgpr_write_b32 a79, v8             ;  Reload Reuse
	s_and_saveexec_b64 s[18:19], vcc
	s_cbranch_execz .LBB166_164
; %bb.163:                              ;   in Loop: Header=BB166_149 Depth=1
	v_lshl_add_u64 v[8:9], v[244:245], 0, v[4:5]
	global_load_ushort v10, v[8:9], off
	v_lshl_add_u64 v[8:9], v[246:247], 0, v[4:5]
	global_load_ushort v8, v[8:9], off
	s_waitcnt vmcnt(1)
	v_cvt_f32_f16_e32 v9, v10
	s_waitcnt vmcnt(0)
	v_cvt_f32_f16_e32 v8, v8
	v_accvgpr_write_b32 a76, v9             ;  Reload Reuse
	v_accvgpr_write_b32 a79, v8             ;  Reload Reuse
.LBB166_164:                            ;   in Loop: Header=BB166_149 Depth=1
	s_or_b64 exec, exec, s[18:19]
	v_lshl_add_u64 v[8:9], v[6:7], 0, 5
	v_cmp_gt_i64_e32 vcc, s[12:13], v[8:9]
	v_mov_b32_e32 v8, 0
	v_accvgpr_write_b32 a80, v8             ;  Reload Reuse
	v_mov_b32_e32 v8, 0
	v_mov_b32_e32 v61, 0
	v_accvgpr_write_b32 a81, v8             ;  Reload Reuse
	s_and_saveexec_b64 s[18:19], vcc
	s_cbranch_execz .LBB166_166
; %bb.165:                              ;   in Loop: Header=BB166_149 Depth=1
	v_lshl_add_u64 v[8:9], v[240:241], 0, v[4:5]
	global_load_ushort v10, v[8:9], off
	v_lshl_add_u64 v[8:9], v[242:243], 0, v[4:5]
	global_load_ushort v8, v[8:9], off
	s_waitcnt vmcnt(1)
	v_cvt_f32_f16_e32 v9, v10
	s_waitcnt vmcnt(0)
	v_cvt_f32_f16_e32 v8, v8
	v_accvgpr_write_b32 a80, v9             ;  Reload Reuse
	v_accvgpr_write_b32 a81, v8             ;  Reload Reuse
.LBB166_166:                            ;   in Loop: Header=BB166_149 Depth=1
	s_or_b64 exec, exec, s[18:19]
	v_lshl_add_u64 v[8:9], v[6:7], 0, 6
	v_cmp_gt_i64_e32 vcc, s[12:13], v[8:9]
	v_mov_b32_e32 v62, 0
	s_and_saveexec_b64 s[18:19], vcc
	s_cbranch_execz .LBB166_168
; %bb.167:                              ;   in Loop: Header=BB166_149 Depth=1
	v_lshl_add_u64 v[8:9], v[236:237], 0, v[4:5]
	global_load_ushort v10, v[8:9], off
	v_lshl_add_u64 v[8:9], v[238:239], 0, v[4:5]
	global_load_ushort v8, v[8:9], off
	s_waitcnt vmcnt(1)
	v_cvt_f32_f16_e32 v61, v10
	s_waitcnt vmcnt(0)
	v_cvt_f32_f16_e32 v62, v8
.LBB166_168:                            ;   in Loop: Header=BB166_149 Depth=1
	s_or_b64 exec, exec, s[18:19]
	v_lshl_add_u64 v[8:9], v[6:7], 0, 7
	v_cmp_gt_i64_e32 vcc, s[12:13], v[8:9]
	v_mov_b32_e32 v8, 0
	v_accvgpr_write_b32 a82, v8             ;  Reload Reuse
	v_mov_b32_e32 v63, 0
	v_mov_b32_e32 v35, 0
	s_and_saveexec_b64 s[18:19], vcc
	s_cbranch_execz .LBB166_170
; %bb.169:                              ;   in Loop: Header=BB166_149 Depth=1
	v_lshl_add_u64 v[8:9], v[232:233], 0, v[4:5]
	global_load_ushort v10, v[8:9], off
	v_lshl_add_u64 v[8:9], v[234:235], 0, v[4:5]
	global_load_ushort v8, v[8:9], off
	s_waitcnt vmcnt(1)
	v_cvt_f32_f16_e32 v63, v10
	s_waitcnt vmcnt(0)
	v_cvt_f32_f16_e32 v35, v8
.LBB166_170:                            ;   in Loop: Header=BB166_149 Depth=1
	s_or_b64 exec, exec, s[18:19]
	v_lshl_add_u64 v[8:9], v[6:7], 0, 8
	v_cmp_gt_i64_e32 vcc, s[12:13], v[8:9]
	v_mov_b32_e32 v31, 0
	s_and_saveexec_b64 s[18:19], vcc
	s_cbranch_execz .LBB166_172
; %bb.171:                              ;   in Loop: Header=BB166_149 Depth=1
	v_lshl_add_u64 v[8:9], v[228:229], 0, v[4:5]
	global_load_ushort v10, v[8:9], off
	v_lshl_add_u64 v[8:9], v[230:231], 0, v[4:5]
	global_load_ushort v8, v[8:9], off
	s_waitcnt vmcnt(1)
	v_cvt_f32_f16_e32 v9, v10
	s_waitcnt vmcnt(0)
	v_cvt_f32_f16_e32 v31, v8
	v_accvgpr_write_b32 a82, v9             ;  Reload Reuse
.LBB166_172:                            ;   in Loop: Header=BB166_149 Depth=1
	s_or_b64 exec, exec, s[18:19]
	v_lshl_add_u64 v[8:9], v[6:7], 0, 9
	v_cmp_gt_i64_e32 vcc, s[12:13], v[8:9]
	v_mov_b32_e32 v64, 0
	v_mov_b32_e32 v38, 0
	v_mov_b32_e32 v39, 0
	s_and_saveexec_b64 s[18:19], vcc
	s_cbranch_execz .LBB166_174
; %bb.173:                              ;   in Loop: Header=BB166_149 Depth=1
	v_lshl_add_u64 v[8:9], v[224:225], 0, v[4:5]
	global_load_ushort v10, v[8:9], off
	v_lshl_add_u64 v[8:9], v[226:227], 0, v[4:5]
	global_load_ushort v8, v[8:9], off
	s_waitcnt vmcnt(1)
	v_cvt_f32_f16_e32 v38, v10
	s_waitcnt vmcnt(0)
	v_cvt_f32_f16_e32 v39, v8
.LBB166_174:                            ;   in Loop: Header=BB166_149 Depth=1
	s_or_b64 exec, exec, s[18:19]
	v_lshl_add_u64 v[8:9], v[6:7], 0, 10
	v_cmp_gt_i64_e32 vcc, s[12:13], v[8:9]
	v_mov_b32_e32 v40, 0
	s_and_saveexec_b64 s[18:19], vcc
	s_cbranch_execz .LBB166_176
; %bb.175:                              ;   in Loop: Header=BB166_149 Depth=1
	v_lshl_add_u64 v[8:9], v[220:221], 0, v[4:5]
	global_load_ushort v10, v[8:9], off
	v_lshl_add_u64 v[8:9], v[222:223], 0, v[4:5]
	global_load_ushort v8, v[8:9], off
	s_waitcnt vmcnt(1)
	v_cvt_f32_f16_e32 v64, v10
	s_waitcnt vmcnt(0)
	v_cvt_f32_f16_e32 v40, v8
.LBB166_176:                            ;   in Loop: Header=BB166_149 Depth=1
	s_or_b64 exec, exec, s[18:19]
	v_lshl_add_u64 v[8:9], v[6:7], 0, 11
	v_cmp_gt_i64_e32 vcc, s[12:13], v[8:9]
	v_mov_b32_e32 v37, 0
	v_mov_b32_e32 v42, 0
	v_mov_b32_e32 v43, 0
	s_and_saveexec_b64 s[18:19], vcc
	s_cbranch_execz .LBB166_178
; %bb.177:                              ;   in Loop: Header=BB166_149 Depth=1
	v_lshl_add_u64 v[8:9], v[216:217], 0, v[4:5]
	global_load_ushort v10, v[8:9], off
	v_lshl_add_u64 v[8:9], v[218:219], 0, v[4:5]
	global_load_ushort v8, v[8:9], off
	s_waitcnt vmcnt(1)
	v_cvt_f32_f16_e32 v42, v10
	s_waitcnt vmcnt(0)
	v_cvt_f32_f16_e32 v43, v8
.LBB166_178:                            ;   in Loop: Header=BB166_149 Depth=1
	s_or_b64 exec, exec, s[18:19]
	v_lshl_add_u64 v[8:9], v[6:7], 0, 12
	v_cmp_gt_i64_e32 vcc, s[12:13], v[8:9]
	v_mov_b32_e32 v44, 0
	s_and_saveexec_b64 s[18:19], vcc
	s_cbranch_execz .LBB166_180
; %bb.179:                              ;   in Loop: Header=BB166_149 Depth=1
	v_lshl_add_u64 v[8:9], v[212:213], 0, v[4:5]
	global_load_ushort v10, v[8:9], off
	v_lshl_add_u64 v[8:9], v[214:215], 0, v[4:5]
	global_load_ushort v8, v[8:9], off
	s_waitcnt vmcnt(1)
	v_cvt_f32_f16_e32 v37, v10
	s_waitcnt vmcnt(0)
	v_cvt_f32_f16_e32 v44, v8
.LBB166_180:                            ;   in Loop: Header=BB166_149 Depth=1
	;; [unrolled: 34-line block ×11, first 2 shown]
	s_or_b64 exec, exec, s[18:19]
	v_lshl_add_u64 v[58:59], v[6:7], 0, 31
	v_accvgpr_write_b32 a2, v60
	v_cmp_gt_i64_e32 vcc, s[12:13], v[58:59]
	v_mov_b32_e32 v29, 0
	s_and_saveexec_b64 s[18:19], vcc
	s_cbranch_execz .LBB166_218
; %bb.217:                              ;   in Loop: Header=BB166_149 Depth=1
	v_lshl_add_u64 v[58:59], v[136:137], 0, v[4:5]
	global_load_ushort v29, v[58:59], off
	v_lshl_add_u64 v[58:59], v[138:139], 0, v[4:5]
	global_load_ushort v58, v[58:59], off
	s_waitcnt vmcnt(1)
	v_cvt_f32_f16_e32 v29, v29
	s_waitcnt vmcnt(0)
	v_cvt_f32_f16_e32 v58, v58
	v_mul_f32_e32 v29, v29, v58
.LBB166_218:                            ;   in Loop: Header=BB166_149 Depth=1
	s_or_b64 exec, exec, s[18:19]
	s_waitcnt vmcnt(0)
	ds_bpermute_b32 v58, v30, v32
	v_accvgpr_read_b32 v59, a72             ;  Reload Reuse
	v_mul_f32_e32 v59, v59, v34
	v_accvgpr_read_b32 v34, a74             ;  Reload Reuse
	v_accvgpr_read_b32 v60, a75             ;  Reload Reuse
	s_waitcnt lgkmcnt(0)
	v_fma_f32 v58, v59, v58, v36
	ds_bpermute_b32 v59, v30, v32 offset:4
	v_mul_f32_e32 v34, v34, v60
	v_accvgpr_read_b32 v60, a2
	v_mul_f32_e32 v35, v63, v35
	v_mul_f32_e32 v28, v28, v54
	s_waitcnt lgkmcnt(0)
	v_fmac_f32_e32 v58, v34, v59
	ds_bpermute_b32 v34, v30, v32 offset:8
	v_accvgpr_read_b32 v59, a73             ;  Reload Reuse
	v_mul_f32_e32 v59, v59, v60
	v_accvgpr_read_b32 v60, a78             ;  Reload Reuse
	v_pk_mul_f32 v[8:9], v[8:9], v[12:13]
	s_waitcnt lgkmcnt(0)
	v_fmac_f32_e32 v58, v59, v34
	ds_bpermute_b32 v34, v30, v32 offset:12
	v_accvgpr_read_b32 v59, a77             ;  Reload Reuse
	v_mul_f32_e32 v59, v59, v60
	v_accvgpr_read_b32 v60, a79             ;  Reload Reuse
	v_pk_mul_f32 v[10:11], v[10:11], v[16:17]
	s_waitcnt lgkmcnt(0)
	v_fmac_f32_e32 v58, v59, v34
	ds_bpermute_b32 v34, v30, v32 offset:16
	v_accvgpr_read_b32 v59, a76             ;  Reload Reuse
	v_mul_f32_e32 v59, v59, v60
	v_accvgpr_read_b32 v60, a81             ;  Reload Reuse
	s_waitcnt lgkmcnt(0)
	v_fmac_f32_e32 v58, v59, v34
	ds_bpermute_b32 v34, v30, v32 offset:20
	v_accvgpr_read_b32 v59, a80             ;  Reload Reuse
	v_mul_f32_e32 v59, v59, v60
	s_waitcnt lgkmcnt(0)
	v_fmac_f32_e32 v58, v59, v34
	ds_bpermute_b32 v34, v30, v32 offset:24
	v_mul_f32_e32 v59, v61, v62
	s_waitcnt lgkmcnt(0)
	v_fmac_f32_e32 v58, v59, v34
	ds_bpermute_b32 v34, v30, v32 offset:28
	s_waitcnt lgkmcnt(0)
	v_fmac_f32_e32 v58, v35, v34
	ds_bpermute_b32 v34, v30, v32 offset:32
	v_accvgpr_read_b32 v35, a82             ;  Reload Reuse
	v_mul_f32_e32 v31, v35, v31
	ds_bpermute_b32 v35, v30, v32 offset:84
	s_waitcnt lgkmcnt(1)
	v_fmac_f32_e32 v58, v31, v34
	ds_bpermute_b32 v31, v30, v32 offset:36
	v_mul_f32_e32 v34, v38, v39
	s_waitcnt lgkmcnt(0)
	v_fmac_f32_e32 v58, v34, v31
	ds_bpermute_b32 v31, v30, v32 offset:40
	v_mul_f32_e32 v34, v64, v40
	;; [unrolled: 4-line block ×9, first 2 shown]
	s_waitcnt lgkmcnt(0)
	v_fmac_f32_e32 v58, v34, v31
	ds_bpermute_b32 v31, v30, v32 offset:72
	ds_bpermute_b32 v34, v30, v32 offset:80
	s_waitcnt lgkmcnt(1)
	v_fmac_f32_e32 v58, v28, v31
	ds_bpermute_b32 v28, v30, v32 offset:76
	v_mul_f32_e32 v31, v55, v33
	s_waitcnt lgkmcnt(1)
	v_pk_mul_f32 v[8:9], v[8:9], v[34:35]
	s_waitcnt lgkmcnt(0)
	v_fmac_f32_e32 v58, v31, v28
	v_add_f32_e32 v8, v58, v8
	v_add_f32_e32 v12, v8, v9
	ds_bpermute_b32 v8, v30, v32 offset:88
	ds_bpermute_b32 v9, v30, v32 offset:92
	v_mul_f32_e32 v28, v56, v57
	s_waitcnt lgkmcnt(0)
	v_pk_mul_f32 v[8:9], v[10:11], v[8:9]
	s_nop 0
	v_add_f32_e32 v8, v12, v8
	v_add_f32_e32 v12, v8, v9
	ds_bpermute_b32 v8, v30, v32 offset:96
	ds_bpermute_b32 v9, v30, v32 offset:100
	v_pk_mul_f32 v[10:11], v[14:15], v[20:21]
	s_waitcnt lgkmcnt(0)
	v_pk_mul_f32 v[8:9], v[10:11], v[8:9]
	s_nop 0
	v_add_f32_e32 v8, v12, v8
	v_add_f32_e32 v12, v8, v9
	ds_bpermute_b32 v8, v30, v32 offset:104
	ds_bpermute_b32 v9, v30, v32 offset:108
	v_pk_mul_f32 v[10:11], v[18:19], v[24:25]
	;; [unrolled: 8-line block ×3, first 2 shown]
	s_waitcnt lgkmcnt(0)
	v_pk_mul_f32 v[8:9], v[10:11], v[8:9]
	s_nop 0
	v_add_f32_e32 v8, v12, v8
	v_add_f32_e32 v10, v8, v9
	ds_bpermute_b32 v8, v30, v32 offset:120
	ds_bpermute_b32 v9, v30, v32 offset:124
	s_waitcnt lgkmcnt(0)
	v_pk_mul_f32 v[8:9], v[28:29], v[8:9]
	s_nop 0
	v_add_f32_e32 v8, v10, v8
	v_add_f32_e32 v31, v8, v9
	s_branch .LBB166_225
.LBB166_219:                            ;   in Loop: Header=BB166_149 Depth=1
                                        ; implicit-def: $vgpr31
	s_cbranch_execz .LBB166_225
; %bb.220:                              ;   in Loop: Header=BB166_149 Depth=1
	s_load_dword s3, s[22:23], 0x0
	v_accvgpr_read_b32 v11, a3
	v_accvgpr_read_b32 v9, a1
	;; [unrolled: 1-line block ×3, first 2 shown]
	s_waitcnt lgkmcnt(0)
	s_cmp_lt_u32 s2, s3
	s_cselect_b32 s3, 12, 18
	s_add_u32 s18, s22, s3
	s_addc_u32 s19, s23, 0
	global_load_ushort v8, v11, s[18:19]
	s_waitcnt vmcnt(0)
	v_mad_u32_u24 v8, v10, v8, v9
	v_and_b32_e32 v10, 63, v8
	v_accvgpr_write_b32 a2, v10
	v_accvgpr_write_b32 a3, v11
	v_cmp_gt_u32_e32 vcc, 32, v10
	v_mov_b32_e32 v8, 0
	s_and_saveexec_b64 s[18:19], vcc
	s_cbranch_execz .LBB166_224
; %bb.221:                              ;   in Loop: Header=BB166_149 Depth=1
	v_accvgpr_read_b32 v9, a3
	v_accvgpr_read_b32 v8, a2
	v_lshl_add_u64 v[6:7], v[6:7], 0, v[8:9]
	v_cmp_gt_i64_e32 vcc, s[12:13], v[6:7]
	v_mov_b32_e32 v8, 0
	s_and_saveexec_b64 s[28:29], vcc
	s_cbranch_execz .LBB166_223
; %bb.222:                              ;   in Loop: Header=BB166_149 Depth=1
	v_lshl_add_u64 v[6:7], v[6:7], 2, s[10:11]
	global_load_dword v8, v[6:7], off
.LBB166_223:                            ;   in Loop: Header=BB166_149 Depth=1
	s_or_b64 exec, exec, s[28:29]
.LBB166_224:                            ;   in Loop: Header=BB166_149 Depth=1
	s_or_b64 exec, exec, s[18:19]
	v_lshl_add_u64 v[6:7], v[132:133], 0, v[4:5]
	global_load_ushort v6, v[6:7], off
	v_accvgpr_read_b32 v11, a7
	v_accvgpr_read_b32 v10, a6
	v_lshl_add_u64 v[10:11], v[10:11], 0, v[4:5]
	v_accvgpr_read_b32 v12, a22
	v_accvgpr_read_b32 v13, a23
	v_lshl_add_u64 v[12:13], v[12:13], 0, v[4:5]
	;; [unrolled: 3-line block ×8, first 2 shown]
	v_lshl_add_u64 v[56:57], v[92:93], 0, v[4:5]
	s_waitcnt vmcnt(0)
	v_cvt_f32_f16_e32 v9, v6
	v_lshl_add_u64 v[6:7], v[134:135], 0, v[4:5]
	global_load_ushort v6, v[6:7], off
	s_waitcnt vmcnt(0)
	v_cvt_f32_f16_e32 v6, v6
	global_load_ushort v7, v[10:11], off
	v_mul_f32_e32 v6, v9, v6
	s_waitcnt vmcnt(0)
	v_cvt_f32_f16_e32 v11, v7
	global_load_ushort v7, v[12:13], off
	v_accvgpr_read_b32 v13, a9
	v_accvgpr_read_b32 v12, a8
	v_lshl_add_u64 v[12:13], v[12:13], 0, v[4:5]
	global_load_ushort v10, v[12:13], off
	s_waitcnt vmcnt(1)
	v_cvt_f32_f16_e32 v7, v7
	s_waitcnt vmcnt(0)
	v_cvt_f32_f16_e32 v13, v10
	global_load_ushort v10, v[14:15], off
	v_accvgpr_read_b32 v15, a11
	v_accvgpr_read_b32 v14, a10
	v_lshl_add_u64 v[14:15], v[14:15], 0, v[4:5]
	global_load_ushort v12, v[14:15], off
	v_mul_f32_e32 v7, v11, v7
	s_waitcnt vmcnt(1)
	v_cvt_f32_f16_e32 v10, v10
	s_waitcnt vmcnt(0)
	v_cvt_f32_f16_e32 v15, v12
	global_load_ushort v12, v[16:17], off
	v_accvgpr_read_b32 v17, a13
	v_accvgpr_read_b32 v16, a12
	v_lshl_add_u64 v[16:17], v[16:17], 0, v[4:5]
	global_load_ushort v14, v[16:17], off
	s_waitcnt vmcnt(1)
	v_cvt_f32_f16_e32 v12, v12
	s_waitcnt vmcnt(0)
	v_cvt_f32_f16_e32 v17, v14
	global_load_ushort v14, v[18:19], off
	v_accvgpr_read_b32 v19, a15
	v_accvgpr_read_b32 v18, a14
	v_lshl_add_u64 v[18:19], v[18:19], 0, v[4:5]
	global_load_ushort v16, v[18:19], off
	;; [unrolled: 9-line block ×4, first 2 shown]
	v_accvgpr_read_b32 v22, a38
	v_accvgpr_read_b32 v23, a39
	v_lshl_add_u64 v[22:23], v[22:23], 0, v[4:5]
	s_waitcnt vmcnt(1)
	v_cvt_f32_f16_e32 v18, v18
	s_waitcnt vmcnt(0)
	v_cvt_f32_f16_e32 v54, v20
	global_load_ushort v20, v[22:23], off
	v_accvgpr_read_b32 v23, a21
	v_accvgpr_read_b32 v22, a20
	v_lshl_add_u64 v[22:23], v[22:23], 0, v[4:5]
	global_load_ushort v22, v[22:23], off
	s_waitcnt vmcnt(1)
	v_cvt_f32_f16_e32 v20, v20
	s_waitcnt vmcnt(0)
	v_cvt_f32_f16_e32 v52, v22
	v_accvgpr_read_b32 v22, a40
	v_accvgpr_read_b32 v23, a41
	v_lshl_add_u64 v[22:23], v[22:23], 0, v[4:5]
	global_load_ushort v22, v[22:23], off
	s_waitcnt vmcnt(0)
	v_cvt_f32_f16_e32 v55, v22
	v_accvgpr_read_b32 v22, a28
	v_accvgpr_read_b32 v23, a29
	v_lshl_add_u64 v[22:23], v[22:23], 0, v[4:5]
	global_load_ushort v22, v[22:23], off
	s_waitcnt vmcnt(0)
	v_cvt_f32_f16_e32 v23, v22
	global_load_ushort v22, v[24:25], off
	v_accvgpr_read_b32 v24, a36
	v_accvgpr_read_b32 v25, a37
	v_lshl_add_u64 v[24:25], v[24:25], 0, v[4:5]
	s_waitcnt vmcnt(0)
	v_cvt_f32_f16_e32 v53, v22
	global_load_ushort v22, v[24:25], off
	v_accvgpr_read_b32 v24, a46
	v_accvgpr_read_b32 v25, a47
	v_lshl_add_u64 v[24:25], v[24:25], 0, v[4:5]
	;; [unrolled: 6-line block ×3, first 2 shown]
	global_load_ushort v24, v[24:25], off
	s_waitcnt vmcnt(1)
	v_cvt_f32_f16_e32 v22, v22
	s_waitcnt vmcnt(0)
	v_cvt_f32_f16_e32 v48, v24
	v_accvgpr_read_b32 v24, a48
	v_accvgpr_read_b32 v25, a49
	v_lshl_add_u64 v[24:25], v[24:25], 0, v[4:5]
	global_load_ushort v24, v[24:25], off
	s_waitcnt vmcnt(0)
	v_cvt_f32_f16_e32 v51, v24
	v_accvgpr_read_b32 v24, a50
	v_accvgpr_read_b32 v25, a51
	v_lshl_add_u64 v[24:25], v[24:25], 0, v[4:5]
	global_load_ushort v24, v[24:25], off
	;; [unrolled: 6-line block ×9, first 2 shown]
	s_waitcnt vmcnt(0)
	v_cvt_f32_f16_e32 v43, v24
	v_lshl_add_u64 v[24:25], v[66:67], 0, v[4:5]
	global_load_ushort v24, v[24:25], off
	s_waitcnt vmcnt(0)
	v_cvt_f32_f16_e32 v38, v24
	v_lshl_add_u64 v[24:25], v[68:69], 0, v[4:5]
	global_load_ushort v24, v[24:25], off
	;; [unrolled: 4-line block ×13, first 2 shown]
	s_waitcnt vmcnt(0)
	v_cvt_f32_f16_e32 v24, v24
	global_load_ushort v25, v[56:57], off
	v_lshl_add_u64 v[56:57], v[94:95], 0, v[4:5]
	s_waitcnt vmcnt(0)
	v_cvt_f32_f16_e32 v27, v25
	global_load_ushort v25, v[56:57], off
	v_lshl_add_u64 v[56:57], v[96:97], 0, v[4:5]
	s_waitcnt vmcnt(0)
	v_cvt_f32_f16_e32 v25, v25
	v_accvgpr_write_b32 a70, v25
	global_load_ushort v25, v[56:57], off
	v_lshl_add_u64 v[56:57], v[98:99], 0, v[4:5]
	global_load_ushort v56, v[56:57], off
	s_waitcnt vmcnt(1)
	v_cvt_f32_f16_e32 v25, v25
	s_waitcnt vmcnt(0)
	v_cvt_f32_f16_e32 v56, v56
	v_accvgpr_write_b32 a68, v56
	v_lshl_add_u64 v[56:57], v[100:101], 0, v[4:5]
	global_load_ushort v56, v[56:57], off
	s_waitcnt vmcnt(0)
	v_cvt_f32_f16_e32 v56, v56
	v_accvgpr_write_b32 a71, v56
	v_lshl_add_u64 v[56:57], v[102:103], 0, v[4:5]
	global_load_ushort v56, v[56:57], off
	v_accvgpr_read_b32 v9, a71
	s_waitcnt vmcnt(0)
	v_cvt_f32_f16_e32 v56, v56
	v_accvgpr_write_b32 a66, v56
	v_lshl_add_u64 v[56:57], v[104:105], 0, v[4:5]
	global_load_ushort v56, v[56:57], off
	s_waitcnt vmcnt(0)
	v_cvt_f32_f16_e32 v56, v56
	v_accvgpr_write_b32 a69, v56
	v_lshl_add_u64 v[56:57], v[106:107], 0, v[4:5]
	global_load_ushort v56, v[56:57], off
	s_waitcnt vmcnt(0)
	v_cvt_f32_f16_e32 v65, v56
	v_lshl_add_u64 v[56:57], v[108:109], 0, v[4:5]
	global_load_ushort v56, v[56:57], off
	s_waitcnt vmcnt(0)
	v_cvt_f32_f16_e32 v56, v56
	v_accvgpr_write_b32 a67, v56
	v_lshl_add_u64 v[56:57], v[110:111], 0, v[4:5]
	global_load_ushort v56, v[56:57], off
	s_waitcnt vmcnt(0)
	v_cvt_f32_f16_e32 v63, v56
	;; [unrolled: 9-line block ×3, first 2 shown]
	v_lshl_add_u64 v[56:57], v[116:117], 0, v[4:5]
	global_load_ushort v56, v[56:57], off
	s_waitcnt vmcnt(0)
	v_cvt_f32_f16_e32 v62, v56
	v_lshl_add_u64 v[56:57], v[118:119], 0, v[4:5]
	global_load_ushort v56, v[56:57], off
	s_waitcnt vmcnt(0)
	v_cvt_f32_f16_e32 v61, v56
	;; [unrolled: 4-line block ×5, first 2 shown]
	v_accvgpr_write_b32 a2, v56
	v_lshl_add_u64 v[56:57], v[126:127], 0, v[4:5]
	global_load_ushort v56, v[56:57], off
	s_waitcnt vmcnt(0)
	v_cvt_f32_f16_e32 v58, v56
	v_lshl_add_u64 v[56:57], v[128:129], 0, v[4:5]
	global_load_ushort v56, v[56:57], off
	s_waitcnt vmcnt(0)
	v_cvt_f32_f16_e32 v57, v56
	ds_bpermute_b32 v56, v30, v8
	s_waitcnt lgkmcnt(0)
	v_fmac_f32_e32 v36, v6, v56
	ds_bpermute_b32 v6, v30, v8 offset:4
	s_waitcnt lgkmcnt(0)
	v_fmac_f32_e32 v36, v7, v6
	ds_bpermute_b32 v6, v30, v8 offset:8
	v_mul_f32_e32 v7, v13, v10
	s_waitcnt lgkmcnt(0)
	v_fmac_f32_e32 v36, v7, v6
	ds_bpermute_b32 v6, v30, v8 offset:12
	v_mul_f32_e32 v7, v15, v12
	s_waitcnt lgkmcnt(0)
	v_fmac_f32_e32 v36, v7, v6
	ds_bpermute_b32 v6, v30, v8 offset:16
	v_mul_f32_e32 v7, v17, v14
	s_waitcnt lgkmcnt(0)
	v_fmac_f32_e32 v36, v7, v6
	ds_bpermute_b32 v6, v30, v8 offset:20
	v_mul_f32_e32 v7, v19, v16
	s_waitcnt lgkmcnt(0)
	v_fmac_f32_e32 v36, v7, v6
	ds_bpermute_b32 v6, v30, v8 offset:24
	v_mul_f32_e32 v7, v21, v18
	s_waitcnt lgkmcnt(0)
	v_fmac_f32_e32 v36, v7, v6
	ds_bpermute_b32 v6, v30, v8 offset:28
	v_mul_f32_e32 v7, v54, v20
	s_waitcnt lgkmcnt(0)
	v_fmac_f32_e32 v36, v7, v6
	ds_bpermute_b32 v6, v30, v8 offset:32
	v_mul_f32_e32 v7, v52, v55
	s_waitcnt lgkmcnt(0)
	v_fmac_f32_e32 v36, v7, v6
	ds_bpermute_b32 v6, v30, v8 offset:36
	v_mul_f32_e32 v7, v23, v53
	s_waitcnt lgkmcnt(0)
	v_fmac_f32_e32 v36, v7, v6
	ds_bpermute_b32 v6, v30, v8 offset:40
	v_mul_f32_e32 v7, v50, v22
	s_waitcnt lgkmcnt(0)
	v_fmac_f32_e32 v36, v7, v6
	ds_bpermute_b32 v6, v30, v8 offset:44
	v_mul_f32_e32 v7, v48, v51
	s_waitcnt lgkmcnt(0)
	v_fmac_f32_e32 v36, v7, v6
	ds_bpermute_b32 v6, v30, v8 offset:48
	v_mul_f32_e32 v7, v46, v49
	s_waitcnt lgkmcnt(0)
	v_fmac_f32_e32 v36, v7, v6
	ds_bpermute_b32 v6, v30, v8 offset:52
	v_mul_f32_e32 v7, v44, v47
	s_waitcnt lgkmcnt(0)
	v_fmac_f32_e32 v36, v7, v6
	ds_bpermute_b32 v6, v30, v8 offset:56
	v_mul_f32_e32 v7, v42, v45
	s_waitcnt lgkmcnt(0)
	v_fmac_f32_e32 v36, v7, v6
	ds_bpermute_b32 v6, v30, v8 offset:60
	v_mul_f32_e32 v7, v40, v43
	s_waitcnt lgkmcnt(0)
	v_fmac_f32_e32 v36, v7, v6
	ds_bpermute_b32 v6, v30, v8 offset:64
	v_mul_f32_e32 v7, v38, v41
	s_waitcnt lgkmcnt(0)
	v_fmac_f32_e32 v36, v7, v6
	ds_bpermute_b32 v6, v30, v8 offset:68
	v_mul_f32_e32 v7, v35, v39
	s_waitcnt lgkmcnt(0)
	v_fmac_f32_e32 v36, v7, v6
	ds_bpermute_b32 v6, v30, v8 offset:72
	v_mul_f32_e32 v7, v33, v37
	s_waitcnt lgkmcnt(0)
	v_fmac_f32_e32 v36, v7, v6
	ds_bpermute_b32 v6, v30, v8 offset:76
	v_mul_f32_e32 v7, v31, v34
	s_waitcnt lgkmcnt(0)
	v_fmac_f32_e32 v36, v7, v6
	ds_bpermute_b32 v6, v30, v8 offset:80
	v_mul_f32_e32 v7, v28, v32
	s_waitcnt lgkmcnt(0)
	v_fmac_f32_e32 v36, v7, v6
	ds_bpermute_b32 v6, v30, v8 offset:84
	v_mul_f32_e32 v7, v26, v29
	s_waitcnt lgkmcnt(0)
	v_fmac_f32_e32 v36, v7, v6
	ds_bpermute_b32 v6, v30, v8 offset:88
	v_mul_f32_e32 v7, v24, v27
	s_waitcnt lgkmcnt(0)
	v_fmac_f32_e32 v36, v7, v6
	ds_bpermute_b32 v6, v30, v8 offset:92
	v_accvgpr_read_b32 v7, a70
	v_mul_f32_e32 v7, v7, v25
	s_waitcnt lgkmcnt(0)
	v_fmac_f32_e32 v36, v7, v6
	ds_bpermute_b32 v6, v30, v8 offset:96
	v_accvgpr_read_b32 v7, a68
	v_mul_f32_e32 v7, v7, v9
	v_accvgpr_read_b32 v9, a69
	s_waitcnt lgkmcnt(0)
	v_fmac_f32_e32 v36, v7, v6
	ds_bpermute_b32 v6, v30, v8 offset:100
	v_accvgpr_read_b32 v7, a66
	v_mul_f32_e32 v7, v7, v9
	s_waitcnt lgkmcnt(0)
	v_fmac_f32_e32 v36, v7, v6
	ds_bpermute_b32 v6, v30, v8 offset:104
	v_accvgpr_read_b32 v7, a67
	v_mul_f32_e32 v7, v65, v7
	;; [unrolled: 5-line block ×3, first 2 shown]
	s_waitcnt lgkmcnt(0)
	v_fmac_f32_e32 v36, v7, v6
	ds_bpermute_b32 v6, v30, v8 offset:112
	v_mul_f32_e32 v7, v59, v62
	s_waitcnt lgkmcnt(0)
	v_fmac_f32_e32 v36, v7, v6
	ds_bpermute_b32 v6, v30, v8 offset:116
	v_mul_f32_e32 v7, v61, v64
	s_waitcnt lgkmcnt(0)
	v_fmac_f32_e32 v36, v7, v6
	ds_bpermute_b32 v6, v30, v8 offset:120
	v_accvgpr_read_b32 v7, a2
	v_mul_f32_e32 v7, v60, v7
	s_waitcnt lgkmcnt(0)
	v_fmac_f32_e32 v36, v7, v6
	ds_bpermute_b32 v6, v30, v8 offset:124
	v_mul_f32_e32 v7, v58, v57
	s_waitcnt lgkmcnt(0)
	v_fmac_f32_e32 v36, v7, v6
	v_mov_b32_e32 v31, v36
.LBB166_225:                            ;   in Loop: Header=BB166_149 Depth=1
	s_add_u32 s16, s16, s4
	s_addc_u32 s17, s17, 0
	v_mov_b64_e32 v[6:7], s[12:13]
	v_cmp_ge_i64_e32 vcc, s[16:17], v[6:7]
	v_accvgpr_read_b32 v6, a6
	v_accvgpr_read_b32 v7, a7
	v_lshl_add_u64 v[6:7], v[6:7], 0, s[24:25]
	v_accvgpr_write_b32 a6, v6
	v_accvgpr_write_b32 a7, v7
	v_accvgpr_read_b32 v6, a8
	v_accvgpr_read_b32 v7, a9
	v_lshl_add_u64 v[6:7], v[6:7], 0, s[24:25]
	v_accvgpr_write_b32 a9, v7
	v_accvgpr_write_b32 a8, v6
	;; [unrolled: 5-line block ×29, first 2 shown]
	v_accvgpr_read_b32 v6, a64
	v_accvgpr_read_b32 v7, a65
	s_add_u32 s26, s26, s4
	v_lshl_add_u64 v[130:131], v[130:131], 0, s[4:5]
	v_lshl_add_u64 v[66:67], v[66:67], 0, s[24:25]
	;; [unrolled: 1-line block ×98, first 2 shown]
	s_addc_u32 s27, s27, 0
	s_cbranch_vccnz .LBB166_227
; %bb.226:                              ;   in Loop: Header=BB166_149 Depth=1
	v_accvgpr_write_b32 a65, v7
	v_accvgpr_write_b32 a64, v6
	v_mov_b32_e32 v36, v31
	s_branch .LBB166_149
.LBB166_227:
	v_accvgpr_read_b32 v206, a0
.LBB166_228:
	s_mov_b32 s3, 0
	s_lshl_b64 s[2:3], s[2:3], 6
	v_and_b32_e32 v0, 0x3ff, v206
	v_or_b32_e32 v0, s2, v0
	v_mov_b32_e32 v1, s3
	s_waitcnt lgkmcnt(0)
	s_cmp_lg_u64 s[6:7], 0
	v_cmp_gt_i64_e32 vcc, s[14:15], v[0:1]
	s_cselect_b64 s[2:3], -1, 0
	s_and_b64 s[2:3], vcc, s[2:3]
	s_and_saveexec_b64 s[4:5], s[2:3]
	s_cbranch_execz .LBB166_230
; %bb.229:
	s_load_dword s0, s[0:1], 0x4c
	v_bfe_u32 v2, v206, 10, 10
	v_mov_b32_e32 v3, 0
	v_mov_b32_e32 v4, s8
	s_waitcnt lgkmcnt(0)
	s_lshr_b32 s0, s0, 16
	v_mad_u64_u32 v[2:3], s[0:1], s0, v4, v[2:3]
	v_cvt_f16_f32_e32 v4, v31
	v_mul_lo_u32 v5, v3, s14
	v_mul_lo_u32 v6, v2, s15
	v_mad_u64_u32 v[2:3], s[0:1], v2, s14, 0
	v_add3_u32 v3, v3, v6, v5
	v_lshl_add_u64 v[2:3], v[2:3], 1, s[6:7]
	v_lshl_add_u64 v[0:1], v[0:1], 1, v[2:3]
	global_store_short v[0:1], v4, off
.LBB166_230:
	s_endpgm
	.section	.rodata,"a",@progbits
	.p2align	6, 0x0
	.amdhsa_kernel _ZN2at6native12_GLOBAL__N_135GammaBetaBackwardCUDAKernelTemplateIN3c104HalfEfLj64ELj1ELj32ELb1ELb0ELb1EEEvllPKT_S7_PKT0_SA_PS5_SB_
		.amdhsa_group_segment_fixed_size 0
		.amdhsa_private_segment_fixed_size 0
		.amdhsa_kernarg_size 320
		.amdhsa_user_sgpr_count 2
		.amdhsa_user_sgpr_dispatch_ptr 0
		.amdhsa_user_sgpr_queue_ptr 0
		.amdhsa_user_sgpr_kernarg_segment_ptr 1
		.amdhsa_user_sgpr_dispatch_id 0
		.amdhsa_user_sgpr_kernarg_preload_length 0
		.amdhsa_user_sgpr_kernarg_preload_offset 0
		.amdhsa_user_sgpr_private_segment_size 0
		.amdhsa_uses_dynamic_stack 0
		.amdhsa_enable_private_segment 0
		.amdhsa_system_sgpr_workgroup_id_x 1
		.amdhsa_system_sgpr_workgroup_id_y 1
		.amdhsa_system_sgpr_workgroup_id_z 0
		.amdhsa_system_sgpr_workgroup_info 0
		.amdhsa_system_vgpr_workitem_id 1
		.amdhsa_next_free_vgpr 339
		.amdhsa_next_free_sgpr 38
		.amdhsa_accum_offset 256
		.amdhsa_reserve_vcc 1
		.amdhsa_float_round_mode_32 0
		.amdhsa_float_round_mode_16_64 0
		.amdhsa_float_denorm_mode_32 3
		.amdhsa_float_denorm_mode_16_64 3
		.amdhsa_dx10_clamp 1
		.amdhsa_ieee_mode 1
		.amdhsa_fp16_overflow 0
		.amdhsa_tg_split 0
		.amdhsa_exception_fp_ieee_invalid_op 0
		.amdhsa_exception_fp_denorm_src 0
		.amdhsa_exception_fp_ieee_div_zero 0
		.amdhsa_exception_fp_ieee_overflow 0
		.amdhsa_exception_fp_ieee_underflow 0
		.amdhsa_exception_fp_ieee_inexact 0
		.amdhsa_exception_int_div_zero 0
	.end_amdhsa_kernel
	.section	.text._ZN2at6native12_GLOBAL__N_135GammaBetaBackwardCUDAKernelTemplateIN3c104HalfEfLj64ELj1ELj32ELb1ELb0ELb1EEEvllPKT_S7_PKT0_SA_PS5_SB_,"axG",@progbits,_ZN2at6native12_GLOBAL__N_135GammaBetaBackwardCUDAKernelTemplateIN3c104HalfEfLj64ELj1ELj32ELb1ELb0ELb1EEEvllPKT_S7_PKT0_SA_PS5_SB_,comdat
.Lfunc_end166:
	.size	_ZN2at6native12_GLOBAL__N_135GammaBetaBackwardCUDAKernelTemplateIN3c104HalfEfLj64ELj1ELj32ELb1ELb0ELb1EEEvllPKT_S7_PKT0_SA_PS5_SB_, .Lfunc_end166-_ZN2at6native12_GLOBAL__N_135GammaBetaBackwardCUDAKernelTemplateIN3c104HalfEfLj64ELj1ELj32ELb1ELb0ELb1EEEvllPKT_S7_PKT0_SA_PS5_SB_
                                        ; -- End function
	.section	.AMDGPU.csdata,"",@progbits
; Kernel info:
; codeLenInByte = 22600
; NumSgprs: 44
; NumVgprs: 256
; NumAgprs: 83
; TotalNumVgprs: 339
; ScratchSize: 0
; MemoryBound: 0
; FloatMode: 240
; IeeeMode: 1
; LDSByteSize: 0 bytes/workgroup (compile time only)
; SGPRBlocks: 5
; VGPRBlocks: 42
; NumSGPRsForWavesPerEU: 44
; NumVGPRsForWavesPerEU: 339
; AccumOffset: 256
; Occupancy: 1
; WaveLimiterHint : 0
; COMPUTE_PGM_RSRC2:SCRATCH_EN: 0
; COMPUTE_PGM_RSRC2:USER_SGPR: 2
; COMPUTE_PGM_RSRC2:TRAP_HANDLER: 0
; COMPUTE_PGM_RSRC2:TGID_X_EN: 1
; COMPUTE_PGM_RSRC2:TGID_Y_EN: 1
; COMPUTE_PGM_RSRC2:TGID_Z_EN: 0
; COMPUTE_PGM_RSRC2:TIDIG_COMP_CNT: 1
; COMPUTE_PGM_RSRC3_GFX90A:ACCUM_OFFSET: 63
; COMPUTE_PGM_RSRC3_GFX90A:TG_SPLIT: 0
	.section	.text._ZN2at6native12_GLOBAL__N_135GammaBetaBackwardCUDAKernelTemplateIN3c104HalfEfLj64ELj1ELj8ELb1ELb1ELb1EEEvllPKT_S7_PKT0_SA_PS5_SB_,"axG",@progbits,_ZN2at6native12_GLOBAL__N_135GammaBetaBackwardCUDAKernelTemplateIN3c104HalfEfLj64ELj1ELj8ELb1ELb1ELb1EEEvllPKT_S7_PKT0_SA_PS5_SB_,comdat
	.globl	_ZN2at6native12_GLOBAL__N_135GammaBetaBackwardCUDAKernelTemplateIN3c104HalfEfLj64ELj1ELj8ELb1ELb1ELb1EEEvllPKT_S7_PKT0_SA_PS5_SB_ ; -- Begin function _ZN2at6native12_GLOBAL__N_135GammaBetaBackwardCUDAKernelTemplateIN3c104HalfEfLj64ELj1ELj8ELb1ELb1ELb1EEEvllPKT_S7_PKT0_SA_PS5_SB_
	.p2align	8
	.type	_ZN2at6native12_GLOBAL__N_135GammaBetaBackwardCUDAKernelTemplateIN3c104HalfEfLj64ELj1ELj8ELb1ELb1ELb1EEEvllPKT_S7_PKT0_SA_PS5_SB_,@function
_ZN2at6native12_GLOBAL__N_135GammaBetaBackwardCUDAKernelTemplateIN3c104HalfEfLj64ELj1ELj8ELb1ELb1ELb1EEEvllPKT_S7_PKT0_SA_PS5_SB_: ; @_ZN2at6native12_GLOBAL__N_135GammaBetaBackwardCUDAKernelTemplateIN3c104HalfEfLj64ELj1ELj8ELb1ELb1ELb1EEEvllPKT_S7_PKT0_SA_PS5_SB_
; %bb.0:
	s_load_dwordx4 s[8:11], s[0:1], 0x0
	s_load_dwordx2 s[16:17], s[0:1], 0x30
	s_lshl_b32 s18, s3, 3
	s_mov_b32 s19, 0
	s_mov_b32 s6, s3
	s_waitcnt lgkmcnt(0)
	v_mov_b64_e32 v[2:3], s[8:9]
	v_cmp_ge_i64_e32 vcc, s[18:19], v[2:3]
	v_mov_b32_e32 v1, 0
	v_bfe_u32 v2, v0, 10, 10
	s_cbranch_vccnz .LBB167_8
; %bb.1:
	s_load_dword s3, s[0:1], 0x4c
	s_load_dword s7, s[0:1], 0x44
	s_load_dwordx4 s[12:15], s[0:1], 0x10
	s_load_dwordx2 s[22:23], s[0:1], 0x28
	v_and_b32_e32 v1, 0x3ff, v0
	s_waitcnt lgkmcnt(0)
	s_and_b32 s3, s3, 0xffff
	v_mad_u32_u24 v3, v2, s3, v1
	v_lshlrev_b32_e32 v4, 3, v2
	v_mov_b32_e32 v5, 0
	v_lshl_or_b32 v10, s2, 6, v1
	v_mbcnt_lo_u32_b32 v1, -1, 0
	v_and_b32_e32 v6, 63, v3
	v_mov_b32_e32 v7, v5
	v_mbcnt_hi_u32_b32 v1, -1, v1
	s_lshl_b32 s20, s7, 3
	v_lshl_add_u64 v[12:13], v[4:5], 0, s[18:19]
	v_cmp_gt_u32_e64 s[4:5], 8, v6
	v_mov_b32_e32 v11, v5
	v_lshlrev_b32_e32 v1, 2, v1
	v_lshl_add_u64 v[6:7], v[12:13], 0, v[6:7]
	v_mul_lo_u32 v4, s11, v12
	v_mul_lo_u32 v20, s10, v13
	v_mad_u64_u32 v[12:13], s[24:25], s10, v12, 0
	s_mul_i32 s3, s11, s20
	s_mul_hi_u32 s7, s10, s20
	v_and_b32_e32 v1, 0x100, v1
	s_mov_b32 s21, s19
	v_add3_u32 v13, v13, v20, v4
	v_lshlrev_b64 v[10:11], 1, v[10:11]
	s_add_i32 s25, s7, s3
	s_mul_i32 s24, s10, s20
	v_or_b32_e32 v3, 4, v1
	v_or_b32_e32 v14, 8, v1
	;; [unrolled: 1-line block ×7, first 2 shown]
	v_lshl_add_u64 v[8:9], v[6:7], 2, s[22:23]
	s_lshl_b64 s[22:23], s[20:21], 2
	v_lshl_add_u64 v[10:11], v[12:13], 1, v[10:11]
	s_lshl_b64 s[24:25], s[24:25], 1
	s_lshl_b64 s[26:27], s[10:11], 1
	v_mov_b64_e32 v[12:13], s[8:9]
	s_branch .LBB167_4
.LBB167_2:                              ;   in Loop: Header=BB167_4 Depth=1
	s_or_b64 exec, exec, s[30:31]
.LBB167_3:                              ;   in Loop: Header=BB167_4 Depth=1
	s_or_b64 exec, exec, s[28:29]
	v_lshl_add_u64 v[20:21], s[12:13], 0, v[10:11]
	global_load_ushort v24, v[20:21], off
	v_lshl_add_u64 v[22:23], s[14:15], 0, v[10:11]
	v_lshl_add_u64 v[20:21], v[20:21], 0, s[26:27]
	global_load_ushort v25, v[22:23], off
	global_load_ushort v26, v[20:21], off
	v_lshl_add_u64 v[22:23], v[22:23], 0, s[26:27]
	v_lshl_add_u64 v[20:21], v[20:21], 0, s[26:27]
	global_load_ushort v27, v[22:23], off
	;; [unrolled: 4-line block ×7, first 2 shown]
	global_load_ushort v38, v[20:21], off
	v_lshl_add_u64 v[20:21], v[22:23], 0, s[26:27]
	global_load_ushort v20, v[20:21], off
	s_waitcnt vmcnt(16)
	ds_bpermute_b32 v21, v1, v4
	ds_bpermute_b32 v22, v3, v4
	;; [unrolled: 1-line block ×8, first 2 shown]
	s_add_u32 s18, s18, s20
	s_addc_u32 s19, s19, 0
	v_cmp_lt_i64_e32 vcc, s[18:19], v[12:13]
	v_lshl_add_u64 v[8:9], v[8:9], 0, s[22:23]
	v_lshl_add_u64 v[6:7], v[6:7], 0, s[20:21]
	;; [unrolled: 1-line block ×3, first 2 shown]
	s_and_b64 vcc, exec, vcc
	s_waitcnt vmcnt(15)
	v_cvt_f32_f16_e32 v24, v24
	s_waitcnt vmcnt(14)
	v_cvt_f32_f16_e32 v25, v25
	;; [unrolled: 2-line block ×5, first 2 shown]
	v_mul_f32_e32 v24, v24, v25
	s_waitcnt lgkmcnt(7)
	v_fmac_f32_e32 v5, v24, v21
	s_waitcnt vmcnt(10)
	v_cvt_f32_f16_e32 v29, v29
	s_waitcnt vmcnt(9)
	v_cvt_f32_f16_e32 v30, v30
	v_mul_f32_e32 v21, v26, v27
	s_waitcnt lgkmcnt(6)
	v_fmac_f32_e32 v5, v21, v22
	s_waitcnt vmcnt(8)
	v_cvt_f32_f16_e32 v31, v31
	s_waitcnt vmcnt(7)
	v_cvt_f32_f16_e32 v32, v32
	;; [unrolled: 7-line block ×5, first 2 shown]
	v_mul_f32_e32 v21, v25, v34
	s_waitcnt vmcnt(0)
	v_cvt_f32_f16_e32 v20, v20
	s_waitcnt lgkmcnt(2)
	v_fmac_f32_e32 v5, v21, v41
	v_mul_f32_e32 v21, v24, v26
	s_waitcnt lgkmcnt(1)
	v_fmac_f32_e32 v5, v21, v42
	v_mul_f32_e32 v20, v22, v20
	s_waitcnt lgkmcnt(0)
	v_fmac_f32_e32 v5, v20, v4
	s_cbranch_vccz .LBB167_7
.LBB167_4:                              ; =>This Inner Loop Header: Depth=1
	v_mov_b32_e32 v4, 0
	s_and_saveexec_b64 s[28:29], s[4:5]
	s_cbranch_execz .LBB167_3
; %bb.5:                                ;   in Loop: Header=BB167_4 Depth=1
	v_cmp_gt_i64_e32 vcc, s[8:9], v[6:7]
	v_mov_b32_e32 v4, 0
	s_and_saveexec_b64 s[30:31], vcc
	s_cbranch_execz .LBB167_2
; %bb.6:                                ;   in Loop: Header=BB167_4 Depth=1
	global_load_dword v4, v[8:9], off
	s_branch .LBB167_2
.LBB167_7:
	v_cvt_f16_f32_e32 v1, v5
.LBB167_8:
	s_cmp_eq_u64 s[16:17], 0
	s_cbranch_scc1 .LBB167_10
; %bb.9:
	s_load_dword s0, s[0:1], 0x4c
	v_mov_b32_e32 v3, 0
	v_mov_b32_e32 v4, s6
	s_mov_b32 s3, 0
	v_and_b32_e32 v0, 0x3ff, v0
	s_waitcnt lgkmcnt(0)
	s_lshr_b32 s0, s0, 16
	v_mad_u64_u32 v[4:5], s[0:1], s0, v4, v[2:3]
	v_mul_lo_u32 v2, v5, s10
	v_mul_lo_u32 v6, v4, s11
	v_mad_u64_u32 v[4:5], s[0:1], v4, s10, 0
	s_lshl_b64 s[0:1], s[2:3], 7
	s_add_u32 s0, s0, s16
	v_add3_u32 v5, v5, v6, v2
	s_addc_u32 s1, s1, s17
	v_lshl_add_u64 v[4:5], v[4:5], 1, s[0:1]
	v_lshlrev_b32_e32 v2, 1, v0
	v_lshl_add_u64 v[2:3], v[4:5], 0, v[2:3]
	global_store_short v[2:3], v1, off
.LBB167_10:
	s_endpgm
	.section	.rodata,"a",@progbits
	.p2align	6, 0x0
	.amdhsa_kernel _ZN2at6native12_GLOBAL__N_135GammaBetaBackwardCUDAKernelTemplateIN3c104HalfEfLj64ELj1ELj8ELb1ELb1ELb1EEEvllPKT_S7_PKT0_SA_PS5_SB_
		.amdhsa_group_segment_fixed_size 0
		.amdhsa_private_segment_fixed_size 0
		.amdhsa_kernarg_size 320
		.amdhsa_user_sgpr_count 2
		.amdhsa_user_sgpr_dispatch_ptr 0
		.amdhsa_user_sgpr_queue_ptr 0
		.amdhsa_user_sgpr_kernarg_segment_ptr 1
		.amdhsa_user_sgpr_dispatch_id 0
		.amdhsa_user_sgpr_kernarg_preload_length 0
		.amdhsa_user_sgpr_kernarg_preload_offset 0
		.amdhsa_user_sgpr_private_segment_size 0
		.amdhsa_uses_dynamic_stack 0
		.amdhsa_enable_private_segment 0
		.amdhsa_system_sgpr_workgroup_id_x 1
		.amdhsa_system_sgpr_workgroup_id_y 1
		.amdhsa_system_sgpr_workgroup_id_z 0
		.amdhsa_system_sgpr_workgroup_info 0
		.amdhsa_system_vgpr_workitem_id 1
		.amdhsa_next_free_vgpr 43
		.amdhsa_next_free_sgpr 32
		.amdhsa_accum_offset 44
		.amdhsa_reserve_vcc 1
		.amdhsa_float_round_mode_32 0
		.amdhsa_float_round_mode_16_64 0
		.amdhsa_float_denorm_mode_32 3
		.amdhsa_float_denorm_mode_16_64 3
		.amdhsa_dx10_clamp 1
		.amdhsa_ieee_mode 1
		.amdhsa_fp16_overflow 0
		.amdhsa_tg_split 0
		.amdhsa_exception_fp_ieee_invalid_op 0
		.amdhsa_exception_fp_denorm_src 0
		.amdhsa_exception_fp_ieee_div_zero 0
		.amdhsa_exception_fp_ieee_overflow 0
		.amdhsa_exception_fp_ieee_underflow 0
		.amdhsa_exception_fp_ieee_inexact 0
		.amdhsa_exception_int_div_zero 0
	.end_amdhsa_kernel
	.section	.text._ZN2at6native12_GLOBAL__N_135GammaBetaBackwardCUDAKernelTemplateIN3c104HalfEfLj64ELj1ELj8ELb1ELb1ELb1EEEvllPKT_S7_PKT0_SA_PS5_SB_,"axG",@progbits,_ZN2at6native12_GLOBAL__N_135GammaBetaBackwardCUDAKernelTemplateIN3c104HalfEfLj64ELj1ELj8ELb1ELb1ELb1EEEvllPKT_S7_PKT0_SA_PS5_SB_,comdat
.Lfunc_end167:
	.size	_ZN2at6native12_GLOBAL__N_135GammaBetaBackwardCUDAKernelTemplateIN3c104HalfEfLj64ELj1ELj8ELb1ELb1ELb1EEEvllPKT_S7_PKT0_SA_PS5_SB_, .Lfunc_end167-_ZN2at6native12_GLOBAL__N_135GammaBetaBackwardCUDAKernelTemplateIN3c104HalfEfLj64ELj1ELj8ELb1ELb1ELb1EEEvllPKT_S7_PKT0_SA_PS5_SB_
                                        ; -- End function
	.section	.AMDGPU.csdata,"",@progbits
; Kernel info:
; codeLenInByte = 1096
; NumSgprs: 38
; NumVgprs: 43
; NumAgprs: 0
; TotalNumVgprs: 43
; ScratchSize: 0
; MemoryBound: 0
; FloatMode: 240
; IeeeMode: 1
; LDSByteSize: 0 bytes/workgroup (compile time only)
; SGPRBlocks: 4
; VGPRBlocks: 5
; NumSGPRsForWavesPerEU: 38
; NumVGPRsForWavesPerEU: 43
; AccumOffset: 44
; Occupancy: 8
; WaveLimiterHint : 0
; COMPUTE_PGM_RSRC2:SCRATCH_EN: 0
; COMPUTE_PGM_RSRC2:USER_SGPR: 2
; COMPUTE_PGM_RSRC2:TRAP_HANDLER: 0
; COMPUTE_PGM_RSRC2:TGID_X_EN: 1
; COMPUTE_PGM_RSRC2:TGID_Y_EN: 1
; COMPUTE_PGM_RSRC2:TGID_Z_EN: 0
; COMPUTE_PGM_RSRC2:TIDIG_COMP_CNT: 1
; COMPUTE_PGM_RSRC3_GFX90A:ACCUM_OFFSET: 10
; COMPUTE_PGM_RSRC3_GFX90A:TG_SPLIT: 0
	.section	.text._ZN2at6native12_GLOBAL__N_135GammaBetaBackwardCUDAKernelTemplateIN3c104HalfEfLj64ELj1ELj8ELb1ELb0ELb1EEEvllPKT_S7_PKT0_SA_PS5_SB_,"axG",@progbits,_ZN2at6native12_GLOBAL__N_135GammaBetaBackwardCUDAKernelTemplateIN3c104HalfEfLj64ELj1ELj8ELb1ELb0ELb1EEEvllPKT_S7_PKT0_SA_PS5_SB_,comdat
	.globl	_ZN2at6native12_GLOBAL__N_135GammaBetaBackwardCUDAKernelTemplateIN3c104HalfEfLj64ELj1ELj8ELb1ELb0ELb1EEEvllPKT_S7_PKT0_SA_PS5_SB_ ; -- Begin function _ZN2at6native12_GLOBAL__N_135GammaBetaBackwardCUDAKernelTemplateIN3c104HalfEfLj64ELj1ELj8ELb1ELb0ELb1EEEvllPKT_S7_PKT0_SA_PS5_SB_
	.p2align	8
	.type	_ZN2at6native12_GLOBAL__N_135GammaBetaBackwardCUDAKernelTemplateIN3c104HalfEfLj64ELj1ELj8ELb1ELb0ELb1EEEvllPKT_S7_PKT0_SA_PS5_SB_,@function
_ZN2at6native12_GLOBAL__N_135GammaBetaBackwardCUDAKernelTemplateIN3c104HalfEfLj64ELj1ELj8ELb1ELb0ELb1EEEvllPKT_S7_PKT0_SA_PS5_SB_: ; @_ZN2at6native12_GLOBAL__N_135GammaBetaBackwardCUDAKernelTemplateIN3c104HalfEfLj64ELj1ELj8ELb1ELb0ELb1EEEvllPKT_S7_PKT0_SA_PS5_SB_
; %bb.0:
	s_load_dwordx8 s[12:19], s[0:1], 0x0
	s_load_dwordx2 s[10:11], s[0:1], 0x28
	s_mov_b32 s8, s3
	s_lshl_b32 s3, s2, 6
	s_or_b32 s28, s3, 63
	s_mov_b32 s29, 0
	s_waitcnt lgkmcnt(0)
	v_mov_b64_e32 v[2:3], s[14:15]
	v_cmp_ge_i64_e32 vcc, s[28:29], v[2:3]
	s_lshl_b32 s28, s8, 3
	v_mov_b64_e32 v[2:3], s[12:13]
	v_cmp_lt_i64_e64 s[4:5], s[28:29], v[2:3]
	s_nop 1
	v_cndmask_b32_e64 v1, 0, 1, s[4:5]
	v_cmp_ne_u32_e64 s[4:5], 1, v1
	s_cbranch_vccz .LBB168_49
; %bb.1:
	s_and_b64 vcc, exec, s[4:5]
	v_mov_b32_e32 v4, 0
	s_cbranch_vccnz .LBB168_50
; %bb.2:
	v_mov_b32_e32 v3, 0
	v_bfe_u32 v64, v0, 10, 10
	s_load_dword s9, s[0:1], 0x44
	v_lshlrev_b32_e32 v26, 3, v64
	v_mov_b32_e32 v27, v3
	v_and_b32_e32 v1, 0x3ff, v0
	v_lshl_add_u64 v[4:5], v[26:27], 0, s[28:29]
	v_add_u32_e32 v2, s3, v1
	v_lshl_add_u64 v[6:7], v[4:5], 0, 7
	s_add_u32 s30, s0, 64
	v_cmp_gt_i64_e64 s[6:7], s[14:15], v[2:3]
	v_lshlrev_b64 v[28:29], 1, v[2:3]
	v_mul_lo_u32 v2, s15, v6
	v_mul_lo_u32 v8, s14, v7
	v_mad_u64_u32 v[6:7], s[22:23], s14, v6, 0
	s_addc_u32 s31, s1, 0
	s_waitcnt lgkmcnt(0)
	s_lshl_b32 s34, s9, 3
	v_add3_u32 v7, v7, v8, v2
	v_lshlrev_b64 v[6:7], 1, v[6:7]
	s_mul_i32 s9, s15, s34
	s_mul_hi_u32 s21, s14, s34
	v_lshl_add_u64 v[30:31], s[16:17], 0, v[6:7]
	s_add_i32 s23, s21, s9
	s_mul_i32 s22, s14, s34
	v_lshl_add_u64 v[32:33], s[18:19], 0, v[6:7]
	v_lshl_add_u64 v[6:7], v[4:5], 0, 6
	s_lshl_b64 s[38:39], s[22:23], 1
	v_mul_lo_u32 v2, s15, v6
	v_mul_lo_u32 v8, s14, v7
	v_mad_u64_u32 v[6:7], s[22:23], s14, v6, 0
	v_add3_u32 v7, v7, v8, v2
	v_lshlrev_b64 v[6:7], 1, v[6:7]
	v_lshl_add_u64 v[34:35], s[16:17], 0, v[6:7]
	v_lshl_add_u64 v[36:37], s[18:19], 0, v[6:7]
	v_lshl_add_u64 v[6:7], v[4:5], 0, 5
	v_mul_lo_u32 v2, s15, v6
	v_mul_lo_u32 v8, s14, v7
	v_mad_u64_u32 v[6:7], s[22:23], s14, v6, 0
	v_add3_u32 v7, v7, v8, v2
	v_lshlrev_b64 v[6:7], 1, v[6:7]
	v_lshl_add_u64 v[38:39], s[16:17], 0, v[6:7]
	v_lshl_add_u64 v[40:41], s[18:19], 0, v[6:7]
	v_lshl_add_u64 v[6:7], v[4:5], 0, 4
	;; [unrolled: 8-line block ×4, first 2 shown]
	v_mul_lo_u32 v2, s15, v6
	v_mul_lo_u32 v8, s14, v7
	v_mad_u64_u32 v[6:7], s[22:23], s14, v6, 0
	v_add3_u32 v7, v7, v8, v2
	v_lshlrev_b64 v[6:7], 1, v[6:7]
	v_lshl_add_u64 v[50:51], s[16:17], 0, v[6:7]
	v_lshl_add_u64 v[52:53], s[18:19], 0, v[6:7]
	v_mov_b64_e32 v[6:7], s[14:15]
	v_mad_u64_u32 v[6:7], s[22:23], s14, v4, v[6:7]
	v_mul_lo_u32 v2, s14, v5
	v_mul_lo_u32 v8, s15, v4
	v_mad_u64_u32 v[4:5], s[22:23], s14, v4, 0
	v_add3_u32 v7, v8, v7, v2
	v_add3_u32 v5, v5, v2, v8
	v_mbcnt_lo_u32_b32 v2, -1, 0
	v_mbcnt_hi_u32_b32 v2, -1, v2
	s_mov_b32 s20, 0
	v_lshlrev_b64 v[6:7], 1, v[6:7]
	v_lshlrev_b64 v[4:5], 1, v[4:5]
	v_lshlrev_b32_e32 v2, 2, v2
	s_mov_b32 s35, s20
	s_mov_b64 s[36:37], 7
	v_lshl_add_u64 v[54:55], s[16:17], 0, v[6:7]
	v_lshl_add_u64 v[56:57], s[18:19], 0, v[6:7]
	;; [unrolled: 1-line block ×4, first 2 shown]
	v_and_b32_e32 v65, 0x100, v2
	s_mov_b64 s[40:41], s[28:29]
	v_mov_b32_e32 v66, 0
.LBB168_3:                              ; =>This Inner Loop Header: Depth=1
	s_add_u32 s22, s28, s36
	s_addc_u32 s23, 0, s37
	v_mov_b64_e32 v[4:5], s[12:13]
	v_cmp_ge_i64_e32 vcc, s[22:23], v[4:5]
	v_lshl_add_u64 v[62:63], s[28:29], 0, v[26:27]
	s_cbranch_vccz .LBB168_25
; %bb.4:                                ;   in Loop: Header=BB168_3 Depth=1
	s_load_dword s9, s[30:31], 0xc
	v_mov_b32_e32 v67, 0
	s_waitcnt lgkmcnt(0)
	s_and_b32 s9, s9, 0xffff
	v_mad_u32_u24 v2, v64, s9, v1
	v_and_b32_e32 v2, 63, v2
	v_cmp_gt_u32_e32 vcc, 8, v2
	s_and_saveexec_b64 s[22:23], vcc
	s_cbranch_execz .LBB168_8
; %bb.5:                                ;   in Loop: Header=BB168_3 Depth=1
	v_lshl_add_u64 v[4:5], v[62:63], 0, v[2:3]
	v_cmp_gt_i64_e32 vcc, s[12:13], v[4:5]
	v_mov_b32_e32 v67, 0
	s_and_saveexec_b64 s[24:25], vcc
	s_cbranch_execz .LBB168_7
; %bb.6:                                ;   in Loop: Header=BB168_3 Depth=1
	v_lshl_add_u64 v[4:5], v[4:5], 2, s[10:11]
	global_load_dword v67, v[4:5], off
.LBB168_7:                              ;   in Loop: Header=BB168_3 Depth=1
	s_or_b64 exec, exec, s[24:25]
.LBB168_8:                              ;   in Loop: Header=BB168_3 Depth=1
	s_or_b64 exec, exec, s[22:23]
	s_mov_b32 s21, s20
	s_mov_b32 s22, s20
	;; [unrolled: 1-line block ×7, first 2 shown]
	v_mov_b64_e32 v[10:11], s[20:21]
	v_mov_b64_e32 v[16:17], s[26:27]
	v_cmp_gt_i64_e32 vcc, s[12:13], v[62:63]
	v_mov_b64_e32 v[12:13], s[22:23]
	v_mov_b64_e32 v[14:15], s[24:25]
	;; [unrolled: 1-line block ×3, first 2 shown]
	s_and_b64 s[42:43], s[6:7], vcc
	v_mov_b64_e32 v[22:23], v[14:15]
	v_mov_b64_e32 v[20:21], v[12:13]
	;; [unrolled: 1-line block ×3, first 2 shown]
	s_and_saveexec_b64 s[22:23], s[42:43]
	s_cbranch_execz .LBB168_10
; %bb.9:                                ;   in Loop: Header=BB168_3 Depth=1
	v_lshl_add_u64 v[4:5], v[58:59], 0, v[28:29]
	global_load_ushort v2, v[4:5], off
	v_lshl_add_u64 v[4:5], v[60:61], 0, v[28:29]
	global_load_ushort v10, v[4:5], off
	v_mov_b32_e32 v8, v3
	v_mov_b32_e32 v9, v3
	;; [unrolled: 1-line block ×13, first 2 shown]
	s_waitcnt vmcnt(1)
	v_cvt_f32_f16_e32 v2, v2
	v_mov_b64_e32 v[24:25], v[8:9]
	s_waitcnt vmcnt(0)
	v_cvt_f32_f16_e32 v10, v10
	v_mov_b64_e32 v[22:23], v[6:7]
	v_mov_b64_e32 v[20:21], v[4:5]
	;; [unrolled: 1-line block ×3, first 2 shown]
.LBB168_10:                             ;   in Loop: Header=BB168_3 Depth=1
	s_or_b64 exec, exec, s[22:23]
	v_lshl_add_u64 v[4:5], v[62:63], 0, 1
	v_cmp_gt_i64_e32 vcc, s[12:13], v[4:5]
	s_and_b64 s[24:25], s[6:7], vcc
	s_and_saveexec_b64 s[22:23], s[24:25]
	s_cbranch_execz .LBB168_12
; %bb.11:                               ;   in Loop: Header=BB168_3 Depth=1
	v_lshl_add_u64 v[4:5], v[54:55], 0, v[28:29]
	global_load_ushort v2, v[4:5], off
	v_lshl_add_u64 v[4:5], v[56:57], 0, v[28:29]
	global_load_ushort v4, v[4:5], off
	s_waitcnt vmcnt(1)
	v_cvt_f32_f16_e32 v19, v2
	s_waitcnt vmcnt(0)
	v_cvt_f32_f16_e32 v11, v4
.LBB168_12:                             ;   in Loop: Header=BB168_3 Depth=1
	s_or_b64 exec, exec, s[22:23]
	v_lshl_add_u64 v[4:5], v[62:63], 0, 2
	v_cmp_gt_i64_e32 vcc, s[12:13], v[4:5]
	s_and_b64 s[24:25], s[6:7], vcc
	s_and_saveexec_b64 s[22:23], s[24:25]
	s_cbranch_execz .LBB168_14
; %bb.13:                               ;   in Loop: Header=BB168_3 Depth=1
	v_lshl_add_u64 v[4:5], v[50:51], 0, v[28:29]
	global_load_ushort v2, v[4:5], off
	v_lshl_add_u64 v[4:5], v[52:53], 0, v[28:29]
	global_load_ushort v4, v[4:5], off
	s_waitcnt vmcnt(1)
	v_cvt_f32_f16_e32 v20, v2
	s_waitcnt vmcnt(0)
	v_cvt_f32_f16_e32 v12, v4
.LBB168_14:                             ;   in Loop: Header=BB168_3 Depth=1
	;; [unrolled: 16-line block ×7, first 2 shown]
	s_or_b64 exec, exec, s[22:23]
	s_waitcnt vmcnt(0)
	ds_bpermute_b32 v4, v65, v67 offset:4
	ds_bpermute_b32 v5, v65, v67 offset:8
	ds_bpermute_b32 v2, v65, v67
	v_mul_f32_e32 v8, v10, v18
	v_pk_mul_f32 v[10:11], v[10:11], v[18:19]
	v_pk_mul_f32 v[12:13], v[12:13], v[20:21]
	v_mov_b32_e32 v10, v11
	v_mov_b32_e32 v11, v12
	s_waitcnt lgkmcnt(1)
	v_pk_mul_f32 v[4:5], v[10:11], v[4:5]
	ds_bpermute_b32 v10, v65, v67 offset:12
	ds_bpermute_b32 v11, v65, v67 offset:16
	s_waitcnt lgkmcnt(2)
	v_fma_f32 v2, v8, v2, v66
	v_pk_mul_f32 v[8:9], v[14:15], v[22:23]
	v_add_f32_e32 v2, v2, v4
	v_add_f32_e32 v2, v2, v5
	v_mov_b32_e32 v4, v13
	v_mov_b32_e32 v5, v8
	s_waitcnt lgkmcnt(0)
	v_pk_mul_f32 v[4:5], v[4:5], v[10:11]
	ds_bpermute_b32 v10, v65, v67 offset:20
	ds_bpermute_b32 v11, v65, v67 offset:24
	v_pk_mul_f32 v[6:7], v[16:17], v[24:25]
	v_add_f32_e32 v2, v2, v4
	v_add_f32_e32 v7, v2, v5
	ds_bpermute_b32 v2, v65, v67 offset:28
	v_mov_b32_e32 v4, v9
	v_mov_b32_e32 v5, v6
	s_waitcnt lgkmcnt(1)
	v_pk_mul_f32 v[4:5], v[4:5], v[10:11]
	s_nop 0
	v_add_f32_e32 v4, v7, v4
	v_add_f32_e32 v4, v4, v5
	s_branch .LBB168_40
.LBB168_25:                             ;   in Loop: Header=BB168_3 Depth=1
                                        ; implicit-def: $vgpr4
                                        ; implicit-def: $vgpr10_vgpr11_vgpr12_vgpr13_vgpr14_vgpr15_vgpr16_vgpr17
                                        ; implicit-def: $vgpr18_vgpr19_vgpr20_vgpr21_vgpr22_vgpr23_vgpr24_vgpr25
                                        ; implicit-def: $vgpr2
	s_cbranch_execz .LBB168_40
; %bb.26:                               ;   in Loop: Header=BB168_3 Depth=1
	s_load_dword s9, s[30:31], 0x0
	v_mov_b32_e32 v67, 0
	s_waitcnt lgkmcnt(0)
	s_cmp_lt_u32 s2, s9
	s_cselect_b32 s9, 12, 18
	s_add_u32 s22, s30, s9
	s_addc_u32 s23, s31, 0
	global_load_ushort v2, v3, s[22:23]
	s_waitcnt vmcnt(0)
	v_mad_u32_u24 v2, v64, v2, v1
	v_and_b32_e32 v2, 63, v2
	v_cmp_gt_u32_e32 vcc, 8, v2
	s_and_saveexec_b64 s[22:23], vcc
	s_cbranch_execz .LBB168_30
; %bb.27:                               ;   in Loop: Header=BB168_3 Depth=1
	v_lshl_add_u64 v[4:5], v[62:63], 0, v[2:3]
	v_cmp_gt_i64_e32 vcc, s[12:13], v[4:5]
	v_mov_b32_e32 v67, 0
	s_and_saveexec_b64 s[24:25], vcc
	s_cbranch_execz .LBB168_29
; %bb.28:                               ;   in Loop: Header=BB168_3 Depth=1
	v_lshl_add_u64 v[4:5], v[4:5], 2, s[10:11]
	global_load_dword v67, v[4:5], off
.LBB168_29:                             ;   in Loop: Header=BB168_3 Depth=1
	s_or_b64 exec, exec, s[24:25]
.LBB168_30:                             ;   in Loop: Header=BB168_3 Depth=1
	s_or_b64 exec, exec, s[22:23]
	s_mov_b32 s21, s20
	s_mov_b32 s22, s20
	;; [unrolled: 1-line block ×7, first 2 shown]
	v_mov_b64_e32 v[10:11], s[20:21]
	v_mov_b64_e32 v[16:17], s[26:27]
	;; [unrolled: 1-line block ×8, first 2 shown]
	s_and_saveexec_b64 s[22:23], s[6:7]
	s_cbranch_execnz .LBB168_42
; %bb.31:                               ;   in Loop: Header=BB168_3 Depth=1
	s_or_b64 exec, exec, s[22:23]
	s_and_saveexec_b64 s[22:23], s[6:7]
	s_cbranch_execnz .LBB168_43
.LBB168_32:                             ;   in Loop: Header=BB168_3 Depth=1
	s_or_b64 exec, exec, s[22:23]
	s_and_saveexec_b64 s[22:23], s[6:7]
	s_cbranch_execnz .LBB168_44
.LBB168_33:                             ;   in Loop: Header=BB168_3 Depth=1
	s_or_b64 exec, exec, s[22:23]
	s_and_saveexec_b64 s[22:23], s[6:7]
	s_cbranch_execnz .LBB168_45
.LBB168_34:                             ;   in Loop: Header=BB168_3 Depth=1
	s_or_b64 exec, exec, s[22:23]
	s_and_saveexec_b64 s[22:23], s[6:7]
	s_cbranch_execnz .LBB168_46
.LBB168_35:                             ;   in Loop: Header=BB168_3 Depth=1
	s_or_b64 exec, exec, s[22:23]
	s_and_saveexec_b64 s[22:23], s[6:7]
	s_cbranch_execnz .LBB168_47
.LBB168_36:                             ;   in Loop: Header=BB168_3 Depth=1
	s_or_b64 exec, exec, s[22:23]
	s_and_saveexec_b64 s[22:23], s[6:7]
	s_cbranch_execnz .LBB168_48
.LBB168_37:                             ;   in Loop: Header=BB168_3 Depth=1
	s_or_b64 exec, exec, s[22:23]
	s_and_saveexec_b64 s[22:23], s[6:7]
	s_cbranch_execz .LBB168_39
.LBB168_38:                             ;   in Loop: Header=BB168_3 Depth=1
	v_lshl_add_u64 v[4:5], v[30:31], 0, v[28:29]
	global_load_ushort v2, v[4:5], off
	v_lshl_add_u64 v[4:5], v[32:33], 0, v[28:29]
	global_load_ushort v4, v[4:5], off
	s_waitcnt vmcnt(1)
	v_cvt_f32_f16_e32 v25, v2
	s_waitcnt vmcnt(0)
	v_cvt_f32_f16_e32 v17, v4
.LBB168_39:                             ;   in Loop: Header=BB168_3 Depth=1
	s_or_b64 exec, exec, s[22:23]
	s_waitcnt vmcnt(0)
	ds_bpermute_b32 v4, v65, v67 offset:4
	ds_bpermute_b32 v5, v65, v67 offset:8
	ds_bpermute_b32 v2, v65, v67
	v_mul_f32_e32 v8, v10, v18
	v_pk_mul_f32 v[10:11], v[10:11], v[18:19]
	v_pk_mul_f32 v[12:13], v[12:13], v[20:21]
	v_mov_b32_e32 v10, v11
	v_mov_b32_e32 v11, v12
	s_waitcnt lgkmcnt(1)
	v_pk_mul_f32 v[4:5], v[10:11], v[4:5]
	ds_bpermute_b32 v10, v65, v67 offset:12
	ds_bpermute_b32 v11, v65, v67 offset:16
	s_waitcnt lgkmcnt(2)
	v_fmac_f32_e32 v66, v8, v2
	v_pk_mul_f32 v[8:9], v[14:15], v[22:23]
	v_add_f32_e32 v2, v66, v4
	v_add_f32_e32 v2, v2, v5
	v_mov_b32_e32 v4, v13
	v_mov_b32_e32 v5, v8
	s_waitcnt lgkmcnt(0)
	v_pk_mul_f32 v[4:5], v[4:5], v[10:11]
	ds_bpermute_b32 v10, v65, v67 offset:20
	ds_bpermute_b32 v11, v65, v67 offset:24
	v_pk_mul_f32 v[6:7], v[16:17], v[24:25]
	v_add_f32_e32 v2, v2, v4
	v_add_f32_e32 v7, v2, v5
	v_mov_b32_e32 v4, v9
	v_mov_b32_e32 v5, v6
	s_waitcnt lgkmcnt(0)
	v_pk_mul_f32 v[4:5], v[4:5], v[10:11]
	ds_bpermute_b32 v2, v65, v67 offset:28
	v_add_f32_e32 v4, v7, v4
	v_add_f32_e32 v4, v4, v5
.LBB168_40:                             ;   in Loop: Header=BB168_3 Depth=1
	s_add_u32 s40, s40, s34
	s_addc_u32 s41, s41, 0
	v_mov_b64_e32 v[6:7], s[12:13]
	v_mul_f32_e32 v5, v25, v17
	s_add_u32 s36, s36, s34
	v_cmp_lt_i64_e32 vcc, s[40:41], v[6:7]
	s_waitcnt lgkmcnt(0)
	v_fmac_f32_e32 v4, v5, v2
	v_lshl_add_u64 v[30:31], v[30:31], 0, s[38:39]
	v_lshl_add_u64 v[32:33], v[32:33], 0, s[38:39]
	;; [unrolled: 1-line block ×17, first 2 shown]
	s_addc_u32 s37, s37, 0
	s_cbranch_vccz .LBB168_50
; %bb.41:                               ;   in Loop: Header=BB168_3 Depth=1
	v_mov_b32_e32 v66, v4
	s_branch .LBB168_3
.LBB168_42:                             ;   in Loop: Header=BB168_3 Depth=1
	v_lshl_add_u64 v[4:5], v[58:59], 0, v[28:29]
	global_load_ushort v2, v[4:5], off
	v_lshl_add_u64 v[4:5], v[60:61], 0, v[28:29]
	global_load_ushort v10, v[4:5], off
	v_mov_b32_e32 v8, v3
	v_mov_b32_e32 v9, v3
	;; [unrolled: 1-line block ×13, first 2 shown]
	s_waitcnt vmcnt(1)
	v_cvt_f32_f16_e32 v2, v2
	v_mov_b64_e32 v[24:25], v[8:9]
	s_waitcnt vmcnt(0)
	v_cvt_f32_f16_e32 v10, v10
	v_mov_b64_e32 v[22:23], v[6:7]
	v_mov_b64_e32 v[20:21], v[4:5]
	;; [unrolled: 1-line block ×3, first 2 shown]
	s_or_b64 exec, exec, s[22:23]
	s_and_saveexec_b64 s[22:23], s[6:7]
	s_cbranch_execz .LBB168_32
.LBB168_43:                             ;   in Loop: Header=BB168_3 Depth=1
	v_lshl_add_u64 v[4:5], v[54:55], 0, v[28:29]
	global_load_ushort v2, v[4:5], off
	v_lshl_add_u64 v[4:5], v[56:57], 0, v[28:29]
	global_load_ushort v4, v[4:5], off
	s_waitcnt vmcnt(1)
	v_cvt_f32_f16_e32 v19, v2
	s_waitcnt vmcnt(0)
	v_cvt_f32_f16_e32 v11, v4
	s_or_b64 exec, exec, s[22:23]
	s_and_saveexec_b64 s[22:23], s[6:7]
	s_cbranch_execz .LBB168_33
.LBB168_44:                             ;   in Loop: Header=BB168_3 Depth=1
	v_lshl_add_u64 v[4:5], v[50:51], 0, v[28:29]
	global_load_ushort v2, v[4:5], off
	v_lshl_add_u64 v[4:5], v[52:53], 0, v[28:29]
	global_load_ushort v4, v[4:5], off
	s_waitcnt vmcnt(1)
	v_cvt_f32_f16_e32 v20, v2
	s_waitcnt vmcnt(0)
	v_cvt_f32_f16_e32 v12, v4
	s_or_b64 exec, exec, s[22:23]
	s_and_saveexec_b64 s[22:23], s[6:7]
	s_cbranch_execz .LBB168_34
.LBB168_45:                             ;   in Loop: Header=BB168_3 Depth=1
	v_lshl_add_u64 v[4:5], v[46:47], 0, v[28:29]
	global_load_ushort v2, v[4:5], off
	v_lshl_add_u64 v[4:5], v[48:49], 0, v[28:29]
	global_load_ushort v4, v[4:5], off
	s_waitcnt vmcnt(1)
	v_cvt_f32_f16_e32 v21, v2
	s_waitcnt vmcnt(0)
	v_cvt_f32_f16_e32 v13, v4
	s_or_b64 exec, exec, s[22:23]
	s_and_saveexec_b64 s[22:23], s[6:7]
	s_cbranch_execz .LBB168_35
.LBB168_46:                             ;   in Loop: Header=BB168_3 Depth=1
	v_lshl_add_u64 v[4:5], v[42:43], 0, v[28:29]
	global_load_ushort v2, v[4:5], off
	v_lshl_add_u64 v[4:5], v[44:45], 0, v[28:29]
	global_load_ushort v4, v[4:5], off
	s_waitcnt vmcnt(1)
	v_cvt_f32_f16_e32 v22, v2
	s_waitcnt vmcnt(0)
	v_cvt_f32_f16_e32 v14, v4
	s_or_b64 exec, exec, s[22:23]
	s_and_saveexec_b64 s[22:23], s[6:7]
	s_cbranch_execz .LBB168_36
.LBB168_47:                             ;   in Loop: Header=BB168_3 Depth=1
	v_lshl_add_u64 v[4:5], v[38:39], 0, v[28:29]
	global_load_ushort v2, v[4:5], off
	v_lshl_add_u64 v[4:5], v[40:41], 0, v[28:29]
	global_load_ushort v4, v[4:5], off
	s_waitcnt vmcnt(1)
	v_cvt_f32_f16_e32 v23, v2
	s_waitcnt vmcnt(0)
	v_cvt_f32_f16_e32 v15, v4
	s_or_b64 exec, exec, s[22:23]
	s_and_saveexec_b64 s[22:23], s[6:7]
	s_cbranch_execz .LBB168_37
.LBB168_48:                             ;   in Loop: Header=BB168_3 Depth=1
	v_lshl_add_u64 v[4:5], v[34:35], 0, v[28:29]
	global_load_ushort v2, v[4:5], off
	v_lshl_add_u64 v[4:5], v[36:37], 0, v[28:29]
	global_load_ushort v4, v[4:5], off
	s_waitcnt vmcnt(1)
	v_cvt_f32_f16_e32 v24, v2
	s_waitcnt vmcnt(0)
	v_cvt_f32_f16_e32 v16, v4
	s_or_b64 exec, exec, s[22:23]
	s_and_saveexec_b64 s[22:23], s[6:7]
	s_cbranch_execnz .LBB168_38
	s_branch .LBB168_39
.LBB168_49:
                                        ; implicit-def: $vgpr4
	s_load_dwordx2 s[6:7], s[0:1], 0x30
	s_branch .LBB168_51
.LBB168_50:
	s_load_dwordx2 s[6:7], s[0:1], 0x30
	s_cbranch_execnz .LBB168_83
.LBB168_51:
	s_and_b64 vcc, exec, s[4:5]
	v_mov_b32_e32 v4, 0
	s_cbranch_vccnz .LBB168_83
; %bb.52:
	v_and_b32_e32 v1, 0x3ff, v0
	v_add_u32_e32 v2, s3, v1
	v_mov_b32_e32 v3, 0
	v_bfe_u32 v92, v0, 10, 10
	v_lshlrev_b64 v[28:29], 1, v[2:3]
	v_lshlrev_b32_e32 v2, 4, v92
	v_lshl_add_u64 v[4:5], s[28:29], 1, v[2:3]
	v_lshl_add_u64 v[6:7], v[4:5], 0, 2
	v_mov_b64_e32 v[8:9], s[16:17]
	v_lshl_add_u64 v[10:11], v[4:5], 0, 4
	v_lshl_add_u64 v[12:13], v[4:5], 0, 6
	;; [unrolled: 1-line block ×6, first 2 shown]
	v_mad_u64_u32 v[30:31], s[4:5], s14, v6, v[8:9]
	v_mad_u64_u32 v[32:33], s[4:5], s14, v10, v[8:9]
	;; [unrolled: 1-line block ×7, first 2 shown]
	v_mov_b64_e32 v[8:9], s[18:19]
	v_lshlrev_b32_e32 v26, 3, v92
	v_mov_b32_e32 v27, v3
	v_mul_lo_u32 v2, s14, v7
	v_mul_lo_u32 v7, s15, v6
	v_mad_u64_u32 v[44:45], s[4:5], s14, v6, v[8:9]
	v_add3_u32 v31, v7, v31, v2
	v_mul_lo_u32 v5, s14, v5
	v_mul_lo_u32 v25, s15, v4
	v_add3_u32 v45, v7, v45, v2
	v_lshl_add_u64 v[6:7], v[26:27], 0, s[28:29]
	v_mad_u64_u32 v[56:57], s[4:5], s14, v4, v[8:9]
	v_add3_u32 v43, v25, v43, v5
	v_add3_u32 v57, v25, v57, v5
	v_lshl_add_u64 v[4:5], v[6:7], 0, 7
	v_mad_u64_u32 v[46:47], s[4:5], s14, v10, v[8:9]
	v_mad_u64_u32 v[48:49], s[4:5], s14, v12, v[8:9]
	;; [unrolled: 1-line block ×5, first 2 shown]
	v_mul_lo_u32 v8, s15, v4
	v_mul_lo_u32 v9, s14, v5
	v_mad_u64_u32 v[4:5], s[4:5], s14, v4, 0
	v_mul_lo_u32 v11, s14, v11
	v_mul_lo_u32 v20, s15, v10
	v_add3_u32 v5, v5, v9, v8
	v_lshl_add_u64 v[8:9], v[6:7], 0, 6
	v_add3_u32 v33, v20, v33, v11
	v_add3_u32 v47, v20, v47, v11
	v_mul_lo_u32 v10, s15, v8
	v_mul_lo_u32 v11, s14, v9
	v_mad_u64_u32 v[8:9], s[4:5], s14, v8, 0
	v_mul_lo_u32 v13, s14, v13
	v_mul_lo_u32 v21, s15, v12
	v_add3_u32 v9, v9, v11, v10
	v_lshl_add_u64 v[10:11], v[6:7], 0, 5
	v_add3_u32 v35, v21, v35, v13
	v_add3_u32 v49, v21, v49, v13
	;; [unrolled: 9-line block ×4, first 2 shown]
	v_mul_lo_u32 v16, s15, v14
	v_mul_lo_u32 v17, s14, v15
	v_mad_u64_u32 v[14:15], s[4:5], s14, v14, 0
	v_mul_lo_u32 v19, s14, v19
	v_mul_lo_u32 v24, s15, v18
	v_add3_u32 v15, v15, v17, v16
	v_lshl_add_u64 v[16:17], v[6:7], 0, 2
	s_load_dword s3, s[0:1], 0x44
	v_add3_u32 v41, v24, v41, v19
	v_add3_u32 v55, v24, v55, v19
	v_mul_lo_u32 v18, s15, v16
	v_mul_lo_u32 v19, s14, v17
	v_mad_u64_u32 v[16:17], s[4:5], s14, v16, 0
	v_lshlrev_b64 v[4:5], 1, v[4:5]
	v_add3_u32 v17, v17, v19, v18
	v_mov_b64_e32 v[18:19], s[14:15]
	v_lshl_add_u64 v[62:63], s[16:17], 0, v[4:5]
	v_lshl_add_u64 v[64:65], s[18:19], 0, v[4:5]
	v_lshlrev_b64 v[4:5], 1, v[8:9]
	v_mul_lo_u32 v2, s15, v6
	v_mad_u64_u32 v[18:19], s[4:5], s14, v6, v[18:19]
	v_mul_lo_u32 v20, s14, v7
	v_mad_u64_u32 v[6:7], s[4:5], s14, v6, 0
	v_lshl_add_u64 v[66:67], s[16:17], 0, v[4:5]
	v_lshl_add_u64 v[68:69], s[18:19], 0, v[4:5]
	v_lshlrev_b64 v[4:5], 1, v[10:11]
	s_add_u32 s4, s0, 64
	v_lshl_add_u64 v[70:71], s[16:17], 0, v[4:5]
	v_lshl_add_u64 v[72:73], s[18:19], 0, v[4:5]
	v_lshlrev_b64 v[4:5], 1, v[12:13]
	v_add3_u32 v7, v7, v20, v2
	v_add3_u32 v19, v2, v19, v20
	s_addc_u32 s5, s1, 0
	s_waitcnt lgkmcnt(0)
	s_lshl_b32 s30, s3, 3
	v_lshl_add_u64 v[74:75], s[16:17], 0, v[4:5]
	v_lshl_add_u64 v[76:77], s[18:19], 0, v[4:5]
	v_lshlrev_b64 v[4:5], 1, v[14:15]
	v_mbcnt_lo_u32_b32 v2, -1, 0
	s_mul_i32 s3, s15, s30
	s_mul_hi_u32 s9, s14, s30
	v_lshl_add_u64 v[78:79], s[16:17], 0, v[4:5]
	v_lshl_add_u64 v[80:81], s[18:19], 0, v[4:5]
	v_lshlrev_b64 v[4:5], 1, v[16:17]
	v_mbcnt_hi_u32_b32 v2, -1, v2
	s_mov_b32 s20, 0
	s_add_i32 s23, s9, s3
	s_mul_i32 s22, s14, s30
	v_lshlrev_b64 v[6:7], 1, v[6:7]
	v_lshl_add_u64 v[82:83], s[16:17], 0, v[4:5]
	v_lshl_add_u64 v[84:85], s[18:19], 0, v[4:5]
	v_lshlrev_b64 v[4:5], 1, v[18:19]
	v_lshlrev_b32_e32 v2, 2, v2
	s_mov_b32 s31, s20
	s_lshl_b64 s[34:35], s[22:23], 1
	v_lshl_add_u64 v[58:59], s[16:17], 0, v[6:7]
	v_lshl_add_u64 v[60:61], s[18:19], 0, v[6:7]
	s_mov_b64 s[36:37], 7
	v_lshl_add_u64 v[86:87], s[16:17], 0, v[4:5]
	v_lshl_add_u64 v[88:89], s[18:19], 0, v[4:5]
	v_and_b32_e32 v93, 0x100, v2
	s_mov_b64 s[16:17], s[28:29]
	v_mov_b32_e32 v94, 0
.LBB168_53:                             ; =>This Inner Loop Header: Depth=1
	s_add_u32 s18, s28, s36
	s_addc_u32 s19, 0, s37
	v_mov_b64_e32 v[4:5], s[12:13]
	v_cmp_ge_i64_e32 vcc, s[18:19], v[4:5]
	v_lshl_add_u64 v[90:91], s[28:29], 0, v[26:27]
	s_cbranch_vccz .LBB168_75
; %bb.54:                               ;   in Loop: Header=BB168_53 Depth=1
	s_load_dword s3, s[4:5], 0xc
	v_mov_b32_e32 v95, 0
	s_waitcnt lgkmcnt(0)
	s_and_b32 s3, s3, 0xffff
	v_mad_u32_u24 v2, v92, s3, v1
	v_and_b32_e32 v2, 63, v2
	v_cmp_gt_u32_e32 vcc, 8, v2
	s_and_saveexec_b64 s[18:19], vcc
	s_cbranch_execz .LBB168_58
; %bb.55:                               ;   in Loop: Header=BB168_53 Depth=1
	v_lshl_add_u64 v[4:5], v[90:91], 0, v[2:3]
	v_cmp_gt_i64_e32 vcc, s[12:13], v[4:5]
	v_mov_b32_e32 v95, 0
	s_and_saveexec_b64 s[22:23], vcc
	s_cbranch_execz .LBB168_57
; %bb.56:                               ;   in Loop: Header=BB168_53 Depth=1
	v_lshl_add_u64 v[4:5], v[4:5], 2, s[10:11]
	global_load_dword v95, v[4:5], off
.LBB168_57:                             ;   in Loop: Header=BB168_53 Depth=1
	s_or_b64 exec, exec, s[22:23]
.LBB168_58:                             ;   in Loop: Header=BB168_53 Depth=1
	s_or_b64 exec, exec, s[18:19]
	s_mov_b32 s21, s20
	s_mov_b32 s22, s20
	;; [unrolled: 1-line block ×7, first 2 shown]
	v_mov_b64_e32 v[10:11], s[20:21]
	v_mov_b64_e32 v[16:17], s[26:27]
	;; [unrolled: 1-line block ×5, first 2 shown]
	v_cmp_gt_i64_e32 vcc, s[12:13], v[90:91]
	v_mov_b64_e32 v[22:23], v[14:15]
	v_mov_b64_e32 v[20:21], v[12:13]
	;; [unrolled: 1-line block ×3, first 2 shown]
	s_and_saveexec_b64 s[18:19], vcc
	s_cbranch_execz .LBB168_60
; %bb.59:                               ;   in Loop: Header=BB168_53 Depth=1
	v_lshl_add_u64 v[4:5], v[58:59], 0, v[28:29]
	global_load_ushort v2, v[4:5], off
	v_lshl_add_u64 v[4:5], v[60:61], 0, v[28:29]
	global_load_ushort v10, v[4:5], off
	v_mov_b32_e32 v8, v3
	v_mov_b32_e32 v9, v3
	;; [unrolled: 1-line block ×13, first 2 shown]
	s_waitcnt vmcnt(1)
	v_cvt_f32_f16_e32 v2, v2
	v_mov_b64_e32 v[24:25], v[8:9]
	s_waitcnt vmcnt(0)
	v_cvt_f32_f16_e32 v10, v10
	v_mov_b64_e32 v[22:23], v[6:7]
	v_mov_b64_e32 v[20:21], v[4:5]
	;; [unrolled: 1-line block ×3, first 2 shown]
.LBB168_60:                             ;   in Loop: Header=BB168_53 Depth=1
	s_or_b64 exec, exec, s[18:19]
	v_lshl_add_u64 v[4:5], v[90:91], 0, 1
	v_cmp_gt_i64_e32 vcc, s[12:13], v[4:5]
	s_and_saveexec_b64 s[18:19], vcc
	s_cbranch_execz .LBB168_62
; %bb.61:                               ;   in Loop: Header=BB168_53 Depth=1
	v_lshl_add_u64 v[4:5], v[86:87], 0, v[28:29]
	global_load_ushort v2, v[4:5], off
	v_lshl_add_u64 v[4:5], v[88:89], 0, v[28:29]
	global_load_ushort v4, v[4:5], off
	s_waitcnt vmcnt(1)
	v_cvt_f32_f16_e32 v19, v2
	s_waitcnt vmcnt(0)
	v_cvt_f32_f16_e32 v11, v4
.LBB168_62:                             ;   in Loop: Header=BB168_53 Depth=1
	s_or_b64 exec, exec, s[18:19]
	v_lshl_add_u64 v[4:5], v[90:91], 0, 2
	v_cmp_gt_i64_e32 vcc, s[12:13], v[4:5]
	s_and_saveexec_b64 s[18:19], vcc
	s_cbranch_execz .LBB168_64
; %bb.63:                               ;   in Loop: Header=BB168_53 Depth=1
	v_lshl_add_u64 v[4:5], v[82:83], 0, v[28:29]
	global_load_ushort v2, v[4:5], off
	v_lshl_add_u64 v[4:5], v[84:85], 0, v[28:29]
	global_load_ushort v4, v[4:5], off
	s_waitcnt vmcnt(1)
	v_cvt_f32_f16_e32 v20, v2
	s_waitcnt vmcnt(0)
	v_cvt_f32_f16_e32 v12, v4
.LBB168_64:                             ;   in Loop: Header=BB168_53 Depth=1
	;; [unrolled: 15-line block ×7, first 2 shown]
	s_or_b64 exec, exec, s[18:19]
	s_waitcnt vmcnt(0)
	ds_bpermute_b32 v4, v93, v95
	ds_bpermute_b32 v5, v93, v95 offset:4
	v_pk_mul_f32 v[8:9], v[14:15], v[22:23]
	ds_bpermute_b32 v14, v93, v95 offset:8
	ds_bpermute_b32 v15, v93, v95 offset:12
	v_pk_mul_f32 v[10:11], v[10:11], v[18:19]
	v_pk_mul_f32 v[12:13], v[12:13], v[20:21]
	s_waitcnt lgkmcnt(2)
	v_pk_mul_f32 v[4:5], v[10:11], v[4:5]
	ds_bpermute_b32 v10, v93, v95 offset:16
	ds_bpermute_b32 v11, v93, v95 offset:20
	v_add_f32_e32 v2, v94, v4
	v_add_f32_e32 v2, v2, v5
	s_waitcnt lgkmcnt(2)
	v_pk_mul_f32 v[4:5], v[12:13], v[14:15]
	ds_bpermute_b32 v12, v93, v95 offset:24
	ds_bpermute_b32 v13, v93, v95 offset:28
	v_add_f32_e32 v2, v2, v4
	v_add_f32_e32 v2, v2, v5
	s_waitcnt lgkmcnt(2)
	v_pk_mul_f32 v[4:5], v[8:9], v[10:11]
	v_pk_mul_f32 v[6:7], v[16:17], v[24:25]
	v_add_f32_e32 v2, v2, v4
	v_add_f32_e32 v2, v2, v5
	s_waitcnt lgkmcnt(0)
	v_pk_mul_f32 v[4:5], v[6:7], v[12:13]
	s_nop 0
	v_add_f32_e32 v2, v2, v4
	v_add_f32_e32 v4, v2, v5
	s_branch .LBB168_81
.LBB168_75:                             ;   in Loop: Header=BB168_53 Depth=1
                                        ; implicit-def: $vgpr4
	s_cbranch_execz .LBB168_81
; %bb.76:                               ;   in Loop: Header=BB168_53 Depth=1
	s_load_dword s3, s[4:5], 0x0
	v_mov_b32_e32 v6, 0
	s_waitcnt lgkmcnt(0)
	s_cmp_lt_u32 s2, s3
	s_cselect_b32 s3, 12, 18
	s_add_u32 s18, s4, s3
	s_addc_u32 s19, s5, 0
	global_load_ushort v2, v3, s[18:19]
	s_waitcnt vmcnt(0)
	v_mad_u32_u24 v2, v92, v2, v1
	v_and_b32_e32 v2, 63, v2
	v_cmp_gt_u32_e32 vcc, 8, v2
	s_and_saveexec_b64 s[18:19], vcc
	s_cbranch_execz .LBB168_80
; %bb.77:                               ;   in Loop: Header=BB168_53 Depth=1
	v_lshl_add_u64 v[4:5], v[90:91], 0, v[2:3]
	v_cmp_gt_i64_e32 vcc, s[12:13], v[4:5]
	v_mov_b32_e32 v6, 0
	s_and_saveexec_b64 s[22:23], vcc
	s_cbranch_execz .LBB168_79
; %bb.78:                               ;   in Loop: Header=BB168_53 Depth=1
	v_lshl_add_u64 v[4:5], v[4:5], 2, s[10:11]
	global_load_dword v6, v[4:5], off
.LBB168_79:                             ;   in Loop: Header=BB168_53 Depth=1
	s_or_b64 exec, exec, s[22:23]
.LBB168_80:                             ;   in Loop: Header=BB168_53 Depth=1
	s_or_b64 exec, exec, s[18:19]
	v_lshl_add_u64 v[4:5], v[58:59], 0, v[28:29]
	global_load_ushort v2, v[4:5], off
	v_lshl_add_u64 v[4:5], v[60:61], 0, v[28:29]
	global_load_ushort v7, v[4:5], off
	;; [unrolled: 2-line block ×16, first 2 shown]
	s_waitcnt vmcnt(16)
	ds_bpermute_b32 v5, v93, v6
	ds_bpermute_b32 v21, v93, v6 offset:4
	ds_bpermute_b32 v22, v93, v6 offset:8
	;; [unrolled: 1-line block ×7, first 2 shown]
	s_waitcnt vmcnt(15)
	v_cvt_f32_f16_e32 v2, v2
	s_waitcnt vmcnt(14)
	v_cvt_f32_f16_e32 v7, v7
	;; [unrolled: 2-line block ×4, first 2 shown]
	v_mul_f32_e32 v2, v2, v7
	s_waitcnt vmcnt(11)
	v_cvt_f32_f16_e32 v10, v10
	s_waitcnt lgkmcnt(7)
	v_fmac_f32_e32 v94, v2, v5
	s_waitcnt vmcnt(10)
	v_cvt_f32_f16_e32 v11, v11
	v_mul_f32_e32 v7, v8, v9
	s_waitcnt vmcnt(9)
	v_cvt_f32_f16_e32 v12, v12
	s_waitcnt lgkmcnt(6)
	v_fmac_f32_e32 v94, v7, v21
	s_waitcnt vmcnt(8)
	v_cvt_f32_f16_e32 v13, v13
	;; [unrolled: 7-line block ×6, first 2 shown]
	v_mul_f32_e32 v12, v18, v19
	s_waitcnt lgkmcnt(1)
	v_fmac_f32_e32 v94, v12, v90
	v_mul_f32_e32 v2, v20, v4
	s_waitcnt lgkmcnt(0)
	v_fmac_f32_e32 v94, v2, v6
	v_mov_b32_e32 v4, v94
.LBB168_81:                             ;   in Loop: Header=BB168_53 Depth=1
	s_add_u32 s16, s16, s30
	s_addc_u32 s17, s17, 0
	v_mov_b64_e32 v[6:7], s[12:13]
	s_add_u32 s36, s36, s30
	v_cmp_ge_i64_e32 vcc, s[16:17], v[6:7]
	v_lshl_add_u64 v[26:27], v[26:27], 0, s[30:31]
	v_lshl_add_u64 v[30:31], v[30:31], 0, s[34:35]
	;; [unrolled: 1-line block ×31, first 2 shown]
	s_addc_u32 s37, s37, 0
	s_cbranch_vccnz .LBB168_83
; %bb.82:                               ;   in Loop: Header=BB168_53 Depth=1
	v_mov_b32_e32 v94, v4
	s_branch .LBB168_53
.LBB168_83:
	s_mov_b32 s3, 0
	s_lshl_b64 s[2:3], s[2:3], 6
	v_and_b32_e32 v1, 0x3ff, v0
	v_or_b32_e32 v2, s2, v1
	v_mov_b32_e32 v3, s3
	s_waitcnt lgkmcnt(0)
	s_cmp_lg_u64 s[6:7], 0
	v_cmp_gt_i64_e32 vcc, s[14:15], v[2:3]
	s_cselect_b64 s[2:3], -1, 0
	s_and_b64 s[2:3], vcc, s[2:3]
	s_and_saveexec_b64 s[4:5], s[2:3]
	s_cbranch_execz .LBB168_85
; %bb.84:
	s_load_dword s0, s[0:1], 0x4c
	v_bfe_u32 v0, v0, 10, 10
	v_mov_b32_e32 v1, 0
	v_mov_b32_e32 v5, s8
	v_cvt_f16_f32_e32 v4, v4
	s_waitcnt lgkmcnt(0)
	s_lshr_b32 s0, s0, 16
	v_mad_u64_u32 v[0:1], s[0:1], s0, v5, v[0:1]
	v_mul_lo_u32 v5, v1, s14
	v_mul_lo_u32 v6, v0, s15
	v_mad_u64_u32 v[0:1], s[0:1], v0, s14, 0
	v_add3_u32 v1, v1, v6, v5
	v_lshl_add_u64 v[0:1], v[0:1], 1, s[6:7]
	v_lshl_add_u64 v[0:1], v[2:3], 1, v[0:1]
	global_store_short v[0:1], v4, off
.LBB168_85:
	s_endpgm
	.section	.rodata,"a",@progbits
	.p2align	6, 0x0
	.amdhsa_kernel _ZN2at6native12_GLOBAL__N_135GammaBetaBackwardCUDAKernelTemplateIN3c104HalfEfLj64ELj1ELj8ELb1ELb0ELb1EEEvllPKT_S7_PKT0_SA_PS5_SB_
		.amdhsa_group_segment_fixed_size 0
		.amdhsa_private_segment_fixed_size 0
		.amdhsa_kernarg_size 320
		.amdhsa_user_sgpr_count 2
		.amdhsa_user_sgpr_dispatch_ptr 0
		.amdhsa_user_sgpr_queue_ptr 0
		.amdhsa_user_sgpr_kernarg_segment_ptr 1
		.amdhsa_user_sgpr_dispatch_id 0
		.amdhsa_user_sgpr_kernarg_preload_length 0
		.amdhsa_user_sgpr_kernarg_preload_offset 0
		.amdhsa_user_sgpr_private_segment_size 0
		.amdhsa_uses_dynamic_stack 0
		.amdhsa_enable_private_segment 0
		.amdhsa_system_sgpr_workgroup_id_x 1
		.amdhsa_system_sgpr_workgroup_id_y 1
		.amdhsa_system_sgpr_workgroup_id_z 0
		.amdhsa_system_sgpr_workgroup_info 0
		.amdhsa_system_vgpr_workitem_id 1
		.amdhsa_next_free_vgpr 96
		.amdhsa_next_free_sgpr 44
		.amdhsa_accum_offset 96
		.amdhsa_reserve_vcc 1
		.amdhsa_float_round_mode_32 0
		.amdhsa_float_round_mode_16_64 0
		.amdhsa_float_denorm_mode_32 3
		.amdhsa_float_denorm_mode_16_64 3
		.amdhsa_dx10_clamp 1
		.amdhsa_ieee_mode 1
		.amdhsa_fp16_overflow 0
		.amdhsa_tg_split 0
		.amdhsa_exception_fp_ieee_invalid_op 0
		.amdhsa_exception_fp_denorm_src 0
		.amdhsa_exception_fp_ieee_div_zero 0
		.amdhsa_exception_fp_ieee_overflow 0
		.amdhsa_exception_fp_ieee_underflow 0
		.amdhsa_exception_fp_ieee_inexact 0
		.amdhsa_exception_int_div_zero 0
	.end_amdhsa_kernel
	.section	.text._ZN2at6native12_GLOBAL__N_135GammaBetaBackwardCUDAKernelTemplateIN3c104HalfEfLj64ELj1ELj8ELb1ELb0ELb1EEEvllPKT_S7_PKT0_SA_PS5_SB_,"axG",@progbits,_ZN2at6native12_GLOBAL__N_135GammaBetaBackwardCUDAKernelTemplateIN3c104HalfEfLj64ELj1ELj8ELb1ELb0ELb1EEEvllPKT_S7_PKT0_SA_PS5_SB_,comdat
.Lfunc_end168:
	.size	_ZN2at6native12_GLOBAL__N_135GammaBetaBackwardCUDAKernelTemplateIN3c104HalfEfLj64ELj1ELj8ELb1ELb0ELb1EEEvllPKT_S7_PKT0_SA_PS5_SB_, .Lfunc_end168-_ZN2at6native12_GLOBAL__N_135GammaBetaBackwardCUDAKernelTemplateIN3c104HalfEfLj64ELj1ELj8ELb1ELb0ELb1EEEvllPKT_S7_PKT0_SA_PS5_SB_
                                        ; -- End function
	.section	.AMDGPU.csdata,"",@progbits
; Kernel info:
; codeLenInByte = 6176
; NumSgprs: 50
; NumVgprs: 96
; NumAgprs: 0
; TotalNumVgprs: 96
; ScratchSize: 0
; MemoryBound: 0
; FloatMode: 240
; IeeeMode: 1
; LDSByteSize: 0 bytes/workgroup (compile time only)
; SGPRBlocks: 6
; VGPRBlocks: 11
; NumSGPRsForWavesPerEU: 50
; NumVGPRsForWavesPerEU: 96
; AccumOffset: 96
; Occupancy: 5
; WaveLimiterHint : 0
; COMPUTE_PGM_RSRC2:SCRATCH_EN: 0
; COMPUTE_PGM_RSRC2:USER_SGPR: 2
; COMPUTE_PGM_RSRC2:TRAP_HANDLER: 0
; COMPUTE_PGM_RSRC2:TGID_X_EN: 1
; COMPUTE_PGM_RSRC2:TGID_Y_EN: 1
; COMPUTE_PGM_RSRC2:TGID_Z_EN: 0
; COMPUTE_PGM_RSRC2:TIDIG_COMP_CNT: 1
; COMPUTE_PGM_RSRC3_GFX90A:ACCUM_OFFSET: 23
; COMPUTE_PGM_RSRC3_GFX90A:TG_SPLIT: 0
	.section	.text._ZN2at6native12_GLOBAL__N_135GammaBetaBackwardCUDAKernelTemplateIN3c104HalfEfLj64ELj8ELj64ELb0ELb1ELb1EEEvllPKT_S7_PKT0_SA_PS5_SB_,"axG",@progbits,_ZN2at6native12_GLOBAL__N_135GammaBetaBackwardCUDAKernelTemplateIN3c104HalfEfLj64ELj8ELj64ELb0ELb1ELb1EEEvllPKT_S7_PKT0_SA_PS5_SB_,comdat
	.globl	_ZN2at6native12_GLOBAL__N_135GammaBetaBackwardCUDAKernelTemplateIN3c104HalfEfLj64ELj8ELj64ELb0ELb1ELb1EEEvllPKT_S7_PKT0_SA_PS5_SB_ ; -- Begin function _ZN2at6native12_GLOBAL__N_135GammaBetaBackwardCUDAKernelTemplateIN3c104HalfEfLj64ELj8ELj64ELb0ELb1ELb1EEEvllPKT_S7_PKT0_SA_PS5_SB_
	.p2align	8
	.type	_ZN2at6native12_GLOBAL__N_135GammaBetaBackwardCUDAKernelTemplateIN3c104HalfEfLj64ELj8ELj64ELb0ELb1ELb1EEEvllPKT_S7_PKT0_SA_PS5_SB_,@function
_ZN2at6native12_GLOBAL__N_135GammaBetaBackwardCUDAKernelTemplateIN3c104HalfEfLj64ELj8ELj64ELb0ELb1ELb1EEEvllPKT_S7_PKT0_SA_PS5_SB_: ; @_ZN2at6native12_GLOBAL__N_135GammaBetaBackwardCUDAKernelTemplateIN3c104HalfEfLj64ELj8ELj64ELb0ELb1ELb1EEEvllPKT_S7_PKT0_SA_PS5_SB_
; %bb.0:
	s_load_dwordx4 s[4:7], s[0:1], 0x0
	s_lshl_b32 s14, s3, 6
	s_mov_b32 s15, 0
	v_bfe_u32 v12, v0, 10, 10
	s_waitcnt lgkmcnt(0)
	v_mov_b64_e32 v[2:3], s[4:5]
	v_cmp_lt_i64_e32 vcc, s[14:15], v[2:3]
	s_cbranch_vccnz .LBB169_2
; %bb.1:
	s_mov_b64 s[8:9], 0
	v_bfe_u32 v2, v0, 10, 10
	s_branch .LBB169_3
.LBB169_2:
	s_mov_b64 s[8:9], -1
                                        ; implicit-def: $vgpr2
.LBB169_3:
	s_load_dwordx2 s[12:13], s[0:1], 0x30
	v_and_b32_e32 v10, 0x3ff, v0
	s_andn2_b64 vcc, exec, s[8:9]
	v_mov_b32_e32 v1, s15
	v_mbcnt_lo_u32_b32 v11, -1, 0
	s_cbranch_vccnz .LBB169_11
; %bb.4:
	s_load_dword s3, s[0:1], 0x4c
	s_load_dword s16, s[0:1], 0x44
	s_load_dwordx2 s[18:19], s[0:1], 0x28
	s_load_dwordx4 s[8:11], s[0:1], 0x10
	v_lshlrev_b32_e32 v0, 3, v12
	s_waitcnt lgkmcnt(0)
	s_and_b32 s0, s3, 0xffff
	v_mad_u32_u24 v1, v12, s0, v10
	v_and_b32_e32 v2, 63, v1
	v_mov_b32_e32 v1, 0
	v_mov_b32_e32 v3, v1
	v_lshl_add_u64 v[8:9], v[0:1], 0, s[14:15]
	v_cmp_gt_u32_e64 s[0:1], 8, v2
	v_mbcnt_hi_u32_b32 v4, -1, v11
	s_lshl_b32 s16, s16, 6
	v_lshl_add_u64 v[2:3], v[8:9], 0, v[2:3]
	v_mul_lo_u32 v0, s7, v8
	v_mul_lo_u32 v21, s6, v9
	v_mad_u64_u32 v[8:9], s[20:21], s6, v8, 0
	v_lshl_add_u32 v6, s2, 6, v10
	v_mov_b32_e32 v7, v1
	v_lshlrev_b32_e32 v4, 2, v4
	s_mul_i32 s3, s7, s16
	s_mul_hi_u32 s20, s6, s16
	s_mov_b32 s17, 0
	v_and_b32_e32 v13, 0x100, v4
	v_add3_u32 v9, v9, v21, v0
	v_lshlrev_b64 v[6:7], 1, v[6:7]
	s_add_i32 s21, s20, s3
	s_mul_i32 s20, s6, s16
	v_or_b32_e32 v14, 4, v13
	v_or_b32_e32 v15, 8, v13
	;; [unrolled: 1-line block ×7, first 2 shown]
	v_lshl_add_u64 v[4:5], v[2:3], 2, s[18:19]
	s_lshl_b64 s[18:19], s[16:17], 2
	v_lshl_add_u64 v[6:7], v[8:9], 1, v[6:7]
	s_lshl_b64 s[20:21], s[20:21], 1
	s_lshl_b64 s[6:7], s[6:7], 1
	v_mov_b64_e32 v[8:9], s[4:5]
	s_branch .LBB169_7
.LBB169_5:                              ;   in Loop: Header=BB169_7 Depth=1
	s_or_b64 exec, exec, s[24:25]
.LBB169_6:                              ;   in Loop: Header=BB169_7 Depth=1
	s_or_b64 exec, exec, s[22:23]
	v_lshl_add_u64 v[22:23], s[8:9], 0, v[6:7]
	global_load_ushort v21, v[22:23], off
	v_lshl_add_u64 v[24:25], s[10:11], 0, v[6:7]
	v_lshl_add_u64 v[22:23], v[22:23], 0, s[6:7]
	global_load_ushort v26, v[24:25], off
	global_load_ushort v27, v[22:23], off
	v_lshl_add_u64 v[24:25], v[24:25], 0, s[6:7]
	v_lshl_add_u64 v[22:23], v[22:23], 0, s[6:7]
	global_load_ushort v28, v[24:25], off
	;; [unrolled: 4-line block ×7, first 2 shown]
	global_load_ushort v39, v[22:23], off
	v_lshl_add_u64 v[22:23], v[24:25], 0, s[6:7]
	global_load_ushort v22, v[22:23], off
	s_waitcnt vmcnt(16)
	ds_bpermute_b32 v23, v13, v0
	ds_bpermute_b32 v24, v14, v0
	;; [unrolled: 1-line block ×8, first 2 shown]
	s_add_u32 s14, s14, s16
	s_addc_u32 s15, s15, 0
	v_cmp_lt_i64_e32 vcc, s[14:15], v[8:9]
	v_lshl_add_u64 v[4:5], v[4:5], 0, s[18:19]
	v_lshl_add_u64 v[2:3], v[2:3], 0, s[16:17]
	;; [unrolled: 1-line block ×3, first 2 shown]
	s_and_b64 vcc, exec, vcc
	s_waitcnt vmcnt(15)
	v_cvt_f32_f16_e32 v21, v21
	s_waitcnt vmcnt(14)
	v_cvt_f32_f16_e32 v26, v26
	;; [unrolled: 2-line block ×5, first 2 shown]
	v_mul_f32_e32 v21, v21, v26
	s_waitcnt lgkmcnt(7)
	v_fmac_f32_e32 v1, v21, v23
	s_waitcnt vmcnt(10)
	v_cvt_f32_f16_e32 v30, v30
	s_waitcnt vmcnt(9)
	v_cvt_f32_f16_e32 v31, v31
	v_mul_f32_e32 v21, v27, v28
	s_waitcnt lgkmcnt(6)
	v_fmac_f32_e32 v1, v21, v24
	s_waitcnt vmcnt(8)
	v_cvt_f32_f16_e32 v32, v32
	s_waitcnt vmcnt(7)
	v_cvt_f32_f16_e32 v33, v33
	;; [unrolled: 7-line block ×5, first 2 shown]
	v_mul_f32_e32 v21, v26, v35
	s_waitcnt vmcnt(0)
	v_cvt_f32_f16_e32 v22, v22
	s_waitcnt lgkmcnt(2)
	v_fmac_f32_e32 v1, v21, v42
	v_mul_f32_e32 v21, v23, v27
	s_waitcnt lgkmcnt(1)
	v_fmac_f32_e32 v1, v21, v43
	v_mul_f32_e32 v21, v24, v22
	s_waitcnt lgkmcnt(0)
	v_fmac_f32_e32 v1, v21, v0
	s_cbranch_vccz .LBB169_10
.LBB169_7:                              ; =>This Inner Loop Header: Depth=1
	v_mov_b32_e32 v0, 0
	s_and_saveexec_b64 s[22:23], s[0:1]
	s_cbranch_execz .LBB169_6
; %bb.8:                                ;   in Loop: Header=BB169_7 Depth=1
	v_cmp_gt_i64_e32 vcc, s[4:5], v[2:3]
	v_mov_b32_e32 v0, 0
	s_and_saveexec_b64 s[24:25], vcc
	s_cbranch_execz .LBB169_5
; %bb.9:                                ;   in Loop: Header=BB169_7 Depth=1
	global_load_dword v0, v[4:5], off
	s_branch .LBB169_5
.LBB169_10:
	v_mov_b32_e32 v2, v12
.LBB169_11:
	s_movk_i32 s0, 0x41
	v_mad_u32_u24 v0, v2, s0, v10
	v_lshl_add_u32 v0, v0, 2, 0
	ds_write_b32 v0, v1
	v_mov_b32_e32 v1, 0
	ds_write_b32 v0, v1 offset:2080
	v_lshrrev_b32_e32 v0, 6, v10
	v_add_u32_e32 v3, v0, v2
	s_mov_b32 s3, 0
	v_cmp_gt_u32_e32 vcc, 64, v3
	s_waitcnt lgkmcnt(0)
	s_barrier
	s_and_saveexec_b64 s[0:1], vcc
	s_cbranch_execz .LBB169_18
; %bb.12:
	v_mbcnt_hi_u32_b32 v6, -1, v11
	v_and_b32_e32 v4, 63, v10
	v_and_b32_e32 v5, 64, v6
	s_cmp_lg_u64 s[12:13], 0
	v_cmp_gt_u32_e32 vcc, 8, v4
	v_add_u32_e32 v7, 64, v5
	v_cmp_eq_u32_e64 s[0:1], 0, v10
	s_cselect_b64 s[6:7], -1, 0
	v_mul_u32_u24_e32 v8, 0x104, v4
	v_xor_b32_e32 v4, 4, v6
	s_and_b64 s[6:7], s[0:1], s[6:7]
	v_cmp_lt_i32_e64 s[0:1], v4, v7
	v_xor_b32_e32 v5, 2, v6
	v_xor_b32_e32 v9, 1, v6
	v_cndmask_b32_e64 v4, v6, v4, s[0:1]
	v_cmp_lt_i32_e64 s[0:1], v5, v7
	s_mov_b64 s[4:5], 0
	v_lshlrev_b32_e32 v4, 2, v4
	v_cndmask_b32_e64 v5, v6, v5, s[0:1]
	v_cmp_lt_i32_e64 s[0:1], v9, v7
	v_lshlrev_b32_e32 v7, 2, v3
	v_add3_u32 v7, v8, v7, 0
	v_cndmask_b32_e64 v6, v6, v9, s[0:1]
	s_lshl_b64 s[0:1], s[2:3], 7
	v_add_u32_e32 v8, -8, v3
	v_mov_b32_e32 v3, v1
	s_add_u32 s0, s12, s0
	v_lshl_add_u64 v[0:1], v[0:1], 0, v[2:3]
	s_addc_u32 s1, s13, s1
	v_lshlrev_b32_e32 v5, 2, v5
	v_lshlrev_b32_e32 v6, 2, v6
	v_lshl_add_u64 v[0:1], v[0:1], 1, s[0:1]
                                        ; implicit-def: $vgpr2
	s_branch .LBB169_14
.LBB169_13:                             ;   in Loop: Header=BB169_14 Depth=1
	s_or_b64 exec, exec, s[0:1]
	v_add_u32_e32 v8, 8, v8
	v_cmp_lt_u32_e64 s[0:1], 55, v8
	v_add_u32_e32 v7, 32, v7
	s_or_b64 s[4:5], s[0:1], s[4:5]
	v_lshl_add_u64 v[0:1], v[0:1], 0, 16
	s_andn2_b64 exec, exec, s[4:5]
	s_cbranch_execz .LBB169_18
.LBB169_14:                             ; =>This Inner Loop Header: Depth=1
	s_and_saveexec_b64 s[0:1], vcc
	s_cbranch_execz .LBB169_16
; %bb.15:                               ;   in Loop: Header=BB169_14 Depth=1
	ds_read_b32 v2, v7
.LBB169_16:                             ;   in Loop: Header=BB169_14 Depth=1
	s_or_b64 exec, exec, s[0:1]
	s_waitcnt lgkmcnt(0)
	ds_bpermute_b32 v3, v4, v2
	s_waitcnt lgkmcnt(0)
	v_add_f32_e32 v2, v2, v3
	ds_bpermute_b32 v3, v5, v2
	s_waitcnt lgkmcnt(0)
	v_add_f32_e32 v2, v2, v3
	;; [unrolled: 3-line block ×3, first 2 shown]
	s_and_saveexec_b64 s[0:1], s[6:7]
	s_cbranch_execz .LBB169_13
; %bb.17:                               ;   in Loop: Header=BB169_14 Depth=1
	v_cvt_f16_f32_e32 v3, v2
	global_store_short v[0:1], v3, off
	s_branch .LBB169_13
.LBB169_18:
	s_endpgm
	.section	.rodata,"a",@progbits
	.p2align	6, 0x0
	.amdhsa_kernel _ZN2at6native12_GLOBAL__N_135GammaBetaBackwardCUDAKernelTemplateIN3c104HalfEfLj64ELj8ELj64ELb0ELb1ELb1EEEvllPKT_S7_PKT0_SA_PS5_SB_
		.amdhsa_group_segment_fixed_size 0
		.amdhsa_private_segment_fixed_size 0
		.amdhsa_kernarg_size 320
		.amdhsa_user_sgpr_count 2
		.amdhsa_user_sgpr_dispatch_ptr 0
		.amdhsa_user_sgpr_queue_ptr 0
		.amdhsa_user_sgpr_kernarg_segment_ptr 1
		.amdhsa_user_sgpr_dispatch_id 0
		.amdhsa_user_sgpr_kernarg_preload_length 0
		.amdhsa_user_sgpr_kernarg_preload_offset 0
		.amdhsa_user_sgpr_private_segment_size 0
		.amdhsa_uses_dynamic_stack 0
		.amdhsa_enable_private_segment 0
		.amdhsa_system_sgpr_workgroup_id_x 1
		.amdhsa_system_sgpr_workgroup_id_y 1
		.amdhsa_system_sgpr_workgroup_id_z 0
		.amdhsa_system_sgpr_workgroup_info 0
		.amdhsa_system_vgpr_workitem_id 1
		.amdhsa_next_free_vgpr 44
		.amdhsa_next_free_sgpr 26
		.amdhsa_accum_offset 44
		.amdhsa_reserve_vcc 1
		.amdhsa_float_round_mode_32 0
		.amdhsa_float_round_mode_16_64 0
		.amdhsa_float_denorm_mode_32 3
		.amdhsa_float_denorm_mode_16_64 3
		.amdhsa_dx10_clamp 1
		.amdhsa_ieee_mode 1
		.amdhsa_fp16_overflow 0
		.amdhsa_tg_split 0
		.amdhsa_exception_fp_ieee_invalid_op 0
		.amdhsa_exception_fp_denorm_src 0
		.amdhsa_exception_fp_ieee_div_zero 0
		.amdhsa_exception_fp_ieee_overflow 0
		.amdhsa_exception_fp_ieee_underflow 0
		.amdhsa_exception_fp_ieee_inexact 0
		.amdhsa_exception_int_div_zero 0
	.end_amdhsa_kernel
	.section	.text._ZN2at6native12_GLOBAL__N_135GammaBetaBackwardCUDAKernelTemplateIN3c104HalfEfLj64ELj8ELj64ELb0ELb1ELb1EEEvllPKT_S7_PKT0_SA_PS5_SB_,"axG",@progbits,_ZN2at6native12_GLOBAL__N_135GammaBetaBackwardCUDAKernelTemplateIN3c104HalfEfLj64ELj8ELj64ELb0ELb1ELb1EEEvllPKT_S7_PKT0_SA_PS5_SB_,comdat
.Lfunc_end169:
	.size	_ZN2at6native12_GLOBAL__N_135GammaBetaBackwardCUDAKernelTemplateIN3c104HalfEfLj64ELj8ELj64ELb0ELb1ELb1EEEvllPKT_S7_PKT0_SA_PS5_SB_, .Lfunc_end169-_ZN2at6native12_GLOBAL__N_135GammaBetaBackwardCUDAKernelTemplateIN3c104HalfEfLj64ELj8ELj64ELb0ELb1ELb1EEEvllPKT_S7_PKT0_SA_PS5_SB_
                                        ; -- End function
	.section	.AMDGPU.csdata,"",@progbits
; Kernel info:
; codeLenInByte = 1384
; NumSgprs: 32
; NumVgprs: 44
; NumAgprs: 0
; TotalNumVgprs: 44
; ScratchSize: 0
; MemoryBound: 0
; FloatMode: 240
; IeeeMode: 1
; LDSByteSize: 0 bytes/workgroup (compile time only)
; SGPRBlocks: 3
; VGPRBlocks: 5
; NumSGPRsForWavesPerEU: 32
; NumVGPRsForWavesPerEU: 44
; AccumOffset: 44
; Occupancy: 8
; WaveLimiterHint : 0
; COMPUTE_PGM_RSRC2:SCRATCH_EN: 0
; COMPUTE_PGM_RSRC2:USER_SGPR: 2
; COMPUTE_PGM_RSRC2:TRAP_HANDLER: 0
; COMPUTE_PGM_RSRC2:TGID_X_EN: 1
; COMPUTE_PGM_RSRC2:TGID_Y_EN: 1
; COMPUTE_PGM_RSRC2:TGID_Z_EN: 0
; COMPUTE_PGM_RSRC2:TIDIG_COMP_CNT: 1
; COMPUTE_PGM_RSRC3_GFX90A:ACCUM_OFFSET: 10
; COMPUTE_PGM_RSRC3_GFX90A:TG_SPLIT: 0
	.section	.text._ZN2at6native12_GLOBAL__N_135GammaBetaBackwardCUDAKernelTemplateIN3c104HalfEfLj64ELj8ELj64ELb0ELb0ELb1EEEvllPKT_S7_PKT0_SA_PS5_SB_,"axG",@progbits,_ZN2at6native12_GLOBAL__N_135GammaBetaBackwardCUDAKernelTemplateIN3c104HalfEfLj64ELj8ELj64ELb0ELb0ELb1EEEvllPKT_S7_PKT0_SA_PS5_SB_,comdat
	.globl	_ZN2at6native12_GLOBAL__N_135GammaBetaBackwardCUDAKernelTemplateIN3c104HalfEfLj64ELj8ELj64ELb0ELb0ELb1EEEvllPKT_S7_PKT0_SA_PS5_SB_ ; -- Begin function _ZN2at6native12_GLOBAL__N_135GammaBetaBackwardCUDAKernelTemplateIN3c104HalfEfLj64ELj8ELj64ELb0ELb0ELb1EEEvllPKT_S7_PKT0_SA_PS5_SB_
	.p2align	8
	.type	_ZN2at6native12_GLOBAL__N_135GammaBetaBackwardCUDAKernelTemplateIN3c104HalfEfLj64ELj8ELj64ELb0ELb0ELb1EEEvllPKT_S7_PKT0_SA_PS5_SB_,@function
_ZN2at6native12_GLOBAL__N_135GammaBetaBackwardCUDAKernelTemplateIN3c104HalfEfLj64ELj8ELj64ELb0ELb0ELb1EEEvllPKT_S7_PKT0_SA_PS5_SB_: ; @_ZN2at6native12_GLOBAL__N_135GammaBetaBackwardCUDAKernelTemplateIN3c104HalfEfLj64ELj8ELj64ELb0ELb0ELb1EEEvllPKT_S7_PKT0_SA_PS5_SB_
; %bb.0:
	s_load_dwordx8 s[8:15], s[0:1], 0x0
	s_load_dwordx2 s[24:25], s[0:1], 0x28
	s_lshl_b32 s33, s2, 6
	s_or_b32 s26, s33, 63
	s_mov_b32 s27, 0
	s_waitcnt lgkmcnt(0)
	v_mov_b64_e32 v[2:3], s[10:11]
	v_cmp_ge_i64_e32 vcc, s[26:27], v[2:3]
	s_lshl_b32 s26, s3, 6
	v_mov_b64_e32 v[2:3], s[8:9]
	v_cmp_lt_i64_e64 s[4:5], s[26:27], v[2:3]
	s_nop 1
	v_cndmask_b32_e64 v1, 0, 1, s[4:5]
	v_cmp_ne_u32_e64 s[4:5], 1, v1
	s_cbranch_vccz .LBB170_49
; %bb.1:
	s_and_b64 vcc, exec, s[4:5]
	v_mov_b32_e32 v4, 0
	s_cbranch_vccnz .LBB170_50
; %bb.2:
	v_mov_b32_e32 v3, 0
	v_bfe_u32 v64, v0, 10, 10
	s_load_dword s3, s[0:1], 0x44
	v_lshlrev_b32_e32 v26, 3, v64
	v_mov_b32_e32 v27, v3
	v_and_b32_e32 v1, 0x3ff, v0
	v_lshl_add_u64 v[4:5], v[26:27], 0, s[26:27]
	v_add_u32_e32 v2, s33, v1
	v_lshl_add_u64 v[6:7], v[4:5], 0, 7
	s_add_u32 s28, s0, 64
	v_cmp_gt_i64_e64 s[6:7], s[10:11], v[2:3]
	v_lshlrev_b64 v[28:29], 1, v[2:3]
	v_mul_lo_u32 v2, s11, v6
	v_mul_lo_u32 v8, s10, v7
	v_mad_u64_u32 v[6:7], s[18:19], s10, v6, 0
	s_addc_u32 s29, s1, 0
	s_waitcnt lgkmcnt(0)
	s_lshl_b32 s3, s3, 6
	v_add3_u32 v7, v7, v8, v2
	v_lshlrev_b64 v[6:7], 1, v[6:7]
	s_mul_i32 s17, s11, s3
	s_mul_hi_u32 s18, s10, s3
	v_lshl_add_u64 v[30:31], s[12:13], 0, v[6:7]
	s_add_i32 s19, s18, s17
	s_mul_i32 s18, s10, s3
	v_lshl_add_u64 v[32:33], s[14:15], 0, v[6:7]
	v_lshl_add_u64 v[6:7], v[4:5], 0, 6
	s_lshl_b64 s[30:31], s[18:19], 1
	v_mul_lo_u32 v2, s11, v6
	v_mul_lo_u32 v8, s10, v7
	v_mad_u64_u32 v[6:7], s[18:19], s10, v6, 0
	v_add3_u32 v7, v7, v8, v2
	v_lshlrev_b64 v[6:7], 1, v[6:7]
	v_lshl_add_u64 v[34:35], s[12:13], 0, v[6:7]
	v_lshl_add_u64 v[36:37], s[14:15], 0, v[6:7]
	v_lshl_add_u64 v[6:7], v[4:5], 0, 5
	v_mul_lo_u32 v2, s11, v6
	v_mul_lo_u32 v8, s10, v7
	v_mad_u64_u32 v[6:7], s[18:19], s10, v6, 0
	v_add3_u32 v7, v7, v8, v2
	v_lshlrev_b64 v[6:7], 1, v[6:7]
	v_lshl_add_u64 v[38:39], s[12:13], 0, v[6:7]
	v_lshl_add_u64 v[40:41], s[14:15], 0, v[6:7]
	v_lshl_add_u64 v[6:7], v[4:5], 0, 4
	;; [unrolled: 8-line block ×4, first 2 shown]
	v_mul_lo_u32 v2, s11, v6
	v_mul_lo_u32 v8, s10, v7
	v_mad_u64_u32 v[6:7], s[18:19], s10, v6, 0
	v_add3_u32 v7, v7, v8, v2
	v_lshlrev_b64 v[6:7], 1, v[6:7]
	v_lshl_add_u64 v[50:51], s[12:13], 0, v[6:7]
	v_lshl_add_u64 v[52:53], s[14:15], 0, v[6:7]
	v_mov_b64_e32 v[6:7], s[10:11]
	v_mad_u64_u32 v[6:7], s[18:19], s10, v4, v[6:7]
	v_mul_lo_u32 v2, s10, v5
	v_mul_lo_u32 v8, s11, v4
	v_mad_u64_u32 v[4:5], s[18:19], s10, v4, 0
	v_add3_u32 v7, v8, v7, v2
	v_add3_u32 v5, v5, v2, v8
	v_mbcnt_lo_u32_b32 v2, -1, 0
	v_mbcnt_hi_u32_b32 v2, -1, v2
	v_lshlrev_b64 v[6:7], 1, v[6:7]
	s_add_u32 s34, s26, 63
	v_lshlrev_b64 v[4:5], 1, v[4:5]
	s_movk_i32 s36, 0xffc1
	s_movk_i32 s38, 0xffc2
	;; [unrolled: 1-line block ×8, first 2 shown]
	v_lshlrev_b32_e32 v2, 2, v2
	s_mov_b32 s16, 0
	v_lshl_add_u64 v[54:55], s[12:13], 0, v[6:7]
	v_lshl_add_u64 v[56:57], s[14:15], 0, v[6:7]
	s_addc_u32 s35, 0, 0
	v_lshl_add_u64 v[58:59], s[12:13], 0, v[4:5]
	v_lshl_add_u64 v[60:61], s[14:15], 0, v[4:5]
	s_mov_b32 s37, -1
	s_mov_b32 s39, -1
	;; [unrolled: 1-line block ×8, first 2 shown]
	v_and_b32_e32 v65, 0x100, v2
	s_mov_b64 s[52:53], s[26:27]
	v_mov_b32_e32 v66, 0
.LBB170_3:                              ; =>This Inner Loop Header: Depth=1
	v_mov_b64_e32 v[4:5], s[8:9]
	v_cmp_ge_i64_e32 vcc, s[34:35], v[4:5]
	v_lshl_add_u64 v[62:63], v[26:27], 0, s[34:35]
	s_cbranch_vccz .LBB170_25
; %bb.4:                                ;   in Loop: Header=BB170_3 Depth=1
	s_load_dword s17, s[28:29], 0xc
	v_mov_b32_e32 v67, 0
	s_waitcnt lgkmcnt(0)
	s_and_b32 s17, s17, 0xffff
	v_mad_u32_u24 v2, v64, s17, v1
	v_and_b32_e32 v2, 63, v2
	v_cmp_gt_u32_e32 vcc, 8, v2
	s_and_saveexec_b64 s[18:19], vcc
	s_cbranch_execz .LBB170_8
; %bb.5:                                ;   in Loop: Header=BB170_3 Depth=1
	v_lshl_add_u64 v[4:5], v[62:63], 0, v[2:3]
	v_lshl_add_u64 v[4:5], v[4:5], 0, s[36:37]
	v_cmp_gt_i64_e32 vcc, s[8:9], v[4:5]
	v_mov_b32_e32 v67, 0
	s_and_saveexec_b64 s[20:21], vcc
	s_cbranch_execz .LBB170_7
; %bb.6:                                ;   in Loop: Header=BB170_3 Depth=1
	v_lshl_add_u64 v[4:5], v[4:5], 2, s[24:25]
	global_load_dword v67, v[4:5], off
.LBB170_7:                              ;   in Loop: Header=BB170_3 Depth=1
	s_or_b64 exec, exec, s[20:21]
.LBB170_8:                              ;   in Loop: Header=BB170_3 Depth=1
	s_or_b64 exec, exec, s[18:19]
	s_mov_b32 s17, s16
	s_mov_b32 s18, s16
	;; [unrolled: 1-line block ×7, first 2 shown]
	v_mov_b64_e32 v[10:11], s[16:17]
	v_lshl_add_u64 v[4:5], v[62:63], 0, s[36:37]
	v_mov_b64_e32 v[16:17], s[22:23]
	v_cmp_gt_i64_e32 vcc, s[8:9], v[4:5]
	v_mov_b64_e32 v[12:13], s[18:19]
	v_mov_b64_e32 v[14:15], s[20:21]
	;; [unrolled: 1-line block ×3, first 2 shown]
	s_and_b64 s[54:55], s[6:7], vcc
	v_mov_b64_e32 v[22:23], v[14:15]
	v_mov_b64_e32 v[20:21], v[12:13]
	;; [unrolled: 1-line block ×3, first 2 shown]
	s_and_saveexec_b64 s[18:19], s[54:55]
	s_cbranch_execz .LBB170_10
; %bb.9:                                ;   in Loop: Header=BB170_3 Depth=1
	v_lshl_add_u64 v[4:5], v[58:59], 0, v[28:29]
	global_load_ushort v2, v[4:5], off
	v_lshl_add_u64 v[4:5], v[60:61], 0, v[28:29]
	global_load_ushort v10, v[4:5], off
	v_mov_b32_e32 v8, v3
	v_mov_b32_e32 v9, v3
	;; [unrolled: 1-line block ×13, first 2 shown]
	s_waitcnt vmcnt(1)
	v_cvt_f32_f16_e32 v2, v2
	v_mov_b64_e32 v[24:25], v[8:9]
	s_waitcnt vmcnt(0)
	v_cvt_f32_f16_e32 v10, v10
	v_mov_b64_e32 v[22:23], v[6:7]
	v_mov_b64_e32 v[20:21], v[4:5]
	;; [unrolled: 1-line block ×3, first 2 shown]
.LBB170_10:                             ;   in Loop: Header=BB170_3 Depth=1
	s_or_b64 exec, exec, s[18:19]
	v_lshl_add_u64 v[4:5], v[62:63], 0, s[38:39]
	v_cmp_gt_i64_e32 vcc, s[8:9], v[4:5]
	s_and_b64 s[20:21], s[6:7], vcc
	s_and_saveexec_b64 s[18:19], s[20:21]
	s_cbranch_execz .LBB170_12
; %bb.11:                               ;   in Loop: Header=BB170_3 Depth=1
	v_lshl_add_u64 v[4:5], v[54:55], 0, v[28:29]
	global_load_ushort v2, v[4:5], off
	v_lshl_add_u64 v[4:5], v[56:57], 0, v[28:29]
	global_load_ushort v4, v[4:5], off
	s_waitcnt vmcnt(1)
	v_cvt_f32_f16_e32 v19, v2
	s_waitcnt vmcnt(0)
	v_cvt_f32_f16_e32 v11, v4
.LBB170_12:                             ;   in Loop: Header=BB170_3 Depth=1
	s_or_b64 exec, exec, s[18:19]
	v_lshl_add_u64 v[4:5], v[62:63], 0, s[40:41]
	v_cmp_gt_i64_e32 vcc, s[8:9], v[4:5]
	s_and_b64 s[20:21], s[6:7], vcc
	s_and_saveexec_b64 s[18:19], s[20:21]
	s_cbranch_execz .LBB170_14
; %bb.13:                               ;   in Loop: Header=BB170_3 Depth=1
	v_lshl_add_u64 v[4:5], v[50:51], 0, v[28:29]
	global_load_ushort v2, v[4:5], off
	v_lshl_add_u64 v[4:5], v[52:53], 0, v[28:29]
	global_load_ushort v4, v[4:5], off
	s_waitcnt vmcnt(1)
	v_cvt_f32_f16_e32 v20, v2
	s_waitcnt vmcnt(0)
	v_cvt_f32_f16_e32 v12, v4
.LBB170_14:                             ;   in Loop: Header=BB170_3 Depth=1
	;; [unrolled: 16-line block ×7, first 2 shown]
	s_or_b64 exec, exec, s[18:19]
	s_waitcnt vmcnt(0)
	ds_bpermute_b32 v4, v65, v67 offset:4
	ds_bpermute_b32 v5, v65, v67 offset:8
	ds_bpermute_b32 v2, v65, v67
	v_mul_f32_e32 v8, v10, v18
	v_pk_mul_f32 v[10:11], v[10:11], v[18:19]
	v_pk_mul_f32 v[12:13], v[12:13], v[20:21]
	v_mov_b32_e32 v10, v11
	v_mov_b32_e32 v11, v12
	s_waitcnt lgkmcnt(1)
	v_pk_mul_f32 v[4:5], v[10:11], v[4:5]
	ds_bpermute_b32 v10, v65, v67 offset:12
	ds_bpermute_b32 v11, v65, v67 offset:16
	s_waitcnt lgkmcnt(2)
	v_fma_f32 v2, v8, v2, v66
	v_pk_mul_f32 v[8:9], v[14:15], v[22:23]
	v_add_f32_e32 v2, v2, v4
	v_add_f32_e32 v2, v2, v5
	v_mov_b32_e32 v4, v13
	v_mov_b32_e32 v5, v8
	s_waitcnt lgkmcnt(0)
	v_pk_mul_f32 v[4:5], v[4:5], v[10:11]
	ds_bpermute_b32 v10, v65, v67 offset:20
	ds_bpermute_b32 v11, v65, v67 offset:24
	v_pk_mul_f32 v[6:7], v[16:17], v[24:25]
	v_add_f32_e32 v2, v2, v4
	v_add_f32_e32 v7, v2, v5
	ds_bpermute_b32 v2, v65, v67 offset:28
	v_mov_b32_e32 v4, v9
	v_mov_b32_e32 v5, v6
	s_waitcnt lgkmcnt(1)
	v_pk_mul_f32 v[4:5], v[4:5], v[10:11]
	s_nop 0
	v_add_f32_e32 v4, v7, v4
	v_add_f32_e32 v4, v4, v5
	s_branch .LBB170_40
.LBB170_25:                             ;   in Loop: Header=BB170_3 Depth=1
                                        ; implicit-def: $vgpr4
                                        ; implicit-def: $vgpr10_vgpr11_vgpr12_vgpr13_vgpr14_vgpr15_vgpr16_vgpr17
                                        ; implicit-def: $vgpr18_vgpr19_vgpr20_vgpr21_vgpr22_vgpr23_vgpr24_vgpr25
                                        ; implicit-def: $vgpr2
	s_cbranch_execz .LBB170_40
; %bb.26:                               ;   in Loop: Header=BB170_3 Depth=1
	s_load_dword s17, s[28:29], 0x0
	v_mov_b32_e32 v67, 0
	s_waitcnt lgkmcnt(0)
	s_cmp_lt_u32 s2, s17
	s_cselect_b32 s17, 12, 18
	s_add_u32 s18, s28, s17
	s_addc_u32 s19, s29, 0
	global_load_ushort v2, v3, s[18:19]
	s_waitcnt vmcnt(0)
	v_mad_u32_u24 v2, v64, v2, v1
	v_and_b32_e32 v2, 63, v2
	v_cmp_gt_u32_e32 vcc, 8, v2
	s_and_saveexec_b64 s[18:19], vcc
	s_cbranch_execz .LBB170_30
; %bb.27:                               ;   in Loop: Header=BB170_3 Depth=1
	v_lshl_add_u64 v[4:5], v[62:63], 0, v[2:3]
	v_lshl_add_u64 v[4:5], v[4:5], 0, s[36:37]
	v_cmp_gt_i64_e32 vcc, s[8:9], v[4:5]
	v_mov_b32_e32 v67, 0
	s_and_saveexec_b64 s[20:21], vcc
	s_cbranch_execz .LBB170_29
; %bb.28:                               ;   in Loop: Header=BB170_3 Depth=1
	v_lshl_add_u64 v[4:5], v[4:5], 2, s[24:25]
	global_load_dword v67, v[4:5], off
.LBB170_29:                             ;   in Loop: Header=BB170_3 Depth=1
	s_or_b64 exec, exec, s[20:21]
.LBB170_30:                             ;   in Loop: Header=BB170_3 Depth=1
	s_or_b64 exec, exec, s[18:19]
	s_mov_b32 s17, s16
	s_mov_b32 s18, s16
	;; [unrolled: 1-line block ×7, first 2 shown]
	v_mov_b64_e32 v[10:11], s[16:17]
	v_mov_b64_e32 v[16:17], s[22:23]
	;; [unrolled: 1-line block ×8, first 2 shown]
	s_and_saveexec_b64 s[18:19], s[6:7]
	s_cbranch_execnz .LBB170_42
; %bb.31:                               ;   in Loop: Header=BB170_3 Depth=1
	s_or_b64 exec, exec, s[18:19]
	s_and_saveexec_b64 s[18:19], s[6:7]
	s_cbranch_execnz .LBB170_43
.LBB170_32:                             ;   in Loop: Header=BB170_3 Depth=1
	s_or_b64 exec, exec, s[18:19]
	s_and_saveexec_b64 s[18:19], s[6:7]
	s_cbranch_execnz .LBB170_44
.LBB170_33:                             ;   in Loop: Header=BB170_3 Depth=1
	s_or_b64 exec, exec, s[18:19]
	s_and_saveexec_b64 s[18:19], s[6:7]
	s_cbranch_execnz .LBB170_45
.LBB170_34:                             ;   in Loop: Header=BB170_3 Depth=1
	s_or_b64 exec, exec, s[18:19]
	s_and_saveexec_b64 s[18:19], s[6:7]
	s_cbranch_execnz .LBB170_46
.LBB170_35:                             ;   in Loop: Header=BB170_3 Depth=1
	s_or_b64 exec, exec, s[18:19]
	s_and_saveexec_b64 s[18:19], s[6:7]
	s_cbranch_execnz .LBB170_47
.LBB170_36:                             ;   in Loop: Header=BB170_3 Depth=1
	s_or_b64 exec, exec, s[18:19]
	s_and_saveexec_b64 s[18:19], s[6:7]
	s_cbranch_execnz .LBB170_48
.LBB170_37:                             ;   in Loop: Header=BB170_3 Depth=1
	s_or_b64 exec, exec, s[18:19]
	s_and_saveexec_b64 s[18:19], s[6:7]
	s_cbranch_execz .LBB170_39
.LBB170_38:                             ;   in Loop: Header=BB170_3 Depth=1
	v_lshl_add_u64 v[4:5], v[30:31], 0, v[28:29]
	global_load_ushort v2, v[4:5], off
	v_lshl_add_u64 v[4:5], v[32:33], 0, v[28:29]
	global_load_ushort v4, v[4:5], off
	s_waitcnt vmcnt(1)
	v_cvt_f32_f16_e32 v25, v2
	s_waitcnt vmcnt(0)
	v_cvt_f32_f16_e32 v17, v4
.LBB170_39:                             ;   in Loop: Header=BB170_3 Depth=1
	s_or_b64 exec, exec, s[18:19]
	s_waitcnt vmcnt(0)
	ds_bpermute_b32 v4, v65, v67 offset:4
	ds_bpermute_b32 v5, v65, v67 offset:8
	ds_bpermute_b32 v2, v65, v67
	v_mul_f32_e32 v8, v10, v18
	v_pk_mul_f32 v[10:11], v[10:11], v[18:19]
	v_pk_mul_f32 v[12:13], v[12:13], v[20:21]
	v_mov_b32_e32 v10, v11
	v_mov_b32_e32 v11, v12
	s_waitcnt lgkmcnt(1)
	v_pk_mul_f32 v[4:5], v[10:11], v[4:5]
	ds_bpermute_b32 v10, v65, v67 offset:12
	ds_bpermute_b32 v11, v65, v67 offset:16
	s_waitcnt lgkmcnt(2)
	v_fmac_f32_e32 v66, v8, v2
	v_pk_mul_f32 v[8:9], v[14:15], v[22:23]
	v_add_f32_e32 v2, v66, v4
	v_add_f32_e32 v2, v2, v5
	v_mov_b32_e32 v4, v13
	v_mov_b32_e32 v5, v8
	s_waitcnt lgkmcnt(0)
	v_pk_mul_f32 v[4:5], v[4:5], v[10:11]
	ds_bpermute_b32 v10, v65, v67 offset:20
	ds_bpermute_b32 v11, v65, v67 offset:24
	v_pk_mul_f32 v[6:7], v[16:17], v[24:25]
	v_add_f32_e32 v2, v2, v4
	v_add_f32_e32 v7, v2, v5
	v_mov_b32_e32 v4, v9
	v_mov_b32_e32 v5, v6
	s_waitcnt lgkmcnt(0)
	v_pk_mul_f32 v[4:5], v[4:5], v[10:11]
	ds_bpermute_b32 v2, v65, v67 offset:28
	v_add_f32_e32 v4, v7, v4
	v_add_f32_e32 v4, v4, v5
.LBB170_40:                             ;   in Loop: Header=BB170_3 Depth=1
	s_add_u32 s52, s52, s3
	s_addc_u32 s53, s53, 0
	v_mov_b64_e32 v[6:7], s[8:9]
	v_mul_f32_e32 v5, v25, v17
	s_add_u32 s34, s34, s3
	v_cmp_lt_i64_e32 vcc, s[52:53], v[6:7]
	s_waitcnt lgkmcnt(0)
	v_fmac_f32_e32 v4, v5, v2
	v_lshl_add_u64 v[30:31], v[30:31], 0, s[30:31]
	v_lshl_add_u64 v[32:33], v[32:33], 0, s[30:31]
	;; [unrolled: 1-line block ×14, first 2 shown]
	s_addc_u32 s35, s35, 0
	v_lshl_add_u64 v[58:59], v[58:59], 0, s[30:31]
	v_lshl_add_u64 v[60:61], v[60:61], 0, s[30:31]
	s_cbranch_vccz .LBB170_50
; %bb.41:                               ;   in Loop: Header=BB170_3 Depth=1
	v_mov_b32_e32 v66, v4
	s_branch .LBB170_3
.LBB170_42:                             ;   in Loop: Header=BB170_3 Depth=1
	v_lshl_add_u64 v[4:5], v[58:59], 0, v[28:29]
	global_load_ushort v2, v[4:5], off
	v_lshl_add_u64 v[4:5], v[60:61], 0, v[28:29]
	global_load_ushort v10, v[4:5], off
	v_mov_b32_e32 v8, v3
	v_mov_b32_e32 v9, v3
	;; [unrolled: 1-line block ×13, first 2 shown]
	s_waitcnt vmcnt(1)
	v_cvt_f32_f16_e32 v2, v2
	v_mov_b64_e32 v[24:25], v[8:9]
	s_waitcnt vmcnt(0)
	v_cvt_f32_f16_e32 v10, v10
	v_mov_b64_e32 v[22:23], v[6:7]
	v_mov_b64_e32 v[20:21], v[4:5]
	;; [unrolled: 1-line block ×3, first 2 shown]
	s_or_b64 exec, exec, s[18:19]
	s_and_saveexec_b64 s[18:19], s[6:7]
	s_cbranch_execz .LBB170_32
.LBB170_43:                             ;   in Loop: Header=BB170_3 Depth=1
	v_lshl_add_u64 v[4:5], v[54:55], 0, v[28:29]
	global_load_ushort v2, v[4:5], off
	v_lshl_add_u64 v[4:5], v[56:57], 0, v[28:29]
	global_load_ushort v4, v[4:5], off
	s_waitcnt vmcnt(1)
	v_cvt_f32_f16_e32 v19, v2
	s_waitcnt vmcnt(0)
	v_cvt_f32_f16_e32 v11, v4
	s_or_b64 exec, exec, s[18:19]
	s_and_saveexec_b64 s[18:19], s[6:7]
	s_cbranch_execz .LBB170_33
.LBB170_44:                             ;   in Loop: Header=BB170_3 Depth=1
	v_lshl_add_u64 v[4:5], v[50:51], 0, v[28:29]
	global_load_ushort v2, v[4:5], off
	v_lshl_add_u64 v[4:5], v[52:53], 0, v[28:29]
	global_load_ushort v4, v[4:5], off
	s_waitcnt vmcnt(1)
	v_cvt_f32_f16_e32 v20, v2
	s_waitcnt vmcnt(0)
	v_cvt_f32_f16_e32 v12, v4
	s_or_b64 exec, exec, s[18:19]
	s_and_saveexec_b64 s[18:19], s[6:7]
	s_cbranch_execz .LBB170_34
.LBB170_45:                             ;   in Loop: Header=BB170_3 Depth=1
	v_lshl_add_u64 v[4:5], v[46:47], 0, v[28:29]
	global_load_ushort v2, v[4:5], off
	v_lshl_add_u64 v[4:5], v[48:49], 0, v[28:29]
	global_load_ushort v4, v[4:5], off
	s_waitcnt vmcnt(1)
	v_cvt_f32_f16_e32 v21, v2
	s_waitcnt vmcnt(0)
	v_cvt_f32_f16_e32 v13, v4
	s_or_b64 exec, exec, s[18:19]
	s_and_saveexec_b64 s[18:19], s[6:7]
	s_cbranch_execz .LBB170_35
.LBB170_46:                             ;   in Loop: Header=BB170_3 Depth=1
	v_lshl_add_u64 v[4:5], v[42:43], 0, v[28:29]
	global_load_ushort v2, v[4:5], off
	v_lshl_add_u64 v[4:5], v[44:45], 0, v[28:29]
	global_load_ushort v4, v[4:5], off
	s_waitcnt vmcnt(1)
	v_cvt_f32_f16_e32 v22, v2
	s_waitcnt vmcnt(0)
	v_cvt_f32_f16_e32 v14, v4
	s_or_b64 exec, exec, s[18:19]
	s_and_saveexec_b64 s[18:19], s[6:7]
	s_cbranch_execz .LBB170_36
.LBB170_47:                             ;   in Loop: Header=BB170_3 Depth=1
	v_lshl_add_u64 v[4:5], v[38:39], 0, v[28:29]
	global_load_ushort v2, v[4:5], off
	v_lshl_add_u64 v[4:5], v[40:41], 0, v[28:29]
	global_load_ushort v4, v[4:5], off
	s_waitcnt vmcnt(1)
	v_cvt_f32_f16_e32 v23, v2
	s_waitcnt vmcnt(0)
	v_cvt_f32_f16_e32 v15, v4
	s_or_b64 exec, exec, s[18:19]
	s_and_saveexec_b64 s[18:19], s[6:7]
	s_cbranch_execz .LBB170_37
.LBB170_48:                             ;   in Loop: Header=BB170_3 Depth=1
	v_lshl_add_u64 v[4:5], v[34:35], 0, v[28:29]
	global_load_ushort v2, v[4:5], off
	v_lshl_add_u64 v[4:5], v[36:37], 0, v[28:29]
	global_load_ushort v4, v[4:5], off
	s_waitcnt vmcnt(1)
	v_cvt_f32_f16_e32 v24, v2
	s_waitcnt vmcnt(0)
	v_cvt_f32_f16_e32 v16, v4
	s_or_b64 exec, exec, s[18:19]
	s_and_saveexec_b64 s[18:19], s[6:7]
	s_cbranch_execnz .LBB170_38
	s_branch .LBB170_39
.LBB170_49:
                                        ; implicit-def: $vgpr4
	s_branch .LBB170_51
.LBB170_50:
	s_cbranch_execnz .LBB170_83
.LBB170_51:
	s_and_b64 vcc, exec, s[4:5]
	v_mov_b32_e32 v4, 0
	s_cbranch_vccnz .LBB170_83
; %bb.52:
	v_and_b32_e32 v1, 0x3ff, v0
	v_add_u32_e32 v2, s33, v1
	v_mov_b32_e32 v3, 0
	v_bfe_u32 v92, v0, 10, 10
	v_lshlrev_b64 v[28:29], 1, v[2:3]
	v_lshlrev_b32_e32 v2, 4, v92
	v_lshl_add_u64 v[4:5], s[26:27], 1, v[2:3]
	v_lshl_add_u64 v[6:7], v[4:5], 0, 2
	v_mov_b64_e32 v[8:9], s[12:13]
	v_lshl_add_u64 v[10:11], v[4:5], 0, 4
	v_lshl_add_u64 v[12:13], v[4:5], 0, 6
	;; [unrolled: 1-line block ×6, first 2 shown]
	v_mad_u64_u32 v[30:31], s[4:5], s10, v6, v[8:9]
	v_mad_u64_u32 v[32:33], s[4:5], s10, v10, v[8:9]
	;; [unrolled: 1-line block ×7, first 2 shown]
	v_mov_b64_e32 v[8:9], s[14:15]
	v_lshlrev_b32_e32 v26, 3, v92
	v_mov_b32_e32 v27, v3
	v_mul_lo_u32 v2, s10, v7
	v_mul_lo_u32 v7, s11, v6
	v_mad_u64_u32 v[44:45], s[4:5], s10, v6, v[8:9]
	v_add3_u32 v31, v7, v31, v2
	v_mul_lo_u32 v5, s10, v5
	v_mul_lo_u32 v25, s11, v4
	v_add3_u32 v45, v7, v45, v2
	v_lshl_add_u64 v[6:7], v[26:27], 0, s[26:27]
	v_mad_u64_u32 v[56:57], s[4:5], s10, v4, v[8:9]
	v_add3_u32 v43, v25, v43, v5
	v_add3_u32 v57, v25, v57, v5
	v_lshl_add_u64 v[4:5], v[6:7], 0, 7
	v_mad_u64_u32 v[46:47], s[4:5], s10, v10, v[8:9]
	v_mad_u64_u32 v[48:49], s[4:5], s10, v12, v[8:9]
	;; [unrolled: 1-line block ×5, first 2 shown]
	v_mul_lo_u32 v8, s11, v4
	v_mul_lo_u32 v9, s10, v5
	v_mad_u64_u32 v[4:5], s[4:5], s10, v4, 0
	v_mul_lo_u32 v11, s10, v11
	v_mul_lo_u32 v20, s11, v10
	v_add3_u32 v5, v5, v9, v8
	v_lshl_add_u64 v[8:9], v[6:7], 0, 6
	v_add3_u32 v33, v20, v33, v11
	v_add3_u32 v47, v20, v47, v11
	v_mul_lo_u32 v10, s11, v8
	v_mul_lo_u32 v11, s10, v9
	v_mad_u64_u32 v[8:9], s[4:5], s10, v8, 0
	v_mul_lo_u32 v13, s10, v13
	v_mul_lo_u32 v21, s11, v12
	v_add3_u32 v9, v9, v11, v10
	v_lshl_add_u64 v[10:11], v[6:7], 0, 5
	v_add3_u32 v35, v21, v35, v13
	v_add3_u32 v49, v21, v49, v13
	;; [unrolled: 9-line block ×4, first 2 shown]
	v_mul_lo_u32 v16, s11, v14
	v_mul_lo_u32 v17, s10, v15
	v_mad_u64_u32 v[14:15], s[4:5], s10, v14, 0
	v_mul_lo_u32 v19, s10, v19
	v_mul_lo_u32 v24, s11, v18
	v_add3_u32 v15, v15, v17, v16
	v_lshl_add_u64 v[16:17], v[6:7], 0, 2
	s_load_dword s3, s[0:1], 0x44
	v_lshlrev_b64 v[4:5], 1, v[4:5]
	v_add3_u32 v41, v24, v41, v19
	v_add3_u32 v55, v24, v55, v19
	v_mul_lo_u32 v18, s11, v16
	v_mul_lo_u32 v19, s10, v17
	v_mad_u64_u32 v[16:17], s[4:5], s10, v16, 0
	v_lshl_add_u64 v[62:63], s[12:13], 0, v[4:5]
	v_lshl_add_u64 v[64:65], s[14:15], 0, v[4:5]
	v_lshlrev_b64 v[4:5], 1, v[8:9]
	v_add3_u32 v17, v17, v19, v18
	v_mov_b64_e32 v[18:19], s[10:11]
	v_lshl_add_u64 v[66:67], s[12:13], 0, v[4:5]
	v_lshl_add_u64 v[68:69], s[14:15], 0, v[4:5]
	v_lshlrev_b64 v[4:5], 1, v[10:11]
	v_mul_lo_u32 v2, s11, v6
	v_mad_u64_u32 v[18:19], s[4:5], s10, v6, v[18:19]
	v_mul_lo_u32 v20, s10, v7
	v_mad_u64_u32 v[6:7], s[4:5], s10, v6, 0
	v_lshl_add_u64 v[70:71], s[12:13], 0, v[4:5]
	v_lshl_add_u64 v[72:73], s[14:15], 0, v[4:5]
	v_lshlrev_b64 v[4:5], 1, v[12:13]
	s_add_u32 s4, s0, 64
	v_lshl_add_u64 v[74:75], s[12:13], 0, v[4:5]
	v_lshl_add_u64 v[76:77], s[14:15], 0, v[4:5]
	v_lshlrev_b64 v[4:5], 1, v[14:15]
	v_add3_u32 v7, v7, v20, v2
	v_add3_u32 v19, v2, v19, v20
	s_addc_u32 s5, s1, 0
	s_waitcnt lgkmcnt(0)
	s_lshl_b32 s3, s3, 6
	v_lshl_add_u64 v[78:79], s[12:13], 0, v[4:5]
	v_lshl_add_u64 v[80:81], s[14:15], 0, v[4:5]
	v_lshlrev_b64 v[4:5], 1, v[16:17]
	v_mbcnt_lo_u32_b32 v2, -1, 0
	s_add_u32 s6, s26, 63
	s_mul_i32 s17, s11, s3
	s_mul_hi_u32 s18, s10, s3
	v_lshlrev_b64 v[6:7], 1, v[6:7]
	v_lshl_add_u64 v[82:83], s[12:13], 0, v[4:5]
	v_lshl_add_u64 v[84:85], s[14:15], 0, v[4:5]
	v_lshlrev_b64 v[4:5], 1, v[18:19]
	v_mbcnt_hi_u32_b32 v2, -1, v2
	s_addc_u32 s7, 0, 0
	s_add_i32 s19, s18, s17
	s_mul_i32 s18, s10, s3
	v_lshl_add_u64 v[58:59], s[12:13], 0, v[6:7]
	v_lshl_add_u64 v[60:61], s[14:15], 0, v[6:7]
	v_lshl_add_u64 v[86:87], s[12:13], 0, v[4:5]
	v_lshl_add_u64 v[88:89], s[14:15], 0, v[4:5]
	s_movk_i32 s12, 0xffc1
	s_movk_i32 s14, 0xffc2
	;; [unrolled: 1-line block ×8, first 2 shown]
	v_lshlrev_b32_e32 v2, 2, v2
	s_mov_b32 s16, 0
	s_lshl_b64 s[28:29], s[18:19], 1
	s_mov_b32 s13, -1
	s_mov_b32 s15, -1
	;; [unrolled: 1-line block ×8, first 2 shown]
	v_and_b32_e32 v93, 0x100, v2
	v_mov_b32_e32 v94, 0
.LBB170_53:                             ; =>This Inner Loop Header: Depth=1
	v_mov_b64_e32 v[4:5], s[8:9]
	v_cmp_ge_i64_e32 vcc, s[6:7], v[4:5]
	v_lshl_add_u64 v[90:91], v[26:27], 0, s[6:7]
	s_cbranch_vccz .LBB170_75
; %bb.54:                               ;   in Loop: Header=BB170_53 Depth=1
	s_load_dword s17, s[4:5], 0xc
	v_mov_b32_e32 v95, 0
	s_waitcnt lgkmcnt(0)
	s_and_b32 s17, s17, 0xffff
	v_mad_u32_u24 v2, v92, s17, v1
	v_and_b32_e32 v2, 63, v2
	v_cmp_gt_u32_e32 vcc, 8, v2
	s_and_saveexec_b64 s[18:19], vcc
	s_cbranch_execz .LBB170_58
; %bb.55:                               ;   in Loop: Header=BB170_53 Depth=1
	v_lshl_add_u64 v[4:5], v[90:91], 0, v[2:3]
	v_lshl_add_u64 v[4:5], v[4:5], 0, s[12:13]
	v_cmp_gt_i64_e32 vcc, s[8:9], v[4:5]
	v_mov_b32_e32 v95, 0
	s_and_saveexec_b64 s[20:21], vcc
	s_cbranch_execz .LBB170_57
; %bb.56:                               ;   in Loop: Header=BB170_53 Depth=1
	v_lshl_add_u64 v[4:5], v[4:5], 2, s[24:25]
	global_load_dword v95, v[4:5], off
.LBB170_57:                             ;   in Loop: Header=BB170_53 Depth=1
	s_or_b64 exec, exec, s[20:21]
.LBB170_58:                             ;   in Loop: Header=BB170_53 Depth=1
	s_or_b64 exec, exec, s[18:19]
	s_mov_b32 s17, s16
	s_mov_b32 s18, s16
	;; [unrolled: 1-line block ×7, first 2 shown]
	v_mov_b64_e32 v[10:11], s[16:17]
	v_mov_b64_e32 v[16:17], s[22:23]
	v_lshl_add_u64 v[4:5], v[90:91], 0, s[12:13]
	v_mov_b64_e32 v[12:13], s[18:19]
	v_mov_b64_e32 v[14:15], s[20:21]
	;; [unrolled: 1-line block ×3, first 2 shown]
	v_cmp_gt_i64_e32 vcc, s[8:9], v[4:5]
	v_mov_b64_e32 v[22:23], v[14:15]
	v_mov_b64_e32 v[20:21], v[12:13]
	;; [unrolled: 1-line block ×3, first 2 shown]
	s_and_saveexec_b64 s[18:19], vcc
	s_cbranch_execz .LBB170_60
; %bb.59:                               ;   in Loop: Header=BB170_53 Depth=1
	v_lshl_add_u64 v[4:5], v[58:59], 0, v[28:29]
	global_load_ushort v2, v[4:5], off
	v_lshl_add_u64 v[4:5], v[60:61], 0, v[28:29]
	global_load_ushort v10, v[4:5], off
	v_mov_b32_e32 v8, v3
	v_mov_b32_e32 v9, v3
	;; [unrolled: 1-line block ×13, first 2 shown]
	s_waitcnt vmcnt(1)
	v_cvt_f32_f16_e32 v2, v2
	v_mov_b64_e32 v[24:25], v[8:9]
	s_waitcnt vmcnt(0)
	v_cvt_f32_f16_e32 v10, v10
	v_mov_b64_e32 v[22:23], v[6:7]
	v_mov_b64_e32 v[20:21], v[4:5]
	;; [unrolled: 1-line block ×3, first 2 shown]
.LBB170_60:                             ;   in Loop: Header=BB170_53 Depth=1
	s_or_b64 exec, exec, s[18:19]
	v_lshl_add_u64 v[4:5], v[90:91], 0, s[14:15]
	v_cmp_gt_i64_e32 vcc, s[8:9], v[4:5]
	s_and_saveexec_b64 s[18:19], vcc
	s_cbranch_execz .LBB170_62
; %bb.61:                               ;   in Loop: Header=BB170_53 Depth=1
	v_lshl_add_u64 v[4:5], v[86:87], 0, v[28:29]
	global_load_ushort v2, v[4:5], off
	v_lshl_add_u64 v[4:5], v[88:89], 0, v[28:29]
	global_load_ushort v4, v[4:5], off
	s_waitcnt vmcnt(1)
	v_cvt_f32_f16_e32 v19, v2
	s_waitcnt vmcnt(0)
	v_cvt_f32_f16_e32 v11, v4
.LBB170_62:                             ;   in Loop: Header=BB170_53 Depth=1
	s_or_b64 exec, exec, s[18:19]
	v_lshl_add_u64 v[4:5], v[90:91], 0, s[30:31]
	v_cmp_gt_i64_e32 vcc, s[8:9], v[4:5]
	s_and_saveexec_b64 s[18:19], vcc
	s_cbranch_execz .LBB170_64
; %bb.63:                               ;   in Loop: Header=BB170_53 Depth=1
	v_lshl_add_u64 v[4:5], v[82:83], 0, v[28:29]
	global_load_ushort v2, v[4:5], off
	v_lshl_add_u64 v[4:5], v[84:85], 0, v[28:29]
	global_load_ushort v4, v[4:5], off
	s_waitcnt vmcnt(1)
	v_cvt_f32_f16_e32 v20, v2
	s_waitcnt vmcnt(0)
	v_cvt_f32_f16_e32 v12, v4
.LBB170_64:                             ;   in Loop: Header=BB170_53 Depth=1
	;; [unrolled: 15-line block ×7, first 2 shown]
	s_or_b64 exec, exec, s[18:19]
	s_waitcnt vmcnt(0)
	ds_bpermute_b32 v4, v93, v95
	ds_bpermute_b32 v5, v93, v95 offset:4
	v_pk_mul_f32 v[8:9], v[14:15], v[22:23]
	ds_bpermute_b32 v14, v93, v95 offset:8
	ds_bpermute_b32 v15, v93, v95 offset:12
	v_pk_mul_f32 v[10:11], v[10:11], v[18:19]
	v_pk_mul_f32 v[12:13], v[12:13], v[20:21]
	s_waitcnt lgkmcnt(2)
	v_pk_mul_f32 v[4:5], v[10:11], v[4:5]
	ds_bpermute_b32 v10, v93, v95 offset:16
	ds_bpermute_b32 v11, v93, v95 offset:20
	v_add_f32_e32 v2, v94, v4
	v_add_f32_e32 v2, v2, v5
	s_waitcnt lgkmcnt(2)
	v_pk_mul_f32 v[4:5], v[12:13], v[14:15]
	ds_bpermute_b32 v12, v93, v95 offset:24
	ds_bpermute_b32 v13, v93, v95 offset:28
	v_add_f32_e32 v2, v2, v4
	v_add_f32_e32 v2, v2, v5
	s_waitcnt lgkmcnt(2)
	v_pk_mul_f32 v[4:5], v[8:9], v[10:11]
	v_pk_mul_f32 v[6:7], v[16:17], v[24:25]
	v_add_f32_e32 v2, v2, v4
	v_add_f32_e32 v2, v2, v5
	s_waitcnt lgkmcnt(0)
	v_pk_mul_f32 v[4:5], v[6:7], v[12:13]
	s_nop 0
	v_add_f32_e32 v2, v2, v4
	v_add_f32_e32 v4, v2, v5
	s_branch .LBB170_81
.LBB170_75:                             ;   in Loop: Header=BB170_53 Depth=1
                                        ; implicit-def: $vgpr4
	s_cbranch_execz .LBB170_81
; %bb.76:                               ;   in Loop: Header=BB170_53 Depth=1
	s_load_dword s17, s[4:5], 0x0
	v_mov_b32_e32 v6, 0
	s_waitcnt lgkmcnt(0)
	s_cmp_lt_u32 s2, s17
	s_cselect_b32 s17, 12, 18
	s_add_u32 s18, s4, s17
	s_addc_u32 s19, s5, 0
	global_load_ushort v2, v3, s[18:19]
	s_waitcnt vmcnt(0)
	v_mad_u32_u24 v2, v92, v2, v1
	v_and_b32_e32 v2, 63, v2
	v_cmp_gt_u32_e32 vcc, 8, v2
	s_and_saveexec_b64 s[18:19], vcc
	s_cbranch_execz .LBB170_80
; %bb.77:                               ;   in Loop: Header=BB170_53 Depth=1
	v_lshl_add_u64 v[4:5], v[90:91], 0, v[2:3]
	v_lshl_add_u64 v[4:5], v[4:5], 0, s[12:13]
	v_cmp_gt_i64_e32 vcc, s[8:9], v[4:5]
	v_mov_b32_e32 v6, 0
	s_and_saveexec_b64 s[20:21], vcc
	s_cbranch_execz .LBB170_79
; %bb.78:                               ;   in Loop: Header=BB170_53 Depth=1
	v_lshl_add_u64 v[4:5], v[4:5], 2, s[24:25]
	global_load_dword v6, v[4:5], off
.LBB170_79:                             ;   in Loop: Header=BB170_53 Depth=1
	s_or_b64 exec, exec, s[20:21]
.LBB170_80:                             ;   in Loop: Header=BB170_53 Depth=1
	s_or_b64 exec, exec, s[18:19]
	v_lshl_add_u64 v[4:5], v[58:59], 0, v[28:29]
	global_load_ushort v2, v[4:5], off
	v_lshl_add_u64 v[4:5], v[60:61], 0, v[28:29]
	global_load_ushort v7, v[4:5], off
	;; [unrolled: 2-line block ×16, first 2 shown]
	s_waitcnt vmcnt(16)
	ds_bpermute_b32 v5, v93, v6
	ds_bpermute_b32 v21, v93, v6 offset:4
	ds_bpermute_b32 v22, v93, v6 offset:8
	;; [unrolled: 1-line block ×7, first 2 shown]
	s_waitcnt vmcnt(15)
	v_cvt_f32_f16_e32 v2, v2
	s_waitcnt vmcnt(14)
	v_cvt_f32_f16_e32 v7, v7
	;; [unrolled: 2-line block ×4, first 2 shown]
	v_mul_f32_e32 v2, v2, v7
	s_waitcnt vmcnt(11)
	v_cvt_f32_f16_e32 v10, v10
	s_waitcnt lgkmcnt(7)
	v_fmac_f32_e32 v94, v2, v5
	s_waitcnt vmcnt(10)
	v_cvt_f32_f16_e32 v11, v11
	v_mul_f32_e32 v7, v8, v9
	s_waitcnt vmcnt(9)
	v_cvt_f32_f16_e32 v12, v12
	s_waitcnt lgkmcnt(6)
	v_fmac_f32_e32 v94, v7, v21
	s_waitcnt vmcnt(8)
	v_cvt_f32_f16_e32 v13, v13
	;; [unrolled: 7-line block ×6, first 2 shown]
	v_mul_f32_e32 v12, v18, v19
	s_waitcnt lgkmcnt(1)
	v_fmac_f32_e32 v94, v12, v90
	v_mul_f32_e32 v2, v20, v4
	s_waitcnt lgkmcnt(0)
	v_fmac_f32_e32 v94, v2, v6
	v_mov_b32_e32 v4, v94
.LBB170_81:                             ;   in Loop: Header=BB170_53 Depth=1
	s_add_u32 s26, s26, s3
	s_addc_u32 s27, s27, 0
	v_mov_b64_e32 v[6:7], s[8:9]
	s_add_u32 s6, s6, s3
	v_cmp_ge_i64_e32 vcc, s[26:27], v[6:7]
	s_addc_u32 s7, s7, 0
	v_lshl_add_u64 v[30:31], v[30:31], 0, s[28:29]
	v_lshl_add_u64 v[32:33], v[32:33], 0, s[28:29]
	;; [unrolled: 1-line block ×30, first 2 shown]
	s_cbranch_vccnz .LBB170_83
; %bb.82:                               ;   in Loop: Header=BB170_53 Depth=1
	v_mov_b32_e32 v94, v4
	s_branch .LBB170_53
.LBB170_83:
	v_bfe_u32 v2, v0, 10, 10
	v_and_b32_e32 v5, 0x3ff, v0
	s_movk_i32 s3, 0x41
	v_mad_u32_u24 v0, v2, s3, v5
	v_lshl_add_u32 v0, v0, 2, 0
	v_mov_b32_e32 v1, 0
	ds_write_b32 v0, v4
	ds_write_b32 v0, v1 offset:2080
	v_lshrrev_b32_e32 v0, 6, v5
	v_add_u32_e32 v3, v0, v2
	s_mov_b32 s3, 0
	v_cmp_gt_u32_e32 vcc, 64, v3
	s_waitcnt lgkmcnt(0)
	s_barrier
	s_and_saveexec_b64 s[4:5], vcc
	s_cbranch_execz .LBB170_90
; %bb.84:
	v_mbcnt_lo_u32_b32 v6, -1, 0
	v_mbcnt_hi_u32_b32 v6, -1, v6
	v_and_b32_e32 v4, 63, v5
	v_and_b32_e32 v7, 64, v6
	s_load_dwordx2 s[12:13], s[0:1], 0x30
	v_cmp_gt_u32_e32 vcc, 8, v4
	v_add_u32_e32 v7, 64, v7
	v_mul_u32_u24_e32 v8, 0x104, v4
	v_xor_b32_e32 v4, 4, v6
	s_lshl_b64 s[4:5], s[2:3], 6
	v_cmp_ne_u32_e64 s[0:1], 0, v5
	v_cmp_lt_i32_e64 s[2:3], v4, v7
	v_xor_b32_e32 v5, 2, v6
	v_xor_b32_e32 v9, 1, v6
	v_cndmask_b32_e64 v4, v6, v4, s[2:3]
	v_cmp_lt_i32_e64 s[2:3], v5, v7
	v_lshlrev_b32_e32 v3, 2, v3
	s_waitcnt lgkmcnt(0)
	s_cmp_eq_u64 s[12:13], 0
	v_cndmask_b32_e64 v5, v6, v5, s[2:3]
	v_cmp_lt_i32_e64 s[2:3], v9, v7
	v_add3_u32 v7, v8, v3, 0
	v_mov_b32_e32 v3, v1
	v_lshl_add_u64 v[0:1], v[0:1], 0, v[2:3]
	v_cndmask_b32_e64 v6, v6, v9, s[2:3]
	v_lshl_add_u64 v[2:3], v[0:1], 0, s[4:5]
	s_mov_b64 s[6:7], 0
	s_cselect_b64 s[8:9], -1, 0
	v_lshlrev_b32_e32 v4, 2, v4
	v_lshlrev_b32_e32 v5, 2, v5
	;; [unrolled: 1-line block ×3, first 2 shown]
	v_lshl_add_u64 v[2:3], v[2:3], 1, s[12:13]
                                        ; implicit-def: $vgpr8
	s_branch .LBB170_86
.LBB170_85:                             ;   in Loop: Header=BB170_86 Depth=1
	s_or_b64 exec, exec, s[2:3]
	v_lshl_add_u64 v[0:1], v[0:1], 0, 8
	v_add_u32_e32 v9, -8, v0
	v_cmp_lt_u32_e64 s[2:3], 55, v9
	v_add_u32_e32 v7, 32, v7
	s_or_b64 s[6:7], s[2:3], s[6:7]
	v_lshl_add_u64 v[2:3], v[2:3], 0, 16
	s_andn2_b64 exec, exec, s[6:7]
	s_cbranch_execz .LBB170_90
.LBB170_86:                             ; =>This Inner Loop Header: Depth=1
	s_and_saveexec_b64 s[2:3], vcc
	s_cbranch_execz .LBB170_88
; %bb.87:                               ;   in Loop: Header=BB170_86 Depth=1
	ds_read_b32 v8, v7
.LBB170_88:                             ;   in Loop: Header=BB170_86 Depth=1
	s_or_b64 exec, exec, s[2:3]
	s_waitcnt lgkmcnt(0)
	ds_bpermute_b32 v9, v4, v8
	s_waitcnt lgkmcnt(0)
	v_add_f32_e32 v8, v8, v9
	ds_bpermute_b32 v9, v5, v8
	s_waitcnt lgkmcnt(0)
	v_add_f32_e32 v10, v8, v9
	ds_bpermute_b32 v11, v6, v10
	v_lshl_add_u64 v[8:9], s[4:5], 0, v[0:1]
	v_cmp_le_i64_e64 s[2:3], s[10:11], v[8:9]
	s_or_b64 s[2:3], s[0:1], s[2:3]
	s_or_b64 s[2:3], s[8:9], s[2:3]
	s_waitcnt lgkmcnt(0)
	v_add_f32_e32 v8, v10, v11
	s_xor_b64 s[12:13], s[2:3], -1
	s_and_saveexec_b64 s[2:3], s[12:13]
	s_cbranch_execz .LBB170_85
; %bb.89:                               ;   in Loop: Header=BB170_86 Depth=1
	v_cvt_f16_f32_e32 v9, v8
	global_store_short v[2:3], v9, off
	s_branch .LBB170_85
.LBB170_90:
	s_endpgm
	.section	.rodata,"a",@progbits
	.p2align	6, 0x0
	.amdhsa_kernel _ZN2at6native12_GLOBAL__N_135GammaBetaBackwardCUDAKernelTemplateIN3c104HalfEfLj64ELj8ELj64ELb0ELb0ELb1EEEvllPKT_S7_PKT0_SA_PS5_SB_
		.amdhsa_group_segment_fixed_size 0
		.amdhsa_private_segment_fixed_size 0
		.amdhsa_kernarg_size 320
		.amdhsa_user_sgpr_count 2
		.amdhsa_user_sgpr_dispatch_ptr 0
		.amdhsa_user_sgpr_queue_ptr 0
		.amdhsa_user_sgpr_kernarg_segment_ptr 1
		.amdhsa_user_sgpr_dispatch_id 0
		.amdhsa_user_sgpr_kernarg_preload_length 0
		.amdhsa_user_sgpr_kernarg_preload_offset 0
		.amdhsa_user_sgpr_private_segment_size 0
		.amdhsa_uses_dynamic_stack 0
		.amdhsa_enable_private_segment 0
		.amdhsa_system_sgpr_workgroup_id_x 1
		.amdhsa_system_sgpr_workgroup_id_y 1
		.amdhsa_system_sgpr_workgroup_id_z 0
		.amdhsa_system_sgpr_workgroup_info 0
		.amdhsa_system_vgpr_workitem_id 1
		.amdhsa_next_free_vgpr 96
		.amdhsa_next_free_sgpr 56
		.amdhsa_accum_offset 96
		.amdhsa_reserve_vcc 1
		.amdhsa_float_round_mode_32 0
		.amdhsa_float_round_mode_16_64 0
		.amdhsa_float_denorm_mode_32 3
		.amdhsa_float_denorm_mode_16_64 3
		.amdhsa_dx10_clamp 1
		.amdhsa_ieee_mode 1
		.amdhsa_fp16_overflow 0
		.amdhsa_tg_split 0
		.amdhsa_exception_fp_ieee_invalid_op 0
		.amdhsa_exception_fp_denorm_src 0
		.amdhsa_exception_fp_ieee_div_zero 0
		.amdhsa_exception_fp_ieee_overflow 0
		.amdhsa_exception_fp_ieee_underflow 0
		.amdhsa_exception_fp_ieee_inexact 0
		.amdhsa_exception_int_div_zero 0
	.end_amdhsa_kernel
	.section	.text._ZN2at6native12_GLOBAL__N_135GammaBetaBackwardCUDAKernelTemplateIN3c104HalfEfLj64ELj8ELj64ELb0ELb0ELb1EEEvllPKT_S7_PKT0_SA_PS5_SB_,"axG",@progbits,_ZN2at6native12_GLOBAL__N_135GammaBetaBackwardCUDAKernelTemplateIN3c104HalfEfLj64ELj8ELj64ELb0ELb0ELb1EEEvllPKT_S7_PKT0_SA_PS5_SB_,comdat
.Lfunc_end170:
	.size	_ZN2at6native12_GLOBAL__N_135GammaBetaBackwardCUDAKernelTemplateIN3c104HalfEfLj64ELj8ELj64ELb0ELb0ELb1EEEvllPKT_S7_PKT0_SA_PS5_SB_, .Lfunc_end170-_ZN2at6native12_GLOBAL__N_135GammaBetaBackwardCUDAKernelTemplateIN3c104HalfEfLj64ELj8ELj64ELb0ELb0ELb1EEEvllPKT_S7_PKT0_SA_PS5_SB_
                                        ; -- End function
	.section	.AMDGPU.csdata,"",@progbits
; Kernel info:
; codeLenInByte = 6596
; NumSgprs: 62
; NumVgprs: 96
; NumAgprs: 0
; TotalNumVgprs: 96
; ScratchSize: 0
; MemoryBound: 0
; FloatMode: 240
; IeeeMode: 1
; LDSByteSize: 0 bytes/workgroup (compile time only)
; SGPRBlocks: 7
; VGPRBlocks: 11
; NumSGPRsForWavesPerEU: 62
; NumVGPRsForWavesPerEU: 96
; AccumOffset: 96
; Occupancy: 5
; WaveLimiterHint : 0
; COMPUTE_PGM_RSRC2:SCRATCH_EN: 0
; COMPUTE_PGM_RSRC2:USER_SGPR: 2
; COMPUTE_PGM_RSRC2:TRAP_HANDLER: 0
; COMPUTE_PGM_RSRC2:TGID_X_EN: 1
; COMPUTE_PGM_RSRC2:TGID_Y_EN: 1
; COMPUTE_PGM_RSRC2:TGID_Z_EN: 0
; COMPUTE_PGM_RSRC2:TIDIG_COMP_CNT: 1
; COMPUTE_PGM_RSRC3_GFX90A:ACCUM_OFFSET: 23
; COMPUTE_PGM_RSRC3_GFX90A:TG_SPLIT: 0
	.section	.text._ZN2at6native12_GLOBAL__N_135GammaBetaBackwardCUDAKernelTemplateIN3c104HalfEfLj64ELj16ELj128ELb0ELb1ELb1EEEvllPKT_S7_PKT0_SA_PS5_SB_,"axG",@progbits,_ZN2at6native12_GLOBAL__N_135GammaBetaBackwardCUDAKernelTemplateIN3c104HalfEfLj64ELj16ELj128ELb0ELb1ELb1EEEvllPKT_S7_PKT0_SA_PS5_SB_,comdat
	.globl	_ZN2at6native12_GLOBAL__N_135GammaBetaBackwardCUDAKernelTemplateIN3c104HalfEfLj64ELj16ELj128ELb0ELb1ELb1EEEvllPKT_S7_PKT0_SA_PS5_SB_ ; -- Begin function _ZN2at6native12_GLOBAL__N_135GammaBetaBackwardCUDAKernelTemplateIN3c104HalfEfLj64ELj16ELj128ELb0ELb1ELb1EEEvllPKT_S7_PKT0_SA_PS5_SB_
	.p2align	8
	.type	_ZN2at6native12_GLOBAL__N_135GammaBetaBackwardCUDAKernelTemplateIN3c104HalfEfLj64ELj16ELj128ELb0ELb1ELb1EEEvllPKT_S7_PKT0_SA_PS5_SB_,@function
_ZN2at6native12_GLOBAL__N_135GammaBetaBackwardCUDAKernelTemplateIN3c104HalfEfLj64ELj16ELj128ELb0ELb1ELb1EEEvllPKT_S7_PKT0_SA_PS5_SB_: ; @_ZN2at6native12_GLOBAL__N_135GammaBetaBackwardCUDAKernelTemplateIN3c104HalfEfLj64ELj16ELj128ELb0ELb1ELb1EEEvllPKT_S7_PKT0_SA_PS5_SB_
; %bb.0:
	s_load_dwordx4 s[4:7], s[0:1], 0x0
	s_lshl_b32 s14, s3, 7
	s_mov_b32 s15, 0
	v_bfe_u32 v12, v0, 10, 10
	s_waitcnt lgkmcnt(0)
	v_mov_b64_e32 v[2:3], s[4:5]
	v_cmp_lt_i64_e32 vcc, s[14:15], v[2:3]
	s_cbranch_vccnz .LBB171_2
; %bb.1:
	s_mov_b64 s[8:9], 0
	v_bfe_u32 v2, v0, 10, 10
	s_branch .LBB171_3
.LBB171_2:
	s_mov_b64 s[8:9], -1
                                        ; implicit-def: $vgpr2
.LBB171_3:
	s_load_dwordx2 s[12:13], s[0:1], 0x30
	v_and_b32_e32 v10, 0x3ff, v0
	s_andn2_b64 vcc, exec, s[8:9]
	v_mov_b32_e32 v1, s15
	v_mbcnt_lo_u32_b32 v11, -1, 0
	s_cbranch_vccnz .LBB171_11
; %bb.4:
	s_load_dword s3, s[0:1], 0x4c
	s_load_dword s16, s[0:1], 0x44
	s_load_dwordx2 s[18:19], s[0:1], 0x28
	s_load_dwordx4 s[8:11], s[0:1], 0x10
	v_lshlrev_b32_e32 v0, 3, v12
	s_waitcnt lgkmcnt(0)
	s_and_b32 s0, s3, 0xffff
	v_mad_u32_u24 v1, v12, s0, v10
	v_and_b32_e32 v2, 63, v1
	v_mov_b32_e32 v1, 0
	v_mov_b32_e32 v3, v1
	v_lshl_add_u64 v[8:9], v[0:1], 0, s[14:15]
	v_cmp_gt_u32_e64 s[0:1], 8, v2
	v_mbcnt_hi_u32_b32 v4, -1, v11
	s_lshl_b32 s16, s16, 7
	v_lshl_add_u64 v[2:3], v[8:9], 0, v[2:3]
	v_mul_lo_u32 v0, s7, v8
	v_mul_lo_u32 v21, s6, v9
	v_mad_u64_u32 v[8:9], s[20:21], s6, v8, 0
	v_lshl_add_u32 v6, s2, 6, v10
	v_mov_b32_e32 v7, v1
	v_lshlrev_b32_e32 v4, 2, v4
	s_mul_i32 s3, s7, s16
	s_mul_hi_u32 s20, s6, s16
	s_mov_b32 s17, 0
	v_and_b32_e32 v13, 0x100, v4
	v_add3_u32 v9, v9, v21, v0
	v_lshlrev_b64 v[6:7], 1, v[6:7]
	s_add_i32 s21, s20, s3
	s_mul_i32 s20, s6, s16
	v_or_b32_e32 v14, 4, v13
	v_or_b32_e32 v15, 8, v13
	;; [unrolled: 1-line block ×7, first 2 shown]
	v_lshl_add_u64 v[4:5], v[2:3], 2, s[18:19]
	s_lshl_b64 s[18:19], s[16:17], 2
	v_lshl_add_u64 v[6:7], v[8:9], 1, v[6:7]
	s_lshl_b64 s[20:21], s[20:21], 1
	s_lshl_b64 s[6:7], s[6:7], 1
	v_mov_b64_e32 v[8:9], s[4:5]
	s_branch .LBB171_7
.LBB171_5:                              ;   in Loop: Header=BB171_7 Depth=1
	s_or_b64 exec, exec, s[24:25]
.LBB171_6:                              ;   in Loop: Header=BB171_7 Depth=1
	s_or_b64 exec, exec, s[22:23]
	v_lshl_add_u64 v[22:23], s[8:9], 0, v[6:7]
	global_load_ushort v21, v[22:23], off
	v_lshl_add_u64 v[24:25], s[10:11], 0, v[6:7]
	v_lshl_add_u64 v[22:23], v[22:23], 0, s[6:7]
	global_load_ushort v26, v[24:25], off
	global_load_ushort v27, v[22:23], off
	v_lshl_add_u64 v[24:25], v[24:25], 0, s[6:7]
	v_lshl_add_u64 v[22:23], v[22:23], 0, s[6:7]
	global_load_ushort v28, v[24:25], off
	;; [unrolled: 4-line block ×7, first 2 shown]
	global_load_ushort v39, v[22:23], off
	v_lshl_add_u64 v[22:23], v[24:25], 0, s[6:7]
	global_load_ushort v22, v[22:23], off
	s_waitcnt vmcnt(16)
	ds_bpermute_b32 v23, v13, v0
	ds_bpermute_b32 v24, v14, v0
	;; [unrolled: 1-line block ×8, first 2 shown]
	s_add_u32 s14, s14, s16
	s_addc_u32 s15, s15, 0
	v_cmp_lt_i64_e32 vcc, s[14:15], v[8:9]
	v_lshl_add_u64 v[4:5], v[4:5], 0, s[18:19]
	v_lshl_add_u64 v[2:3], v[2:3], 0, s[16:17]
	;; [unrolled: 1-line block ×3, first 2 shown]
	s_and_b64 vcc, exec, vcc
	s_waitcnt vmcnt(15)
	v_cvt_f32_f16_e32 v21, v21
	s_waitcnt vmcnt(14)
	v_cvt_f32_f16_e32 v26, v26
	;; [unrolled: 2-line block ×5, first 2 shown]
	v_mul_f32_e32 v21, v21, v26
	s_waitcnt lgkmcnt(7)
	v_fmac_f32_e32 v1, v21, v23
	s_waitcnt vmcnt(10)
	v_cvt_f32_f16_e32 v30, v30
	s_waitcnt vmcnt(9)
	v_cvt_f32_f16_e32 v31, v31
	v_mul_f32_e32 v21, v27, v28
	s_waitcnt lgkmcnt(6)
	v_fmac_f32_e32 v1, v21, v24
	s_waitcnt vmcnt(8)
	v_cvt_f32_f16_e32 v32, v32
	s_waitcnt vmcnt(7)
	v_cvt_f32_f16_e32 v33, v33
	;; [unrolled: 7-line block ×5, first 2 shown]
	v_mul_f32_e32 v21, v26, v35
	s_waitcnt vmcnt(0)
	v_cvt_f32_f16_e32 v22, v22
	s_waitcnt lgkmcnt(2)
	v_fmac_f32_e32 v1, v21, v42
	v_mul_f32_e32 v21, v23, v27
	s_waitcnt lgkmcnt(1)
	v_fmac_f32_e32 v1, v21, v43
	v_mul_f32_e32 v21, v24, v22
	s_waitcnt lgkmcnt(0)
	v_fmac_f32_e32 v1, v21, v0
	s_cbranch_vccz .LBB171_10
.LBB171_7:                              ; =>This Inner Loop Header: Depth=1
	v_mov_b32_e32 v0, 0
	s_and_saveexec_b64 s[22:23], s[0:1]
	s_cbranch_execz .LBB171_6
; %bb.8:                                ;   in Loop: Header=BB171_7 Depth=1
	v_cmp_gt_i64_e32 vcc, s[4:5], v[2:3]
	v_mov_b32_e32 v0, 0
	s_and_saveexec_b64 s[24:25], vcc
	s_cbranch_execz .LBB171_5
; %bb.9:                                ;   in Loop: Header=BB171_7 Depth=1
	global_load_dword v0, v[4:5], off
	s_branch .LBB171_5
.LBB171_10:
	v_mov_b32_e32 v2, v12
.LBB171_11:
	s_movk_i32 s0, 0x41
	v_mad_u32_u24 v0, v2, s0, v10
	v_lshl_add_u32 v0, v0, 2, 0
	ds_write_b32 v0, v1
	v_mov_b32_e32 v1, 0
	ds_write_b32 v0, v1 offset:4160
	v_lshrrev_b32_e32 v0, 6, v10
	v_add_u32_e32 v3, v0, v2
	s_mov_b32 s3, 0
	v_cmp_gt_u32_e32 vcc, 64, v3
	s_waitcnt lgkmcnt(0)
	s_barrier
	s_and_saveexec_b64 s[0:1], vcc
	s_cbranch_execz .LBB171_18
; %bb.12:
	v_mbcnt_hi_u32_b32 v7, -1, v11
	v_and_b32_e32 v4, 63, v10
	v_and_b32_e32 v5, 64, v7
	s_cmp_lg_u64 s[12:13], 0
	v_cmp_gt_u32_e32 vcc, 16, v4
	v_add_u32_e32 v8, 64, v5
	v_cmp_eq_u32_e64 s[0:1], 0, v10
	s_cselect_b64 s[6:7], -1, 0
	v_mul_u32_u24_e32 v9, 0x104, v4
	v_xor_b32_e32 v4, 8, v7
	s_and_b64 s[6:7], s[0:1], s[6:7]
	v_cmp_lt_i32_e64 s[0:1], v4, v8
	v_xor_b32_e32 v5, 4, v7
	v_xor_b32_e32 v6, 2, v7
	v_cndmask_b32_e64 v4, v7, v4, s[0:1]
	v_cmp_lt_i32_e64 s[0:1], v5, v8
	v_xor_b32_e32 v10, 1, v7
	s_mov_b64 s[4:5], 0
	v_cndmask_b32_e64 v5, v7, v5, s[0:1]
	v_cmp_lt_i32_e64 s[0:1], v6, v8
	v_lshlrev_b32_e32 v4, 2, v4
	v_lshlrev_b32_e32 v5, 2, v5
	v_cndmask_b32_e64 v6, v7, v6, s[0:1]
	v_cmp_lt_i32_e64 s[0:1], v10, v8
	v_lshlrev_b32_e32 v8, 2, v3
	v_add3_u32 v8, v9, v8, 0
	v_cndmask_b32_e64 v7, v7, v10, s[0:1]
	s_lshl_b64 s[0:1], s[2:3], 7
	v_add_u32_e32 v9, -16, v3
	v_mov_b32_e32 v3, v1
	s_add_u32 s0, s12, s0
	v_lshl_add_u64 v[0:1], v[0:1], 0, v[2:3]
	s_addc_u32 s1, s13, s1
	v_lshlrev_b32_e32 v6, 2, v6
	v_lshlrev_b32_e32 v7, 2, v7
	v_lshl_add_u64 v[0:1], v[0:1], 1, s[0:1]
                                        ; implicit-def: $vgpr2
	s_branch .LBB171_14
.LBB171_13:                             ;   in Loop: Header=BB171_14 Depth=1
	s_or_b64 exec, exec, s[0:1]
	v_add_u32_e32 v9, 16, v9
	v_cmp_lt_u32_e64 s[0:1], 47, v9
	v_add_u32_e32 v8, 64, v8
	s_or_b64 s[4:5], s[0:1], s[4:5]
	v_lshl_add_u64 v[0:1], v[0:1], 0, 32
	s_andn2_b64 exec, exec, s[4:5]
	s_cbranch_execz .LBB171_18
.LBB171_14:                             ; =>This Inner Loop Header: Depth=1
	s_and_saveexec_b64 s[0:1], vcc
	s_cbranch_execz .LBB171_16
; %bb.15:                               ;   in Loop: Header=BB171_14 Depth=1
	ds_read_b32 v2, v8
.LBB171_16:                             ;   in Loop: Header=BB171_14 Depth=1
	s_or_b64 exec, exec, s[0:1]
	s_waitcnt lgkmcnt(0)
	ds_bpermute_b32 v3, v4, v2
	s_waitcnt lgkmcnt(0)
	v_add_f32_e32 v2, v2, v3
	ds_bpermute_b32 v3, v5, v2
	s_waitcnt lgkmcnt(0)
	v_add_f32_e32 v2, v2, v3
	;; [unrolled: 3-line block ×4, first 2 shown]
	s_and_saveexec_b64 s[0:1], s[6:7]
	s_cbranch_execz .LBB171_13
; %bb.17:                               ;   in Loop: Header=BB171_14 Depth=1
	v_cvt_f16_f32_e32 v3, v2
	global_store_short v[0:1], v3, off
	s_branch .LBB171_13
.LBB171_18:
	s_endpgm
	.section	.rodata,"a",@progbits
	.p2align	6, 0x0
	.amdhsa_kernel _ZN2at6native12_GLOBAL__N_135GammaBetaBackwardCUDAKernelTemplateIN3c104HalfEfLj64ELj16ELj128ELb0ELb1ELb1EEEvllPKT_S7_PKT0_SA_PS5_SB_
		.amdhsa_group_segment_fixed_size 0
		.amdhsa_private_segment_fixed_size 0
		.amdhsa_kernarg_size 320
		.amdhsa_user_sgpr_count 2
		.amdhsa_user_sgpr_dispatch_ptr 0
		.amdhsa_user_sgpr_queue_ptr 0
		.amdhsa_user_sgpr_kernarg_segment_ptr 1
		.amdhsa_user_sgpr_dispatch_id 0
		.amdhsa_user_sgpr_kernarg_preload_length 0
		.amdhsa_user_sgpr_kernarg_preload_offset 0
		.amdhsa_user_sgpr_private_segment_size 0
		.amdhsa_uses_dynamic_stack 0
		.amdhsa_enable_private_segment 0
		.amdhsa_system_sgpr_workgroup_id_x 1
		.amdhsa_system_sgpr_workgroup_id_y 1
		.amdhsa_system_sgpr_workgroup_id_z 0
		.amdhsa_system_sgpr_workgroup_info 0
		.amdhsa_system_vgpr_workitem_id 1
		.amdhsa_next_free_vgpr 44
		.amdhsa_next_free_sgpr 26
		.amdhsa_accum_offset 44
		.amdhsa_reserve_vcc 1
		.amdhsa_float_round_mode_32 0
		.amdhsa_float_round_mode_16_64 0
		.amdhsa_float_denorm_mode_32 3
		.amdhsa_float_denorm_mode_16_64 3
		.amdhsa_dx10_clamp 1
		.amdhsa_ieee_mode 1
		.amdhsa_fp16_overflow 0
		.amdhsa_tg_split 0
		.amdhsa_exception_fp_ieee_invalid_op 0
		.amdhsa_exception_fp_denorm_src 0
		.amdhsa_exception_fp_ieee_div_zero 0
		.amdhsa_exception_fp_ieee_overflow 0
		.amdhsa_exception_fp_ieee_underflow 0
		.amdhsa_exception_fp_ieee_inexact 0
		.amdhsa_exception_int_div_zero 0
	.end_amdhsa_kernel
	.section	.text._ZN2at6native12_GLOBAL__N_135GammaBetaBackwardCUDAKernelTemplateIN3c104HalfEfLj64ELj16ELj128ELb0ELb1ELb1EEEvllPKT_S7_PKT0_SA_PS5_SB_,"axG",@progbits,_ZN2at6native12_GLOBAL__N_135GammaBetaBackwardCUDAKernelTemplateIN3c104HalfEfLj64ELj16ELj128ELb0ELb1ELb1EEEvllPKT_S7_PKT0_SA_PS5_SB_,comdat
.Lfunc_end171:
	.size	_ZN2at6native12_GLOBAL__N_135GammaBetaBackwardCUDAKernelTemplateIN3c104HalfEfLj64ELj16ELj128ELb0ELb1ELb1EEEvllPKT_S7_PKT0_SA_PS5_SB_, .Lfunc_end171-_ZN2at6native12_GLOBAL__N_135GammaBetaBackwardCUDAKernelTemplateIN3c104HalfEfLj64ELj16ELj128ELb0ELb1ELb1EEEvllPKT_S7_PKT0_SA_PS5_SB_
                                        ; -- End function
	.section	.AMDGPU.csdata,"",@progbits
; Kernel info:
; codeLenInByte = 1424
; NumSgprs: 32
; NumVgprs: 44
; NumAgprs: 0
; TotalNumVgprs: 44
; ScratchSize: 0
; MemoryBound: 0
; FloatMode: 240
; IeeeMode: 1
; LDSByteSize: 0 bytes/workgroup (compile time only)
; SGPRBlocks: 3
; VGPRBlocks: 5
; NumSGPRsForWavesPerEU: 32
; NumVGPRsForWavesPerEU: 44
; AccumOffset: 44
; Occupancy: 8
; WaveLimiterHint : 0
; COMPUTE_PGM_RSRC2:SCRATCH_EN: 0
; COMPUTE_PGM_RSRC2:USER_SGPR: 2
; COMPUTE_PGM_RSRC2:TRAP_HANDLER: 0
; COMPUTE_PGM_RSRC2:TGID_X_EN: 1
; COMPUTE_PGM_RSRC2:TGID_Y_EN: 1
; COMPUTE_PGM_RSRC2:TGID_Z_EN: 0
; COMPUTE_PGM_RSRC2:TIDIG_COMP_CNT: 1
; COMPUTE_PGM_RSRC3_GFX90A:ACCUM_OFFSET: 10
; COMPUTE_PGM_RSRC3_GFX90A:TG_SPLIT: 0
	.section	.text._ZN2at6native12_GLOBAL__N_135GammaBetaBackwardCUDAKernelTemplateIN3c104HalfEfLj64ELj16ELj128ELb0ELb0ELb1EEEvllPKT_S7_PKT0_SA_PS5_SB_,"axG",@progbits,_ZN2at6native12_GLOBAL__N_135GammaBetaBackwardCUDAKernelTemplateIN3c104HalfEfLj64ELj16ELj128ELb0ELb0ELb1EEEvllPKT_S7_PKT0_SA_PS5_SB_,comdat
	.globl	_ZN2at6native12_GLOBAL__N_135GammaBetaBackwardCUDAKernelTemplateIN3c104HalfEfLj64ELj16ELj128ELb0ELb0ELb1EEEvllPKT_S7_PKT0_SA_PS5_SB_ ; -- Begin function _ZN2at6native12_GLOBAL__N_135GammaBetaBackwardCUDAKernelTemplateIN3c104HalfEfLj64ELj16ELj128ELb0ELb0ELb1EEEvllPKT_S7_PKT0_SA_PS5_SB_
	.p2align	8
	.type	_ZN2at6native12_GLOBAL__N_135GammaBetaBackwardCUDAKernelTemplateIN3c104HalfEfLj64ELj16ELj128ELb0ELb0ELb1EEEvllPKT_S7_PKT0_SA_PS5_SB_,@function
_ZN2at6native12_GLOBAL__N_135GammaBetaBackwardCUDAKernelTemplateIN3c104HalfEfLj64ELj16ELj128ELb0ELb0ELb1EEEvllPKT_S7_PKT0_SA_PS5_SB_: ; @_ZN2at6native12_GLOBAL__N_135GammaBetaBackwardCUDAKernelTemplateIN3c104HalfEfLj64ELj16ELj128ELb0ELb0ELb1EEEvllPKT_S7_PKT0_SA_PS5_SB_
; %bb.0:
	s_load_dwordx8 s[8:15], s[0:1], 0x0
	s_load_dwordx2 s[24:25], s[0:1], 0x28
	s_lshl_b32 s33, s2, 6
	s_or_b32 s26, s33, 63
	s_mov_b32 s27, 0
	s_waitcnt lgkmcnt(0)
	v_mov_b64_e32 v[2:3], s[10:11]
	v_cmp_ge_i64_e32 vcc, s[26:27], v[2:3]
	s_lshl_b32 s26, s3, 7
	v_mov_b64_e32 v[2:3], s[8:9]
	v_cmp_lt_i64_e64 s[4:5], s[26:27], v[2:3]
	s_nop 1
	v_cndmask_b32_e64 v1, 0, 1, s[4:5]
	v_cmp_ne_u32_e64 s[4:5], 1, v1
	s_cbranch_vccz .LBB172_49
; %bb.1:
	s_and_b64 vcc, exec, s[4:5]
	v_mov_b32_e32 v4, 0
	s_cbranch_vccnz .LBB172_50
; %bb.2:
	v_mov_b32_e32 v3, 0
	v_bfe_u32 v64, v0, 10, 10
	s_load_dword s3, s[0:1], 0x44
	v_lshlrev_b32_e32 v26, 3, v64
	v_mov_b32_e32 v27, v3
	v_and_b32_e32 v1, 0x3ff, v0
	v_lshl_add_u64 v[4:5], v[26:27], 0, s[26:27]
	v_add_u32_e32 v2, s33, v1
	v_lshl_add_u64 v[6:7], v[4:5], 0, 7
	s_add_u32 s28, s0, 64
	v_cmp_gt_i64_e64 s[6:7], s[10:11], v[2:3]
	v_lshlrev_b64 v[28:29], 1, v[2:3]
	v_mul_lo_u32 v2, s11, v6
	v_mul_lo_u32 v8, s10, v7
	v_mad_u64_u32 v[6:7], s[18:19], s10, v6, 0
	s_addc_u32 s29, s1, 0
	s_waitcnt lgkmcnt(0)
	s_lshl_b32 s3, s3, 7
	v_add3_u32 v7, v7, v8, v2
	v_lshlrev_b64 v[6:7], 1, v[6:7]
	s_mul_i32 s17, s11, s3
	s_mul_hi_u32 s18, s10, s3
	v_lshl_add_u64 v[30:31], s[12:13], 0, v[6:7]
	s_add_i32 s19, s18, s17
	s_mul_i32 s18, s10, s3
	v_lshl_add_u64 v[32:33], s[14:15], 0, v[6:7]
	v_lshl_add_u64 v[6:7], v[4:5], 0, 6
	s_lshl_b64 s[30:31], s[18:19], 1
	v_mul_lo_u32 v2, s11, v6
	v_mul_lo_u32 v8, s10, v7
	v_mad_u64_u32 v[6:7], s[18:19], s10, v6, 0
	v_add3_u32 v7, v7, v8, v2
	v_lshlrev_b64 v[6:7], 1, v[6:7]
	v_lshl_add_u64 v[34:35], s[12:13], 0, v[6:7]
	v_lshl_add_u64 v[36:37], s[14:15], 0, v[6:7]
	v_lshl_add_u64 v[6:7], v[4:5], 0, 5
	v_mul_lo_u32 v2, s11, v6
	v_mul_lo_u32 v8, s10, v7
	v_mad_u64_u32 v[6:7], s[18:19], s10, v6, 0
	v_add3_u32 v7, v7, v8, v2
	v_lshlrev_b64 v[6:7], 1, v[6:7]
	v_lshl_add_u64 v[38:39], s[12:13], 0, v[6:7]
	v_lshl_add_u64 v[40:41], s[14:15], 0, v[6:7]
	v_lshl_add_u64 v[6:7], v[4:5], 0, 4
	;; [unrolled: 8-line block ×4, first 2 shown]
	v_mul_lo_u32 v2, s11, v6
	v_mul_lo_u32 v8, s10, v7
	v_mad_u64_u32 v[6:7], s[18:19], s10, v6, 0
	v_add3_u32 v7, v7, v8, v2
	v_lshlrev_b64 v[6:7], 1, v[6:7]
	v_lshl_add_u64 v[50:51], s[12:13], 0, v[6:7]
	v_lshl_add_u64 v[52:53], s[14:15], 0, v[6:7]
	v_mov_b64_e32 v[6:7], s[10:11]
	v_mad_u64_u32 v[6:7], s[18:19], s10, v4, v[6:7]
	v_mul_lo_u32 v2, s10, v5
	v_mul_lo_u32 v8, s11, v4
	v_mad_u64_u32 v[4:5], s[18:19], s10, v4, 0
	v_add3_u32 v7, v8, v7, v2
	v_add3_u32 v5, v5, v2, v8
	v_mbcnt_lo_u32_b32 v2, -1, 0
	v_mbcnt_hi_u32_b32 v2, -1, v2
	v_lshlrev_b64 v[6:7], 1, v[6:7]
	s_add_u32 s34, s26, 0x7f
	v_lshlrev_b64 v[4:5], 1, v[4:5]
	s_movk_i32 s36, 0xff81
	s_movk_i32 s38, 0xff82
	;; [unrolled: 1-line block ×8, first 2 shown]
	v_lshlrev_b32_e32 v2, 2, v2
	s_mov_b32 s16, 0
	v_lshl_add_u64 v[54:55], s[12:13], 0, v[6:7]
	v_lshl_add_u64 v[56:57], s[14:15], 0, v[6:7]
	s_addc_u32 s35, 0, 0
	v_lshl_add_u64 v[58:59], s[12:13], 0, v[4:5]
	v_lshl_add_u64 v[60:61], s[14:15], 0, v[4:5]
	s_mov_b32 s37, -1
	s_mov_b32 s39, -1
	;; [unrolled: 1-line block ×8, first 2 shown]
	v_and_b32_e32 v65, 0x100, v2
	s_mov_b64 s[52:53], s[26:27]
	v_mov_b32_e32 v66, 0
.LBB172_3:                              ; =>This Inner Loop Header: Depth=1
	v_mov_b64_e32 v[4:5], s[8:9]
	v_cmp_ge_i64_e32 vcc, s[34:35], v[4:5]
	v_lshl_add_u64 v[62:63], v[26:27], 0, s[34:35]
	s_cbranch_vccz .LBB172_25
; %bb.4:                                ;   in Loop: Header=BB172_3 Depth=1
	s_load_dword s17, s[28:29], 0xc
	v_mov_b32_e32 v67, 0
	s_waitcnt lgkmcnt(0)
	s_and_b32 s17, s17, 0xffff
	v_mad_u32_u24 v2, v64, s17, v1
	v_and_b32_e32 v2, 63, v2
	v_cmp_gt_u32_e32 vcc, 8, v2
	s_and_saveexec_b64 s[18:19], vcc
	s_cbranch_execz .LBB172_8
; %bb.5:                                ;   in Loop: Header=BB172_3 Depth=1
	v_lshl_add_u64 v[4:5], v[62:63], 0, v[2:3]
	v_lshl_add_u64 v[4:5], v[4:5], 0, s[36:37]
	v_cmp_gt_i64_e32 vcc, s[8:9], v[4:5]
	v_mov_b32_e32 v67, 0
	s_and_saveexec_b64 s[20:21], vcc
	s_cbranch_execz .LBB172_7
; %bb.6:                                ;   in Loop: Header=BB172_3 Depth=1
	v_lshl_add_u64 v[4:5], v[4:5], 2, s[24:25]
	global_load_dword v67, v[4:5], off
.LBB172_7:                              ;   in Loop: Header=BB172_3 Depth=1
	s_or_b64 exec, exec, s[20:21]
.LBB172_8:                              ;   in Loop: Header=BB172_3 Depth=1
	s_or_b64 exec, exec, s[18:19]
	s_mov_b32 s17, s16
	s_mov_b32 s18, s16
	;; [unrolled: 1-line block ×7, first 2 shown]
	v_mov_b64_e32 v[10:11], s[16:17]
	v_lshl_add_u64 v[4:5], v[62:63], 0, s[36:37]
	v_mov_b64_e32 v[16:17], s[22:23]
	v_cmp_gt_i64_e32 vcc, s[8:9], v[4:5]
	v_mov_b64_e32 v[12:13], s[18:19]
	v_mov_b64_e32 v[14:15], s[20:21]
	;; [unrolled: 1-line block ×3, first 2 shown]
	s_and_b64 s[54:55], s[6:7], vcc
	v_mov_b64_e32 v[22:23], v[14:15]
	v_mov_b64_e32 v[20:21], v[12:13]
	;; [unrolled: 1-line block ×3, first 2 shown]
	s_and_saveexec_b64 s[18:19], s[54:55]
	s_cbranch_execz .LBB172_10
; %bb.9:                                ;   in Loop: Header=BB172_3 Depth=1
	v_lshl_add_u64 v[4:5], v[58:59], 0, v[28:29]
	global_load_ushort v2, v[4:5], off
	v_lshl_add_u64 v[4:5], v[60:61], 0, v[28:29]
	global_load_ushort v10, v[4:5], off
	v_mov_b32_e32 v8, v3
	v_mov_b32_e32 v9, v3
	;; [unrolled: 1-line block ×13, first 2 shown]
	s_waitcnt vmcnt(1)
	v_cvt_f32_f16_e32 v2, v2
	v_mov_b64_e32 v[24:25], v[8:9]
	s_waitcnt vmcnt(0)
	v_cvt_f32_f16_e32 v10, v10
	v_mov_b64_e32 v[22:23], v[6:7]
	v_mov_b64_e32 v[20:21], v[4:5]
	;; [unrolled: 1-line block ×3, first 2 shown]
.LBB172_10:                             ;   in Loop: Header=BB172_3 Depth=1
	s_or_b64 exec, exec, s[18:19]
	v_lshl_add_u64 v[4:5], v[62:63], 0, s[38:39]
	v_cmp_gt_i64_e32 vcc, s[8:9], v[4:5]
	s_and_b64 s[20:21], s[6:7], vcc
	s_and_saveexec_b64 s[18:19], s[20:21]
	s_cbranch_execz .LBB172_12
; %bb.11:                               ;   in Loop: Header=BB172_3 Depth=1
	v_lshl_add_u64 v[4:5], v[54:55], 0, v[28:29]
	global_load_ushort v2, v[4:5], off
	v_lshl_add_u64 v[4:5], v[56:57], 0, v[28:29]
	global_load_ushort v4, v[4:5], off
	s_waitcnt vmcnt(1)
	v_cvt_f32_f16_e32 v19, v2
	s_waitcnt vmcnt(0)
	v_cvt_f32_f16_e32 v11, v4
.LBB172_12:                             ;   in Loop: Header=BB172_3 Depth=1
	s_or_b64 exec, exec, s[18:19]
	v_lshl_add_u64 v[4:5], v[62:63], 0, s[40:41]
	v_cmp_gt_i64_e32 vcc, s[8:9], v[4:5]
	s_and_b64 s[20:21], s[6:7], vcc
	s_and_saveexec_b64 s[18:19], s[20:21]
	s_cbranch_execz .LBB172_14
; %bb.13:                               ;   in Loop: Header=BB172_3 Depth=1
	v_lshl_add_u64 v[4:5], v[50:51], 0, v[28:29]
	global_load_ushort v2, v[4:5], off
	v_lshl_add_u64 v[4:5], v[52:53], 0, v[28:29]
	global_load_ushort v4, v[4:5], off
	s_waitcnt vmcnt(1)
	v_cvt_f32_f16_e32 v20, v2
	s_waitcnt vmcnt(0)
	v_cvt_f32_f16_e32 v12, v4
.LBB172_14:                             ;   in Loop: Header=BB172_3 Depth=1
	;; [unrolled: 16-line block ×7, first 2 shown]
	s_or_b64 exec, exec, s[18:19]
	s_waitcnt vmcnt(0)
	ds_bpermute_b32 v4, v65, v67 offset:4
	ds_bpermute_b32 v5, v65, v67 offset:8
	ds_bpermute_b32 v2, v65, v67
	v_mul_f32_e32 v8, v10, v18
	v_pk_mul_f32 v[10:11], v[10:11], v[18:19]
	v_pk_mul_f32 v[12:13], v[12:13], v[20:21]
	v_mov_b32_e32 v10, v11
	v_mov_b32_e32 v11, v12
	s_waitcnt lgkmcnt(1)
	v_pk_mul_f32 v[4:5], v[10:11], v[4:5]
	ds_bpermute_b32 v10, v65, v67 offset:12
	ds_bpermute_b32 v11, v65, v67 offset:16
	s_waitcnt lgkmcnt(2)
	v_fma_f32 v2, v8, v2, v66
	v_pk_mul_f32 v[8:9], v[14:15], v[22:23]
	v_add_f32_e32 v2, v2, v4
	v_add_f32_e32 v2, v2, v5
	v_mov_b32_e32 v4, v13
	v_mov_b32_e32 v5, v8
	s_waitcnt lgkmcnt(0)
	v_pk_mul_f32 v[4:5], v[4:5], v[10:11]
	ds_bpermute_b32 v10, v65, v67 offset:20
	ds_bpermute_b32 v11, v65, v67 offset:24
	v_pk_mul_f32 v[6:7], v[16:17], v[24:25]
	v_add_f32_e32 v2, v2, v4
	v_add_f32_e32 v7, v2, v5
	ds_bpermute_b32 v2, v65, v67 offset:28
	v_mov_b32_e32 v4, v9
	v_mov_b32_e32 v5, v6
	s_waitcnt lgkmcnt(1)
	v_pk_mul_f32 v[4:5], v[4:5], v[10:11]
	s_nop 0
	v_add_f32_e32 v4, v7, v4
	v_add_f32_e32 v4, v4, v5
	s_branch .LBB172_40
.LBB172_25:                             ;   in Loop: Header=BB172_3 Depth=1
                                        ; implicit-def: $vgpr4
                                        ; implicit-def: $vgpr10_vgpr11_vgpr12_vgpr13_vgpr14_vgpr15_vgpr16_vgpr17
                                        ; implicit-def: $vgpr18_vgpr19_vgpr20_vgpr21_vgpr22_vgpr23_vgpr24_vgpr25
                                        ; implicit-def: $vgpr2
	s_cbranch_execz .LBB172_40
; %bb.26:                               ;   in Loop: Header=BB172_3 Depth=1
	s_load_dword s17, s[28:29], 0x0
	v_mov_b32_e32 v67, 0
	s_waitcnt lgkmcnt(0)
	s_cmp_lt_u32 s2, s17
	s_cselect_b32 s17, 12, 18
	s_add_u32 s18, s28, s17
	s_addc_u32 s19, s29, 0
	global_load_ushort v2, v3, s[18:19]
	s_waitcnt vmcnt(0)
	v_mad_u32_u24 v2, v64, v2, v1
	v_and_b32_e32 v2, 63, v2
	v_cmp_gt_u32_e32 vcc, 8, v2
	s_and_saveexec_b64 s[18:19], vcc
	s_cbranch_execz .LBB172_30
; %bb.27:                               ;   in Loop: Header=BB172_3 Depth=1
	v_lshl_add_u64 v[4:5], v[62:63], 0, v[2:3]
	v_lshl_add_u64 v[4:5], v[4:5], 0, s[36:37]
	v_cmp_gt_i64_e32 vcc, s[8:9], v[4:5]
	v_mov_b32_e32 v67, 0
	s_and_saveexec_b64 s[20:21], vcc
	s_cbranch_execz .LBB172_29
; %bb.28:                               ;   in Loop: Header=BB172_3 Depth=1
	v_lshl_add_u64 v[4:5], v[4:5], 2, s[24:25]
	global_load_dword v67, v[4:5], off
.LBB172_29:                             ;   in Loop: Header=BB172_3 Depth=1
	s_or_b64 exec, exec, s[20:21]
.LBB172_30:                             ;   in Loop: Header=BB172_3 Depth=1
	s_or_b64 exec, exec, s[18:19]
	s_mov_b32 s17, s16
	s_mov_b32 s18, s16
	;; [unrolled: 1-line block ×7, first 2 shown]
	v_mov_b64_e32 v[10:11], s[16:17]
	v_mov_b64_e32 v[16:17], s[22:23]
	;; [unrolled: 1-line block ×8, first 2 shown]
	s_and_saveexec_b64 s[18:19], s[6:7]
	s_cbranch_execnz .LBB172_42
; %bb.31:                               ;   in Loop: Header=BB172_3 Depth=1
	s_or_b64 exec, exec, s[18:19]
	s_and_saveexec_b64 s[18:19], s[6:7]
	s_cbranch_execnz .LBB172_43
.LBB172_32:                             ;   in Loop: Header=BB172_3 Depth=1
	s_or_b64 exec, exec, s[18:19]
	s_and_saveexec_b64 s[18:19], s[6:7]
	s_cbranch_execnz .LBB172_44
.LBB172_33:                             ;   in Loop: Header=BB172_3 Depth=1
	s_or_b64 exec, exec, s[18:19]
	s_and_saveexec_b64 s[18:19], s[6:7]
	s_cbranch_execnz .LBB172_45
.LBB172_34:                             ;   in Loop: Header=BB172_3 Depth=1
	s_or_b64 exec, exec, s[18:19]
	s_and_saveexec_b64 s[18:19], s[6:7]
	s_cbranch_execnz .LBB172_46
.LBB172_35:                             ;   in Loop: Header=BB172_3 Depth=1
	s_or_b64 exec, exec, s[18:19]
	s_and_saveexec_b64 s[18:19], s[6:7]
	s_cbranch_execnz .LBB172_47
.LBB172_36:                             ;   in Loop: Header=BB172_3 Depth=1
	s_or_b64 exec, exec, s[18:19]
	s_and_saveexec_b64 s[18:19], s[6:7]
	s_cbranch_execnz .LBB172_48
.LBB172_37:                             ;   in Loop: Header=BB172_3 Depth=1
	s_or_b64 exec, exec, s[18:19]
	s_and_saveexec_b64 s[18:19], s[6:7]
	s_cbranch_execz .LBB172_39
.LBB172_38:                             ;   in Loop: Header=BB172_3 Depth=1
	v_lshl_add_u64 v[4:5], v[30:31], 0, v[28:29]
	global_load_ushort v2, v[4:5], off
	v_lshl_add_u64 v[4:5], v[32:33], 0, v[28:29]
	global_load_ushort v4, v[4:5], off
	s_waitcnt vmcnt(1)
	v_cvt_f32_f16_e32 v25, v2
	s_waitcnt vmcnt(0)
	v_cvt_f32_f16_e32 v17, v4
.LBB172_39:                             ;   in Loop: Header=BB172_3 Depth=1
	s_or_b64 exec, exec, s[18:19]
	s_waitcnt vmcnt(0)
	ds_bpermute_b32 v4, v65, v67 offset:4
	ds_bpermute_b32 v5, v65, v67 offset:8
	ds_bpermute_b32 v2, v65, v67
	v_mul_f32_e32 v8, v10, v18
	v_pk_mul_f32 v[10:11], v[10:11], v[18:19]
	v_pk_mul_f32 v[12:13], v[12:13], v[20:21]
	v_mov_b32_e32 v10, v11
	v_mov_b32_e32 v11, v12
	s_waitcnt lgkmcnt(1)
	v_pk_mul_f32 v[4:5], v[10:11], v[4:5]
	ds_bpermute_b32 v10, v65, v67 offset:12
	ds_bpermute_b32 v11, v65, v67 offset:16
	s_waitcnt lgkmcnt(2)
	v_fmac_f32_e32 v66, v8, v2
	v_pk_mul_f32 v[8:9], v[14:15], v[22:23]
	v_add_f32_e32 v2, v66, v4
	v_add_f32_e32 v2, v2, v5
	v_mov_b32_e32 v4, v13
	v_mov_b32_e32 v5, v8
	s_waitcnt lgkmcnt(0)
	v_pk_mul_f32 v[4:5], v[4:5], v[10:11]
	ds_bpermute_b32 v10, v65, v67 offset:20
	ds_bpermute_b32 v11, v65, v67 offset:24
	v_pk_mul_f32 v[6:7], v[16:17], v[24:25]
	v_add_f32_e32 v2, v2, v4
	v_add_f32_e32 v7, v2, v5
	v_mov_b32_e32 v4, v9
	v_mov_b32_e32 v5, v6
	s_waitcnt lgkmcnt(0)
	v_pk_mul_f32 v[4:5], v[4:5], v[10:11]
	ds_bpermute_b32 v2, v65, v67 offset:28
	v_add_f32_e32 v4, v7, v4
	v_add_f32_e32 v4, v4, v5
.LBB172_40:                             ;   in Loop: Header=BB172_3 Depth=1
	s_add_u32 s52, s52, s3
	s_addc_u32 s53, s53, 0
	v_mov_b64_e32 v[6:7], s[8:9]
	v_mul_f32_e32 v5, v25, v17
	s_add_u32 s34, s34, s3
	v_cmp_lt_i64_e32 vcc, s[52:53], v[6:7]
	s_waitcnt lgkmcnt(0)
	v_fmac_f32_e32 v4, v5, v2
	v_lshl_add_u64 v[30:31], v[30:31], 0, s[30:31]
	v_lshl_add_u64 v[32:33], v[32:33], 0, s[30:31]
	v_lshl_add_u64 v[34:35], v[34:35], 0, s[30:31]
	v_lshl_add_u64 v[36:37], v[36:37], 0, s[30:31]
	v_lshl_add_u64 v[38:39], v[38:39], 0, s[30:31]
	v_lshl_add_u64 v[40:41], v[40:41], 0, s[30:31]
	v_lshl_add_u64 v[42:43], v[42:43], 0, s[30:31]
	v_lshl_add_u64 v[44:45], v[44:45], 0, s[30:31]
	v_lshl_add_u64 v[46:47], v[46:47], 0, s[30:31]
	v_lshl_add_u64 v[48:49], v[48:49], 0, s[30:31]
	v_lshl_add_u64 v[50:51], v[50:51], 0, s[30:31]
	v_lshl_add_u64 v[52:53], v[52:53], 0, s[30:31]
	v_lshl_add_u64 v[54:55], v[54:55], 0, s[30:31]
	v_lshl_add_u64 v[56:57], v[56:57], 0, s[30:31]
	s_addc_u32 s35, s35, 0
	v_lshl_add_u64 v[58:59], v[58:59], 0, s[30:31]
	v_lshl_add_u64 v[60:61], v[60:61], 0, s[30:31]
	s_cbranch_vccz .LBB172_50
; %bb.41:                               ;   in Loop: Header=BB172_3 Depth=1
	v_mov_b32_e32 v66, v4
	s_branch .LBB172_3
.LBB172_42:                             ;   in Loop: Header=BB172_3 Depth=1
	v_lshl_add_u64 v[4:5], v[58:59], 0, v[28:29]
	global_load_ushort v2, v[4:5], off
	v_lshl_add_u64 v[4:5], v[60:61], 0, v[28:29]
	global_load_ushort v10, v[4:5], off
	v_mov_b32_e32 v8, v3
	v_mov_b32_e32 v9, v3
	;; [unrolled: 1-line block ×13, first 2 shown]
	s_waitcnt vmcnt(1)
	v_cvt_f32_f16_e32 v2, v2
	v_mov_b64_e32 v[24:25], v[8:9]
	s_waitcnt vmcnt(0)
	v_cvt_f32_f16_e32 v10, v10
	v_mov_b64_e32 v[22:23], v[6:7]
	v_mov_b64_e32 v[20:21], v[4:5]
	;; [unrolled: 1-line block ×3, first 2 shown]
	s_or_b64 exec, exec, s[18:19]
	s_and_saveexec_b64 s[18:19], s[6:7]
	s_cbranch_execz .LBB172_32
.LBB172_43:                             ;   in Loop: Header=BB172_3 Depth=1
	v_lshl_add_u64 v[4:5], v[54:55], 0, v[28:29]
	global_load_ushort v2, v[4:5], off
	v_lshl_add_u64 v[4:5], v[56:57], 0, v[28:29]
	global_load_ushort v4, v[4:5], off
	s_waitcnt vmcnt(1)
	v_cvt_f32_f16_e32 v19, v2
	s_waitcnt vmcnt(0)
	v_cvt_f32_f16_e32 v11, v4
	s_or_b64 exec, exec, s[18:19]
	s_and_saveexec_b64 s[18:19], s[6:7]
	s_cbranch_execz .LBB172_33
.LBB172_44:                             ;   in Loop: Header=BB172_3 Depth=1
	v_lshl_add_u64 v[4:5], v[50:51], 0, v[28:29]
	global_load_ushort v2, v[4:5], off
	v_lshl_add_u64 v[4:5], v[52:53], 0, v[28:29]
	global_load_ushort v4, v[4:5], off
	s_waitcnt vmcnt(1)
	v_cvt_f32_f16_e32 v20, v2
	s_waitcnt vmcnt(0)
	v_cvt_f32_f16_e32 v12, v4
	s_or_b64 exec, exec, s[18:19]
	s_and_saveexec_b64 s[18:19], s[6:7]
	s_cbranch_execz .LBB172_34
.LBB172_45:                             ;   in Loop: Header=BB172_3 Depth=1
	v_lshl_add_u64 v[4:5], v[46:47], 0, v[28:29]
	global_load_ushort v2, v[4:5], off
	v_lshl_add_u64 v[4:5], v[48:49], 0, v[28:29]
	global_load_ushort v4, v[4:5], off
	s_waitcnt vmcnt(1)
	v_cvt_f32_f16_e32 v21, v2
	s_waitcnt vmcnt(0)
	v_cvt_f32_f16_e32 v13, v4
	s_or_b64 exec, exec, s[18:19]
	s_and_saveexec_b64 s[18:19], s[6:7]
	s_cbranch_execz .LBB172_35
.LBB172_46:                             ;   in Loop: Header=BB172_3 Depth=1
	v_lshl_add_u64 v[4:5], v[42:43], 0, v[28:29]
	global_load_ushort v2, v[4:5], off
	v_lshl_add_u64 v[4:5], v[44:45], 0, v[28:29]
	global_load_ushort v4, v[4:5], off
	s_waitcnt vmcnt(1)
	v_cvt_f32_f16_e32 v22, v2
	s_waitcnt vmcnt(0)
	v_cvt_f32_f16_e32 v14, v4
	s_or_b64 exec, exec, s[18:19]
	s_and_saveexec_b64 s[18:19], s[6:7]
	s_cbranch_execz .LBB172_36
.LBB172_47:                             ;   in Loop: Header=BB172_3 Depth=1
	v_lshl_add_u64 v[4:5], v[38:39], 0, v[28:29]
	global_load_ushort v2, v[4:5], off
	v_lshl_add_u64 v[4:5], v[40:41], 0, v[28:29]
	global_load_ushort v4, v[4:5], off
	s_waitcnt vmcnt(1)
	v_cvt_f32_f16_e32 v23, v2
	s_waitcnt vmcnt(0)
	v_cvt_f32_f16_e32 v15, v4
	s_or_b64 exec, exec, s[18:19]
	s_and_saveexec_b64 s[18:19], s[6:7]
	s_cbranch_execz .LBB172_37
.LBB172_48:                             ;   in Loop: Header=BB172_3 Depth=1
	v_lshl_add_u64 v[4:5], v[34:35], 0, v[28:29]
	global_load_ushort v2, v[4:5], off
	v_lshl_add_u64 v[4:5], v[36:37], 0, v[28:29]
	global_load_ushort v4, v[4:5], off
	s_waitcnt vmcnt(1)
	v_cvt_f32_f16_e32 v24, v2
	s_waitcnt vmcnt(0)
	v_cvt_f32_f16_e32 v16, v4
	s_or_b64 exec, exec, s[18:19]
	s_and_saveexec_b64 s[18:19], s[6:7]
	s_cbranch_execnz .LBB172_38
	s_branch .LBB172_39
.LBB172_49:
                                        ; implicit-def: $vgpr4
	s_branch .LBB172_51
.LBB172_50:
	s_cbranch_execnz .LBB172_83
.LBB172_51:
	s_and_b64 vcc, exec, s[4:5]
	v_mov_b32_e32 v4, 0
	s_cbranch_vccnz .LBB172_83
; %bb.52:
	v_and_b32_e32 v1, 0x3ff, v0
	v_add_u32_e32 v2, s33, v1
	v_mov_b32_e32 v3, 0
	v_bfe_u32 v92, v0, 10, 10
	v_lshlrev_b64 v[28:29], 1, v[2:3]
	v_lshlrev_b32_e32 v2, 4, v92
	v_lshl_add_u64 v[4:5], s[26:27], 1, v[2:3]
	v_lshl_add_u64 v[6:7], v[4:5], 0, 2
	v_mov_b64_e32 v[8:9], s[12:13]
	v_lshl_add_u64 v[10:11], v[4:5], 0, 4
	v_lshl_add_u64 v[12:13], v[4:5], 0, 6
	;; [unrolled: 1-line block ×6, first 2 shown]
	v_mad_u64_u32 v[30:31], s[4:5], s10, v6, v[8:9]
	v_mad_u64_u32 v[32:33], s[4:5], s10, v10, v[8:9]
	;; [unrolled: 1-line block ×7, first 2 shown]
	v_mov_b64_e32 v[8:9], s[14:15]
	v_lshlrev_b32_e32 v26, 3, v92
	v_mov_b32_e32 v27, v3
	v_mul_lo_u32 v2, s10, v7
	v_mul_lo_u32 v7, s11, v6
	v_mad_u64_u32 v[44:45], s[4:5], s10, v6, v[8:9]
	v_add3_u32 v31, v7, v31, v2
	v_mul_lo_u32 v5, s10, v5
	v_mul_lo_u32 v25, s11, v4
	v_add3_u32 v45, v7, v45, v2
	v_lshl_add_u64 v[6:7], v[26:27], 0, s[26:27]
	v_mad_u64_u32 v[56:57], s[4:5], s10, v4, v[8:9]
	v_add3_u32 v43, v25, v43, v5
	v_add3_u32 v57, v25, v57, v5
	v_lshl_add_u64 v[4:5], v[6:7], 0, 7
	v_mad_u64_u32 v[46:47], s[4:5], s10, v10, v[8:9]
	v_mad_u64_u32 v[48:49], s[4:5], s10, v12, v[8:9]
	;; [unrolled: 1-line block ×5, first 2 shown]
	v_mul_lo_u32 v8, s11, v4
	v_mul_lo_u32 v9, s10, v5
	v_mad_u64_u32 v[4:5], s[4:5], s10, v4, 0
	v_mul_lo_u32 v11, s10, v11
	v_mul_lo_u32 v20, s11, v10
	v_add3_u32 v5, v5, v9, v8
	v_lshl_add_u64 v[8:9], v[6:7], 0, 6
	v_add3_u32 v33, v20, v33, v11
	v_add3_u32 v47, v20, v47, v11
	v_mul_lo_u32 v10, s11, v8
	v_mul_lo_u32 v11, s10, v9
	v_mad_u64_u32 v[8:9], s[4:5], s10, v8, 0
	v_mul_lo_u32 v13, s10, v13
	v_mul_lo_u32 v21, s11, v12
	v_add3_u32 v9, v9, v11, v10
	v_lshl_add_u64 v[10:11], v[6:7], 0, 5
	v_add3_u32 v35, v21, v35, v13
	v_add3_u32 v49, v21, v49, v13
	;; [unrolled: 9-line block ×4, first 2 shown]
	v_mul_lo_u32 v16, s11, v14
	v_mul_lo_u32 v17, s10, v15
	v_mad_u64_u32 v[14:15], s[4:5], s10, v14, 0
	v_mul_lo_u32 v19, s10, v19
	v_mul_lo_u32 v24, s11, v18
	v_add3_u32 v15, v15, v17, v16
	v_lshl_add_u64 v[16:17], v[6:7], 0, 2
	s_load_dword s3, s[0:1], 0x44
	v_lshlrev_b64 v[4:5], 1, v[4:5]
	v_add3_u32 v41, v24, v41, v19
	v_add3_u32 v55, v24, v55, v19
	v_mul_lo_u32 v18, s11, v16
	v_mul_lo_u32 v19, s10, v17
	v_mad_u64_u32 v[16:17], s[4:5], s10, v16, 0
	v_lshl_add_u64 v[62:63], s[12:13], 0, v[4:5]
	v_lshl_add_u64 v[64:65], s[14:15], 0, v[4:5]
	v_lshlrev_b64 v[4:5], 1, v[8:9]
	v_add3_u32 v17, v17, v19, v18
	v_mov_b64_e32 v[18:19], s[10:11]
	v_lshl_add_u64 v[66:67], s[12:13], 0, v[4:5]
	v_lshl_add_u64 v[68:69], s[14:15], 0, v[4:5]
	v_lshlrev_b64 v[4:5], 1, v[10:11]
	v_mul_lo_u32 v2, s11, v6
	v_mad_u64_u32 v[18:19], s[4:5], s10, v6, v[18:19]
	v_mul_lo_u32 v20, s10, v7
	v_mad_u64_u32 v[6:7], s[4:5], s10, v6, 0
	v_lshl_add_u64 v[70:71], s[12:13], 0, v[4:5]
	v_lshl_add_u64 v[72:73], s[14:15], 0, v[4:5]
	v_lshlrev_b64 v[4:5], 1, v[12:13]
	s_add_u32 s4, s0, 64
	v_lshl_add_u64 v[74:75], s[12:13], 0, v[4:5]
	v_lshl_add_u64 v[76:77], s[14:15], 0, v[4:5]
	v_lshlrev_b64 v[4:5], 1, v[14:15]
	v_add3_u32 v7, v7, v20, v2
	v_add3_u32 v19, v2, v19, v20
	s_addc_u32 s5, s1, 0
	s_waitcnt lgkmcnt(0)
	s_lshl_b32 s3, s3, 7
	v_lshl_add_u64 v[78:79], s[12:13], 0, v[4:5]
	v_lshl_add_u64 v[80:81], s[14:15], 0, v[4:5]
	v_lshlrev_b64 v[4:5], 1, v[16:17]
	v_mbcnt_lo_u32_b32 v2, -1, 0
	s_add_u32 s6, s26, 0x7f
	s_mul_i32 s17, s11, s3
	s_mul_hi_u32 s18, s10, s3
	v_lshlrev_b64 v[6:7], 1, v[6:7]
	v_lshl_add_u64 v[82:83], s[12:13], 0, v[4:5]
	v_lshl_add_u64 v[84:85], s[14:15], 0, v[4:5]
	v_lshlrev_b64 v[4:5], 1, v[18:19]
	v_mbcnt_hi_u32_b32 v2, -1, v2
	s_addc_u32 s7, 0, 0
	s_add_i32 s19, s18, s17
	s_mul_i32 s18, s10, s3
	v_lshl_add_u64 v[58:59], s[12:13], 0, v[6:7]
	v_lshl_add_u64 v[60:61], s[14:15], 0, v[6:7]
	v_lshl_add_u64 v[86:87], s[12:13], 0, v[4:5]
	v_lshl_add_u64 v[88:89], s[14:15], 0, v[4:5]
	s_movk_i32 s12, 0xff81
	s_movk_i32 s14, 0xff82
	;; [unrolled: 1-line block ×8, first 2 shown]
	v_lshlrev_b32_e32 v2, 2, v2
	s_mov_b32 s16, 0
	s_lshl_b64 s[28:29], s[18:19], 1
	s_mov_b32 s13, -1
	s_mov_b32 s15, -1
	;; [unrolled: 1-line block ×8, first 2 shown]
	v_and_b32_e32 v93, 0x100, v2
	v_mov_b32_e32 v94, 0
.LBB172_53:                             ; =>This Inner Loop Header: Depth=1
	v_mov_b64_e32 v[4:5], s[8:9]
	v_cmp_ge_i64_e32 vcc, s[6:7], v[4:5]
	v_lshl_add_u64 v[90:91], v[26:27], 0, s[6:7]
	s_cbranch_vccz .LBB172_75
; %bb.54:                               ;   in Loop: Header=BB172_53 Depth=1
	s_load_dword s17, s[4:5], 0xc
	v_mov_b32_e32 v95, 0
	s_waitcnt lgkmcnt(0)
	s_and_b32 s17, s17, 0xffff
	v_mad_u32_u24 v2, v92, s17, v1
	v_and_b32_e32 v2, 63, v2
	v_cmp_gt_u32_e32 vcc, 8, v2
	s_and_saveexec_b64 s[18:19], vcc
	s_cbranch_execz .LBB172_58
; %bb.55:                               ;   in Loop: Header=BB172_53 Depth=1
	v_lshl_add_u64 v[4:5], v[90:91], 0, v[2:3]
	v_lshl_add_u64 v[4:5], v[4:5], 0, s[12:13]
	v_cmp_gt_i64_e32 vcc, s[8:9], v[4:5]
	v_mov_b32_e32 v95, 0
	s_and_saveexec_b64 s[20:21], vcc
	s_cbranch_execz .LBB172_57
; %bb.56:                               ;   in Loop: Header=BB172_53 Depth=1
	v_lshl_add_u64 v[4:5], v[4:5], 2, s[24:25]
	global_load_dword v95, v[4:5], off
.LBB172_57:                             ;   in Loop: Header=BB172_53 Depth=1
	s_or_b64 exec, exec, s[20:21]
.LBB172_58:                             ;   in Loop: Header=BB172_53 Depth=1
	s_or_b64 exec, exec, s[18:19]
	s_mov_b32 s17, s16
	s_mov_b32 s18, s16
	;; [unrolled: 1-line block ×7, first 2 shown]
	v_mov_b64_e32 v[10:11], s[16:17]
	v_mov_b64_e32 v[16:17], s[22:23]
	v_lshl_add_u64 v[4:5], v[90:91], 0, s[12:13]
	v_mov_b64_e32 v[12:13], s[18:19]
	v_mov_b64_e32 v[14:15], s[20:21]
	;; [unrolled: 1-line block ×3, first 2 shown]
	v_cmp_gt_i64_e32 vcc, s[8:9], v[4:5]
	v_mov_b64_e32 v[22:23], v[14:15]
	v_mov_b64_e32 v[20:21], v[12:13]
	;; [unrolled: 1-line block ×3, first 2 shown]
	s_and_saveexec_b64 s[18:19], vcc
	s_cbranch_execz .LBB172_60
; %bb.59:                               ;   in Loop: Header=BB172_53 Depth=1
	v_lshl_add_u64 v[4:5], v[58:59], 0, v[28:29]
	global_load_ushort v2, v[4:5], off
	v_lshl_add_u64 v[4:5], v[60:61], 0, v[28:29]
	global_load_ushort v10, v[4:5], off
	v_mov_b32_e32 v8, v3
	v_mov_b32_e32 v9, v3
	;; [unrolled: 1-line block ×13, first 2 shown]
	s_waitcnt vmcnt(1)
	v_cvt_f32_f16_e32 v2, v2
	v_mov_b64_e32 v[24:25], v[8:9]
	s_waitcnt vmcnt(0)
	v_cvt_f32_f16_e32 v10, v10
	v_mov_b64_e32 v[22:23], v[6:7]
	v_mov_b64_e32 v[20:21], v[4:5]
	v_mov_b64_e32 v[18:19], v[2:3]
.LBB172_60:                             ;   in Loop: Header=BB172_53 Depth=1
	s_or_b64 exec, exec, s[18:19]
	v_lshl_add_u64 v[4:5], v[90:91], 0, s[14:15]
	v_cmp_gt_i64_e32 vcc, s[8:9], v[4:5]
	s_and_saveexec_b64 s[18:19], vcc
	s_cbranch_execz .LBB172_62
; %bb.61:                               ;   in Loop: Header=BB172_53 Depth=1
	v_lshl_add_u64 v[4:5], v[86:87], 0, v[28:29]
	global_load_ushort v2, v[4:5], off
	v_lshl_add_u64 v[4:5], v[88:89], 0, v[28:29]
	global_load_ushort v4, v[4:5], off
	s_waitcnt vmcnt(1)
	v_cvt_f32_f16_e32 v19, v2
	s_waitcnt vmcnt(0)
	v_cvt_f32_f16_e32 v11, v4
.LBB172_62:                             ;   in Loop: Header=BB172_53 Depth=1
	s_or_b64 exec, exec, s[18:19]
	v_lshl_add_u64 v[4:5], v[90:91], 0, s[30:31]
	v_cmp_gt_i64_e32 vcc, s[8:9], v[4:5]
	s_and_saveexec_b64 s[18:19], vcc
	s_cbranch_execz .LBB172_64
; %bb.63:                               ;   in Loop: Header=BB172_53 Depth=1
	v_lshl_add_u64 v[4:5], v[82:83], 0, v[28:29]
	global_load_ushort v2, v[4:5], off
	v_lshl_add_u64 v[4:5], v[84:85], 0, v[28:29]
	global_load_ushort v4, v[4:5], off
	s_waitcnt vmcnt(1)
	v_cvt_f32_f16_e32 v20, v2
	s_waitcnt vmcnt(0)
	v_cvt_f32_f16_e32 v12, v4
.LBB172_64:                             ;   in Loop: Header=BB172_53 Depth=1
	;; [unrolled: 15-line block ×7, first 2 shown]
	s_or_b64 exec, exec, s[18:19]
	s_waitcnt vmcnt(0)
	ds_bpermute_b32 v4, v93, v95
	ds_bpermute_b32 v5, v93, v95 offset:4
	v_pk_mul_f32 v[8:9], v[14:15], v[22:23]
	ds_bpermute_b32 v14, v93, v95 offset:8
	ds_bpermute_b32 v15, v93, v95 offset:12
	v_pk_mul_f32 v[10:11], v[10:11], v[18:19]
	v_pk_mul_f32 v[12:13], v[12:13], v[20:21]
	s_waitcnt lgkmcnt(2)
	v_pk_mul_f32 v[4:5], v[10:11], v[4:5]
	ds_bpermute_b32 v10, v93, v95 offset:16
	ds_bpermute_b32 v11, v93, v95 offset:20
	v_add_f32_e32 v2, v94, v4
	v_add_f32_e32 v2, v2, v5
	s_waitcnt lgkmcnt(2)
	v_pk_mul_f32 v[4:5], v[12:13], v[14:15]
	ds_bpermute_b32 v12, v93, v95 offset:24
	ds_bpermute_b32 v13, v93, v95 offset:28
	v_add_f32_e32 v2, v2, v4
	v_add_f32_e32 v2, v2, v5
	s_waitcnt lgkmcnt(2)
	v_pk_mul_f32 v[4:5], v[8:9], v[10:11]
	v_pk_mul_f32 v[6:7], v[16:17], v[24:25]
	v_add_f32_e32 v2, v2, v4
	v_add_f32_e32 v2, v2, v5
	s_waitcnt lgkmcnt(0)
	v_pk_mul_f32 v[4:5], v[6:7], v[12:13]
	s_nop 0
	v_add_f32_e32 v2, v2, v4
	v_add_f32_e32 v4, v2, v5
	s_branch .LBB172_81
.LBB172_75:                             ;   in Loop: Header=BB172_53 Depth=1
                                        ; implicit-def: $vgpr4
	s_cbranch_execz .LBB172_81
; %bb.76:                               ;   in Loop: Header=BB172_53 Depth=1
	s_load_dword s17, s[4:5], 0x0
	v_mov_b32_e32 v6, 0
	s_waitcnt lgkmcnt(0)
	s_cmp_lt_u32 s2, s17
	s_cselect_b32 s17, 12, 18
	s_add_u32 s18, s4, s17
	s_addc_u32 s19, s5, 0
	global_load_ushort v2, v3, s[18:19]
	s_waitcnt vmcnt(0)
	v_mad_u32_u24 v2, v92, v2, v1
	v_and_b32_e32 v2, 63, v2
	v_cmp_gt_u32_e32 vcc, 8, v2
	s_and_saveexec_b64 s[18:19], vcc
	s_cbranch_execz .LBB172_80
; %bb.77:                               ;   in Loop: Header=BB172_53 Depth=1
	v_lshl_add_u64 v[4:5], v[90:91], 0, v[2:3]
	v_lshl_add_u64 v[4:5], v[4:5], 0, s[12:13]
	v_cmp_gt_i64_e32 vcc, s[8:9], v[4:5]
	v_mov_b32_e32 v6, 0
	s_and_saveexec_b64 s[20:21], vcc
	s_cbranch_execz .LBB172_79
; %bb.78:                               ;   in Loop: Header=BB172_53 Depth=1
	v_lshl_add_u64 v[4:5], v[4:5], 2, s[24:25]
	global_load_dword v6, v[4:5], off
.LBB172_79:                             ;   in Loop: Header=BB172_53 Depth=1
	s_or_b64 exec, exec, s[20:21]
.LBB172_80:                             ;   in Loop: Header=BB172_53 Depth=1
	s_or_b64 exec, exec, s[18:19]
	v_lshl_add_u64 v[4:5], v[58:59], 0, v[28:29]
	global_load_ushort v2, v[4:5], off
	v_lshl_add_u64 v[4:5], v[60:61], 0, v[28:29]
	global_load_ushort v7, v[4:5], off
	;; [unrolled: 2-line block ×16, first 2 shown]
	s_waitcnt vmcnt(16)
	ds_bpermute_b32 v5, v93, v6
	ds_bpermute_b32 v21, v93, v6 offset:4
	ds_bpermute_b32 v22, v93, v6 offset:8
	;; [unrolled: 1-line block ×7, first 2 shown]
	s_waitcnt vmcnt(15)
	v_cvt_f32_f16_e32 v2, v2
	s_waitcnt vmcnt(14)
	v_cvt_f32_f16_e32 v7, v7
	;; [unrolled: 2-line block ×4, first 2 shown]
	v_mul_f32_e32 v2, v2, v7
	s_waitcnt vmcnt(11)
	v_cvt_f32_f16_e32 v10, v10
	s_waitcnt lgkmcnt(7)
	v_fmac_f32_e32 v94, v2, v5
	s_waitcnt vmcnt(10)
	v_cvt_f32_f16_e32 v11, v11
	v_mul_f32_e32 v7, v8, v9
	s_waitcnt vmcnt(9)
	v_cvt_f32_f16_e32 v12, v12
	s_waitcnt lgkmcnt(6)
	v_fmac_f32_e32 v94, v7, v21
	s_waitcnt vmcnt(8)
	v_cvt_f32_f16_e32 v13, v13
	;; [unrolled: 7-line block ×6, first 2 shown]
	v_mul_f32_e32 v12, v18, v19
	s_waitcnt lgkmcnt(1)
	v_fmac_f32_e32 v94, v12, v90
	v_mul_f32_e32 v2, v20, v4
	s_waitcnt lgkmcnt(0)
	v_fmac_f32_e32 v94, v2, v6
	v_mov_b32_e32 v4, v94
.LBB172_81:                             ;   in Loop: Header=BB172_53 Depth=1
	s_add_u32 s26, s26, s3
	s_addc_u32 s27, s27, 0
	v_mov_b64_e32 v[6:7], s[8:9]
	s_add_u32 s6, s6, s3
	v_cmp_ge_i64_e32 vcc, s[26:27], v[6:7]
	s_addc_u32 s7, s7, 0
	v_lshl_add_u64 v[30:31], v[30:31], 0, s[28:29]
	v_lshl_add_u64 v[32:33], v[32:33], 0, s[28:29]
	;; [unrolled: 1-line block ×30, first 2 shown]
	s_cbranch_vccnz .LBB172_83
; %bb.82:                               ;   in Loop: Header=BB172_53 Depth=1
	v_mov_b32_e32 v94, v4
	s_branch .LBB172_53
.LBB172_83:
	v_bfe_u32 v2, v0, 10, 10
	v_and_b32_e32 v5, 0x3ff, v0
	s_movk_i32 s3, 0x41
	v_mad_u32_u24 v0, v2, s3, v5
	v_lshl_add_u32 v0, v0, 2, 0
	v_mov_b32_e32 v1, 0
	ds_write_b32 v0, v4
	ds_write_b32 v0, v1 offset:4160
	v_lshrrev_b32_e32 v0, 6, v5
	v_add_u32_e32 v3, v0, v2
	s_mov_b32 s3, 0
	v_cmp_gt_u32_e32 vcc, 64, v3
	s_waitcnt lgkmcnt(0)
	s_barrier
	s_and_saveexec_b64 s[4:5], vcc
	s_cbranch_execz .LBB172_90
; %bb.84:
	v_mbcnt_lo_u32_b32 v6, -1, 0
	v_mbcnt_hi_u32_b32 v7, -1, v6
	v_and_b32_e32 v4, 63, v5
	v_and_b32_e32 v6, 64, v7
	v_cmp_gt_u32_e32 vcc, 16, v4
	v_add_u32_e32 v8, 64, v6
	v_mul_u32_u24_e32 v9, 0x104, v4
	v_xor_b32_e32 v4, 8, v7
	s_load_dwordx2 s[12:13], s[0:1], 0x30
	s_lshl_b64 s[4:5], s[2:3], 6
	v_cmp_ne_u32_e64 s[0:1], 0, v5
	v_cmp_lt_i32_e64 s[2:3], v4, v8
	v_xor_b32_e32 v5, 4, v7
	v_xor_b32_e32 v6, 2, v7
	v_cndmask_b32_e64 v4, v7, v4, s[2:3]
	v_cmp_lt_i32_e64 s[2:3], v5, v8
	v_xor_b32_e32 v10, 1, v7
	v_lshlrev_b32_e32 v3, 2, v3
	v_cndmask_b32_e64 v5, v7, v5, s[2:3]
	v_cmp_lt_i32_e64 s[2:3], v6, v8
	s_waitcnt lgkmcnt(0)
	s_cmp_eq_u64 s[12:13], 0
	s_mov_b64 s[6:7], 0
	v_cndmask_b32_e64 v6, v7, v6, s[2:3]
	v_cmp_lt_i32_e64 s[2:3], v10, v8
	v_add3_u32 v8, v9, v3, 0
	v_mov_b32_e32 v3, v1
	v_lshl_add_u64 v[0:1], v[0:1], 0, v[2:3]
	v_cndmask_b32_e64 v7, v7, v10, s[2:3]
	v_lshl_add_u64 v[2:3], v[0:1], 0, s[4:5]
	s_cselect_b64 s[8:9], -1, 0
	v_lshlrev_b32_e32 v4, 2, v4
	v_lshlrev_b32_e32 v5, 2, v5
	;; [unrolled: 1-line block ×4, first 2 shown]
	v_lshl_add_u64 v[2:3], v[2:3], 1, s[12:13]
                                        ; implicit-def: $vgpr9
	s_branch .LBB172_86
.LBB172_85:                             ;   in Loop: Header=BB172_86 Depth=1
	s_or_b64 exec, exec, s[2:3]
	v_lshl_add_u64 v[0:1], v[0:1], 0, 16
	v_add_u32_e32 v10, -16, v0
	v_cmp_lt_u32_e64 s[2:3], 47, v10
	v_add_u32_e32 v8, 64, v8
	s_or_b64 s[6:7], s[2:3], s[6:7]
	v_lshl_add_u64 v[2:3], v[2:3], 0, 32
	s_andn2_b64 exec, exec, s[6:7]
	s_cbranch_execz .LBB172_90
.LBB172_86:                             ; =>This Inner Loop Header: Depth=1
	s_and_saveexec_b64 s[2:3], vcc
	s_cbranch_execz .LBB172_88
; %bb.87:                               ;   in Loop: Header=BB172_86 Depth=1
	ds_read_b32 v9, v8
.LBB172_88:                             ;   in Loop: Header=BB172_86 Depth=1
	s_or_b64 exec, exec, s[2:3]
	s_waitcnt lgkmcnt(0)
	ds_bpermute_b32 v10, v4, v9
	s_waitcnt lgkmcnt(0)
	v_add_f32_e32 v9, v9, v10
	ds_bpermute_b32 v10, v5, v9
	s_waitcnt lgkmcnt(0)
	v_add_f32_e32 v9, v9, v10
	;; [unrolled: 3-line block ×3, first 2 shown]
	ds_bpermute_b32 v12, v7, v9
	v_lshl_add_u64 v[10:11], s[4:5], 0, v[0:1]
	v_cmp_le_i64_e64 s[2:3], s[10:11], v[10:11]
	s_or_b64 s[2:3], s[0:1], s[2:3]
	s_or_b64 s[2:3], s[8:9], s[2:3]
	s_waitcnt lgkmcnt(0)
	v_add_f32_e32 v9, v9, v12
	s_xor_b64 s[12:13], s[2:3], -1
	s_and_saveexec_b64 s[2:3], s[12:13]
	s_cbranch_execz .LBB172_85
; %bb.89:                               ;   in Loop: Header=BB172_86 Depth=1
	v_cvt_f16_f32_e32 v10, v9
	global_store_short v[2:3], v10, off
	s_branch .LBB172_85
.LBB172_90:
	s_endpgm
	.section	.rodata,"a",@progbits
	.p2align	6, 0x0
	.amdhsa_kernel _ZN2at6native12_GLOBAL__N_135GammaBetaBackwardCUDAKernelTemplateIN3c104HalfEfLj64ELj16ELj128ELb0ELb0ELb1EEEvllPKT_S7_PKT0_SA_PS5_SB_
		.amdhsa_group_segment_fixed_size 0
		.amdhsa_private_segment_fixed_size 0
		.amdhsa_kernarg_size 320
		.amdhsa_user_sgpr_count 2
		.amdhsa_user_sgpr_dispatch_ptr 0
		.amdhsa_user_sgpr_queue_ptr 0
		.amdhsa_user_sgpr_kernarg_segment_ptr 1
		.amdhsa_user_sgpr_dispatch_id 0
		.amdhsa_user_sgpr_kernarg_preload_length 0
		.amdhsa_user_sgpr_kernarg_preload_offset 0
		.amdhsa_user_sgpr_private_segment_size 0
		.amdhsa_uses_dynamic_stack 0
		.amdhsa_enable_private_segment 0
		.amdhsa_system_sgpr_workgroup_id_x 1
		.amdhsa_system_sgpr_workgroup_id_y 1
		.amdhsa_system_sgpr_workgroup_id_z 0
		.amdhsa_system_sgpr_workgroup_info 0
		.amdhsa_system_vgpr_workitem_id 1
		.amdhsa_next_free_vgpr 96
		.amdhsa_next_free_sgpr 56
		.amdhsa_accum_offset 96
		.amdhsa_reserve_vcc 1
		.amdhsa_float_round_mode_32 0
		.amdhsa_float_round_mode_16_64 0
		.amdhsa_float_denorm_mode_32 3
		.amdhsa_float_denorm_mode_16_64 3
		.amdhsa_dx10_clamp 1
		.amdhsa_ieee_mode 1
		.amdhsa_fp16_overflow 0
		.amdhsa_tg_split 0
		.amdhsa_exception_fp_ieee_invalid_op 0
		.amdhsa_exception_fp_denorm_src 0
		.amdhsa_exception_fp_ieee_div_zero 0
		.amdhsa_exception_fp_ieee_overflow 0
		.amdhsa_exception_fp_ieee_underflow 0
		.amdhsa_exception_fp_ieee_inexact 0
		.amdhsa_exception_int_div_zero 0
	.end_amdhsa_kernel
	.section	.text._ZN2at6native12_GLOBAL__N_135GammaBetaBackwardCUDAKernelTemplateIN3c104HalfEfLj64ELj16ELj128ELb0ELb0ELb1EEEvllPKT_S7_PKT0_SA_PS5_SB_,"axG",@progbits,_ZN2at6native12_GLOBAL__N_135GammaBetaBackwardCUDAKernelTemplateIN3c104HalfEfLj64ELj16ELj128ELb0ELb0ELb1EEEvllPKT_S7_PKT0_SA_PS5_SB_,comdat
.Lfunc_end172:
	.size	_ZN2at6native12_GLOBAL__N_135GammaBetaBackwardCUDAKernelTemplateIN3c104HalfEfLj64ELj16ELj128ELb0ELb0ELb1EEEvllPKT_S7_PKT0_SA_PS5_SB_, .Lfunc_end172-_ZN2at6native12_GLOBAL__N_135GammaBetaBackwardCUDAKernelTemplateIN3c104HalfEfLj64ELj16ELj128ELb0ELb0ELb1EEEvllPKT_S7_PKT0_SA_PS5_SB_
                                        ; -- End function
	.section	.AMDGPU.csdata,"",@progbits
; Kernel info:
; codeLenInByte = 6644
; NumSgprs: 62
; NumVgprs: 96
; NumAgprs: 0
; TotalNumVgprs: 96
; ScratchSize: 0
; MemoryBound: 0
; FloatMode: 240
; IeeeMode: 1
; LDSByteSize: 0 bytes/workgroup (compile time only)
; SGPRBlocks: 7
; VGPRBlocks: 11
; NumSGPRsForWavesPerEU: 62
; NumVGPRsForWavesPerEU: 96
; AccumOffset: 96
; Occupancy: 5
; WaveLimiterHint : 0
; COMPUTE_PGM_RSRC2:SCRATCH_EN: 0
; COMPUTE_PGM_RSRC2:USER_SGPR: 2
; COMPUTE_PGM_RSRC2:TRAP_HANDLER: 0
; COMPUTE_PGM_RSRC2:TGID_X_EN: 1
; COMPUTE_PGM_RSRC2:TGID_Y_EN: 1
; COMPUTE_PGM_RSRC2:TGID_Z_EN: 0
; COMPUTE_PGM_RSRC2:TIDIG_COMP_CNT: 1
; COMPUTE_PGM_RSRC3_GFX90A:ACCUM_OFFSET: 23
; COMPUTE_PGM_RSRC3_GFX90A:TG_SPLIT: 0
	.section	.text._ZN2at6native12_GLOBAL__N_135GammaBetaBackwardCUDAKernelTemplateIN3c104HalfEfLj64ELj16ELj256ELb0ELb1ELb1EEEvllPKT_S7_PKT0_SA_PS5_SB_,"axG",@progbits,_ZN2at6native12_GLOBAL__N_135GammaBetaBackwardCUDAKernelTemplateIN3c104HalfEfLj64ELj16ELj256ELb0ELb1ELb1EEEvllPKT_S7_PKT0_SA_PS5_SB_,comdat
	.globl	_ZN2at6native12_GLOBAL__N_135GammaBetaBackwardCUDAKernelTemplateIN3c104HalfEfLj64ELj16ELj256ELb0ELb1ELb1EEEvllPKT_S7_PKT0_SA_PS5_SB_ ; -- Begin function _ZN2at6native12_GLOBAL__N_135GammaBetaBackwardCUDAKernelTemplateIN3c104HalfEfLj64ELj16ELj256ELb0ELb1ELb1EEEvllPKT_S7_PKT0_SA_PS5_SB_
	.p2align	8
	.type	_ZN2at6native12_GLOBAL__N_135GammaBetaBackwardCUDAKernelTemplateIN3c104HalfEfLj64ELj16ELj256ELb0ELb1ELb1EEEvllPKT_S7_PKT0_SA_PS5_SB_,@function
_ZN2at6native12_GLOBAL__N_135GammaBetaBackwardCUDAKernelTemplateIN3c104HalfEfLj64ELj16ELj256ELb0ELb1ELb1EEEvllPKT_S7_PKT0_SA_PS5_SB_: ; @_ZN2at6native12_GLOBAL__N_135GammaBetaBackwardCUDAKernelTemplateIN3c104HalfEfLj64ELj16ELj256ELb0ELb1ELb1EEEvllPKT_S7_PKT0_SA_PS5_SB_
; %bb.0:
	s_load_dwordx4 s[4:7], s[0:1], 0x0
	s_lshl_b32 s14, s3, 8
	s_mov_b32 s15, 0
	v_bfe_u32 v12, v0, 10, 10
	s_waitcnt lgkmcnt(0)
	v_mov_b64_e32 v[2:3], s[4:5]
	v_cmp_lt_i64_e32 vcc, s[14:15], v[2:3]
	s_cbranch_vccnz .LBB173_2
; %bb.1:
	s_mov_b64 s[8:9], 0
	v_bfe_u32 v2, v0, 10, 10
	s_branch .LBB173_3
.LBB173_2:
	s_mov_b64 s[8:9], -1
                                        ; implicit-def: $vgpr2
.LBB173_3:
	s_load_dwordx2 s[12:13], s[0:1], 0x30
	v_and_b32_e32 v10, 0x3ff, v0
	s_andn2_b64 vcc, exec, s[8:9]
	v_mov_b32_e32 v1, s15
	v_mbcnt_lo_u32_b32 v11, -1, 0
	s_cbranch_vccnz .LBB173_11
; %bb.4:
	s_load_dword s3, s[0:1], 0x4c
	s_load_dword s16, s[0:1], 0x44
	s_load_dwordx2 s[18:19], s[0:1], 0x28
	s_load_dwordx4 s[8:11], s[0:1], 0x10
	v_lshlrev_b32_e32 v0, 4, v12
	s_waitcnt lgkmcnt(0)
	s_and_b32 s0, s3, 0xffff
	v_mad_u32_u24 v1, v12, s0, v10
	v_and_b32_e32 v2, 63, v1
	v_mov_b32_e32 v1, 0
	v_mov_b32_e32 v3, v1
	v_lshl_add_u64 v[8:9], v[0:1], 0, s[14:15]
	v_cmp_gt_u32_e64 s[0:1], 16, v2
	v_mbcnt_hi_u32_b32 v4, -1, v11
	s_lshl_b32 s16, s16, 8
	v_lshl_add_u64 v[2:3], v[8:9], 0, v[2:3]
	v_mul_lo_u32 v0, s7, v8
	v_mul_lo_u32 v29, s6, v9
	v_mad_u64_u32 v[8:9], s[20:21], s6, v8, 0
	v_lshl_add_u32 v6, s2, 6, v10
	v_mov_b32_e32 v7, v1
	v_lshlrev_b32_e32 v4, 2, v4
	s_mul_i32 s3, s7, s16
	s_mul_hi_u32 s20, s6, s16
	s_mov_b32 s17, 0
	v_and_b32_e32 v13, 0x100, v4
	v_add3_u32 v9, v9, v29, v0
	v_lshlrev_b64 v[6:7], 1, v[6:7]
	s_add_i32 s21, s20, s3
	s_mul_i32 s20, s6, s16
	v_or_b32_e32 v14, 4, v13
	v_or_b32_e32 v15, 8, v13
	;; [unrolled: 1-line block ×15, first 2 shown]
	v_lshl_add_u64 v[4:5], v[2:3], 2, s[18:19]
	s_lshl_b64 s[18:19], s[16:17], 2
	v_lshl_add_u64 v[6:7], v[8:9], 1, v[6:7]
	s_lshl_b64 s[20:21], s[20:21], 1
	s_lshl_b64 s[6:7], s[6:7], 1
	v_mov_b64_e32 v[8:9], s[4:5]
	s_branch .LBB173_7
.LBB173_5:                              ;   in Loop: Header=BB173_7 Depth=1
	s_or_b64 exec, exec, s[24:25]
.LBB173_6:                              ;   in Loop: Header=BB173_7 Depth=1
	s_or_b64 exec, exec, s[22:23]
	v_lshl_add_u64 v[30:31], s[8:9], 0, v[6:7]
	global_load_ushort v29, v[30:31], off
	v_lshl_add_u64 v[30:31], v[30:31], 0, s[6:7]
	v_lshl_add_u64 v[32:33], s[10:11], 0, v[6:7]
	global_load_ushort v35, v[30:31], off
	v_lshl_add_u64 v[30:31], v[30:31], 0, s[6:7]
	global_load_ushort v34, v[32:33], off
	;; [unrolled: 2-line block ×26, first 2 shown]
	global_load_ushort v61, v[30:31], off
	v_lshl_add_u64 v[32:33], v[32:33], 0, s[6:7]
	global_load_ushort v60, v[32:33], off
	v_lshl_add_u64 v[32:33], v[32:33], 0, s[6:7]
	v_lshl_add_u64 v[30:31], v[30:31], 0, s[6:7]
	global_load_ushort v62, v[30:31], off
	global_load_ushort v63, v[32:33], off
	v_lshl_add_u64 v[30:31], v[32:33], 0, s[6:7]
	global_load_ushort v30, v[30:31], off
	s_waitcnt vmcnt(32)
	ds_bpermute_b32 v31, v13, v0
	s_add_u32 s14, s14, s16
	s_addc_u32 s15, s15, 0
	v_cmp_lt_i64_e32 vcc, s[14:15], v[8:9]
	v_lshl_add_u64 v[4:5], v[4:5], 0, s[18:19]
	v_lshl_add_u64 v[2:3], v[2:3], 0, s[16:17]
	;; [unrolled: 1-line block ×3, first 2 shown]
	s_and_b64 vcc, exec, vcc
	s_waitcnt vmcnt(31)
	v_cvt_f32_f16_e32 v29, v29
	s_waitcnt vmcnt(30)
	v_cvt_f32_f16_e32 v33, v35
	;; [unrolled: 2-line block ×5, first 2 shown]
	v_mul_f32_e32 v29, v29, v32
	s_waitcnt lgkmcnt(0)
	v_fmac_f32_e32 v1, v29, v31
	ds_bpermute_b32 v29, v15, v0
	s_waitcnt vmcnt(25)
	v_cvt_f32_f16_e32 v36, v38
	v_mul_f32_e32 v31, v33, v34
	v_cvt_f32_f16_e32 v37, v39
	s_waitcnt vmcnt(24)
	v_cvt_f32_f16_e32 v39, v41
	s_waitcnt vmcnt(23)
	v_cvt_f32_f16_e32 v38, v40
	v_mul_f32_e32 v33, v35, v36
	s_waitcnt vmcnt(22)
	v_cvt_f32_f16_e32 v32, v43
	s_waitcnt vmcnt(21)
	v_cvt_f32_f16_e32 v40, v42
	;; [unrolled: 2-line block ×6, first 2 shown]
	v_mul_f32_e32 v32, v32, v41
	s_waitcnt vmcnt(16)
	v_cvt_f32_f16_e32 v46, v49
	s_waitcnt vmcnt(15)
	v_cvt_f32_f16_e32 v45, v48
	;; [unrolled: 2-line block ×13, first 2 shown]
	ds_bpermute_b32 v61, v14, v0
	s_waitcnt vmcnt(3)
	v_cvt_f32_f16_e32 v57, v60
	s_waitcnt vmcnt(2)
	v_cvt_f32_f16_e32 v60, v62
	;; [unrolled: 2-line block ×3, first 2 shown]
	s_waitcnt lgkmcnt(0)
	v_fmac_f32_e32 v1, v31, v61
	ds_bpermute_b32 v31, v16, v0
	v_fmac_f32_e32 v1, v33, v29
	ds_bpermute_b32 v29, v17, v0
	v_mul_f32_e32 v33, v37, v38
	s_waitcnt vmcnt(0)
	v_cvt_f32_f16_e32 v30, v30
	s_waitcnt lgkmcnt(1)
	v_fmac_f32_e32 v1, v33, v31
	ds_bpermute_b32 v31, v18, v0
	v_mul_f32_e32 v33, v39, v40
	s_waitcnt lgkmcnt(1)
	v_fmac_f32_e32 v1, v33, v29
	ds_bpermute_b32 v29, v19, v0
	s_waitcnt lgkmcnt(1)
	v_fmac_f32_e32 v1, v32, v31
	ds_bpermute_b32 v31, v20, v0
	v_mul_f32_e32 v32, v42, v43
	s_waitcnt lgkmcnt(1)
	v_fmac_f32_e32 v1, v32, v29
	ds_bpermute_b32 v29, v21, v0
	v_mul_f32_e32 v32, v44, v45
	;; [unrolled: 4-line block ×6, first 2 shown]
	s_waitcnt lgkmcnt(1)
	v_fmac_f32_e32 v1, v32, v31
	v_mul_f32_e32 v31, v54, v55
	ds_bpermute_b32 v32, v26, v0
	s_waitcnt lgkmcnt(1)
	v_fmac_f32_e32 v1, v31, v29
	ds_bpermute_b32 v29, v27, v0
	ds_bpermute_b32 v0, v28, v0
	v_mul_f32_e32 v31, v56, v57
	s_waitcnt lgkmcnt(2)
	v_fmac_f32_e32 v1, v31, v32
	v_mul_f32_e32 v31, v58, v59
	s_waitcnt lgkmcnt(1)
	v_fmac_f32_e32 v1, v31, v29
	;; [unrolled: 3-line block ×3, first 2 shown]
	s_cbranch_vccz .LBB173_10
.LBB173_7:                              ; =>This Inner Loop Header: Depth=1
	v_mov_b32_e32 v0, 0
	s_and_saveexec_b64 s[22:23], s[0:1]
	s_cbranch_execz .LBB173_6
; %bb.8:                                ;   in Loop: Header=BB173_7 Depth=1
	v_cmp_gt_i64_e32 vcc, s[4:5], v[2:3]
	v_mov_b32_e32 v0, 0
	s_and_saveexec_b64 s[24:25], vcc
	s_cbranch_execz .LBB173_5
; %bb.9:                                ;   in Loop: Header=BB173_7 Depth=1
	global_load_dword v0, v[4:5], off
	s_branch .LBB173_5
.LBB173_10:
	v_mov_b32_e32 v2, v12
.LBB173_11:
	s_movk_i32 s0, 0x41
	v_mad_u32_u24 v0, v2, s0, v10
	v_lshl_add_u32 v0, v0, 2, 0
	ds_write_b32 v0, v1
	v_mov_b32_e32 v1, 0
	ds_write_b32 v0, v1 offset:4160
	v_lshrrev_b32_e32 v0, 6, v10
	v_add_u32_e32 v3, v0, v2
	s_mov_b32 s3, 0
	v_cmp_gt_u32_e32 vcc, 64, v3
	s_waitcnt lgkmcnt(0)
	s_barrier
	s_and_saveexec_b64 s[0:1], vcc
	s_cbranch_execz .LBB173_18
; %bb.12:
	v_mbcnt_hi_u32_b32 v7, -1, v11
	v_and_b32_e32 v4, 63, v10
	v_and_b32_e32 v5, 64, v7
	s_cmp_lg_u64 s[12:13], 0
	v_cmp_gt_u32_e32 vcc, 16, v4
	v_add_u32_e32 v8, 64, v5
	v_cmp_eq_u32_e64 s[0:1], 0, v10
	s_cselect_b64 s[6:7], -1, 0
	v_mul_u32_u24_e32 v9, 0x104, v4
	v_xor_b32_e32 v4, 8, v7
	s_and_b64 s[6:7], s[0:1], s[6:7]
	v_cmp_lt_i32_e64 s[0:1], v4, v8
	v_xor_b32_e32 v5, 4, v7
	v_xor_b32_e32 v6, 2, v7
	v_cndmask_b32_e64 v4, v7, v4, s[0:1]
	v_cmp_lt_i32_e64 s[0:1], v5, v8
	v_xor_b32_e32 v10, 1, v7
	s_mov_b64 s[4:5], 0
	v_cndmask_b32_e64 v5, v7, v5, s[0:1]
	v_cmp_lt_i32_e64 s[0:1], v6, v8
	v_lshlrev_b32_e32 v4, 2, v4
	v_lshlrev_b32_e32 v5, 2, v5
	v_cndmask_b32_e64 v6, v7, v6, s[0:1]
	v_cmp_lt_i32_e64 s[0:1], v10, v8
	v_lshlrev_b32_e32 v8, 2, v3
	v_add3_u32 v8, v9, v8, 0
	v_cndmask_b32_e64 v7, v7, v10, s[0:1]
	s_lshl_b64 s[0:1], s[2:3], 7
	v_add_u32_e32 v9, -16, v3
	v_mov_b32_e32 v3, v1
	s_add_u32 s0, s12, s0
	v_lshl_add_u64 v[0:1], v[0:1], 0, v[2:3]
	s_addc_u32 s1, s13, s1
	v_lshlrev_b32_e32 v6, 2, v6
	v_lshlrev_b32_e32 v7, 2, v7
	v_lshl_add_u64 v[0:1], v[0:1], 1, s[0:1]
                                        ; implicit-def: $vgpr2
	s_branch .LBB173_14
.LBB173_13:                             ;   in Loop: Header=BB173_14 Depth=1
	s_or_b64 exec, exec, s[0:1]
	v_add_u32_e32 v9, 16, v9
	v_cmp_lt_u32_e64 s[0:1], 47, v9
	v_add_u32_e32 v8, 64, v8
	s_or_b64 s[4:5], s[0:1], s[4:5]
	v_lshl_add_u64 v[0:1], v[0:1], 0, 32
	s_andn2_b64 exec, exec, s[4:5]
	s_cbranch_execz .LBB173_18
.LBB173_14:                             ; =>This Inner Loop Header: Depth=1
	s_and_saveexec_b64 s[0:1], vcc
	s_cbranch_execz .LBB173_16
; %bb.15:                               ;   in Loop: Header=BB173_14 Depth=1
	ds_read_b32 v2, v8
.LBB173_16:                             ;   in Loop: Header=BB173_14 Depth=1
	s_or_b64 exec, exec, s[0:1]
	s_waitcnt lgkmcnt(0)
	ds_bpermute_b32 v3, v4, v2
	s_waitcnt lgkmcnt(0)
	v_add_f32_e32 v2, v2, v3
	ds_bpermute_b32 v3, v5, v2
	s_waitcnt lgkmcnt(0)
	v_add_f32_e32 v2, v2, v3
	;; [unrolled: 3-line block ×4, first 2 shown]
	s_and_saveexec_b64 s[0:1], s[6:7]
	s_cbranch_execz .LBB173_13
; %bb.17:                               ;   in Loop: Header=BB173_14 Depth=1
	v_cvt_f16_f32_e32 v3, v2
	global_store_short v[0:1], v3, off
	s_branch .LBB173_13
.LBB173_18:
	s_endpgm
	.section	.rodata,"a",@progbits
	.p2align	6, 0x0
	.amdhsa_kernel _ZN2at6native12_GLOBAL__N_135GammaBetaBackwardCUDAKernelTemplateIN3c104HalfEfLj64ELj16ELj256ELb0ELb1ELb1EEEvllPKT_S7_PKT0_SA_PS5_SB_
		.amdhsa_group_segment_fixed_size 0
		.amdhsa_private_segment_fixed_size 0
		.amdhsa_kernarg_size 320
		.amdhsa_user_sgpr_count 2
		.amdhsa_user_sgpr_dispatch_ptr 0
		.amdhsa_user_sgpr_queue_ptr 0
		.amdhsa_user_sgpr_kernarg_segment_ptr 1
		.amdhsa_user_sgpr_dispatch_id 0
		.amdhsa_user_sgpr_kernarg_preload_length 0
		.amdhsa_user_sgpr_kernarg_preload_offset 0
		.amdhsa_user_sgpr_private_segment_size 0
		.amdhsa_uses_dynamic_stack 0
		.amdhsa_enable_private_segment 0
		.amdhsa_system_sgpr_workgroup_id_x 1
		.amdhsa_system_sgpr_workgroup_id_y 1
		.amdhsa_system_sgpr_workgroup_id_z 0
		.amdhsa_system_sgpr_workgroup_info 0
		.amdhsa_system_vgpr_workitem_id 1
		.amdhsa_next_free_vgpr 64
		.amdhsa_next_free_sgpr 26
		.amdhsa_accum_offset 64
		.amdhsa_reserve_vcc 1
		.amdhsa_float_round_mode_32 0
		.amdhsa_float_round_mode_16_64 0
		.amdhsa_float_denorm_mode_32 3
		.amdhsa_float_denorm_mode_16_64 3
		.amdhsa_dx10_clamp 1
		.amdhsa_ieee_mode 1
		.amdhsa_fp16_overflow 0
		.amdhsa_tg_split 0
		.amdhsa_exception_fp_ieee_invalid_op 0
		.amdhsa_exception_fp_denorm_src 0
		.amdhsa_exception_fp_ieee_div_zero 0
		.amdhsa_exception_fp_ieee_overflow 0
		.amdhsa_exception_fp_ieee_underflow 0
		.amdhsa_exception_fp_ieee_inexact 0
		.amdhsa_exception_int_div_zero 0
	.end_amdhsa_kernel
	.section	.text._ZN2at6native12_GLOBAL__N_135GammaBetaBackwardCUDAKernelTemplateIN3c104HalfEfLj64ELj16ELj256ELb0ELb1ELb1EEEvllPKT_S7_PKT0_SA_PS5_SB_,"axG",@progbits,_ZN2at6native12_GLOBAL__N_135GammaBetaBackwardCUDAKernelTemplateIN3c104HalfEfLj64ELj16ELj256ELb0ELb1ELb1EEEvllPKT_S7_PKT0_SA_PS5_SB_,comdat
.Lfunc_end173:
	.size	_ZN2at6native12_GLOBAL__N_135GammaBetaBackwardCUDAKernelTemplateIN3c104HalfEfLj64ELj16ELj256ELb0ELb1ELb1EEEvllPKT_S7_PKT0_SA_PS5_SB_, .Lfunc_end173-_ZN2at6native12_GLOBAL__N_135GammaBetaBackwardCUDAKernelTemplateIN3c104HalfEfLj64ELj16ELj256ELb0ELb1ELb1EEEvllPKT_S7_PKT0_SA_PS5_SB_
                                        ; -- End function
	.section	.AMDGPU.csdata,"",@progbits
; Kernel info:
; codeLenInByte = 1992
; NumSgprs: 32
; NumVgprs: 64
; NumAgprs: 0
; TotalNumVgprs: 64
; ScratchSize: 0
; MemoryBound: 0
; FloatMode: 240
; IeeeMode: 1
; LDSByteSize: 0 bytes/workgroup (compile time only)
; SGPRBlocks: 3
; VGPRBlocks: 7
; NumSGPRsForWavesPerEU: 32
; NumVGPRsForWavesPerEU: 64
; AccumOffset: 64
; Occupancy: 8
; WaveLimiterHint : 0
; COMPUTE_PGM_RSRC2:SCRATCH_EN: 0
; COMPUTE_PGM_RSRC2:USER_SGPR: 2
; COMPUTE_PGM_RSRC2:TRAP_HANDLER: 0
; COMPUTE_PGM_RSRC2:TGID_X_EN: 1
; COMPUTE_PGM_RSRC2:TGID_Y_EN: 1
; COMPUTE_PGM_RSRC2:TGID_Z_EN: 0
; COMPUTE_PGM_RSRC2:TIDIG_COMP_CNT: 1
; COMPUTE_PGM_RSRC3_GFX90A:ACCUM_OFFSET: 15
; COMPUTE_PGM_RSRC3_GFX90A:TG_SPLIT: 0
	.section	.text._ZN2at6native12_GLOBAL__N_135GammaBetaBackwardCUDAKernelTemplateIN3c104HalfEfLj64ELj16ELj256ELb0ELb0ELb1EEEvllPKT_S7_PKT0_SA_PS5_SB_,"axG",@progbits,_ZN2at6native12_GLOBAL__N_135GammaBetaBackwardCUDAKernelTemplateIN3c104HalfEfLj64ELj16ELj256ELb0ELb0ELb1EEEvllPKT_S7_PKT0_SA_PS5_SB_,comdat
	.globl	_ZN2at6native12_GLOBAL__N_135GammaBetaBackwardCUDAKernelTemplateIN3c104HalfEfLj64ELj16ELj256ELb0ELb0ELb1EEEvllPKT_S7_PKT0_SA_PS5_SB_ ; -- Begin function _ZN2at6native12_GLOBAL__N_135GammaBetaBackwardCUDAKernelTemplateIN3c104HalfEfLj64ELj16ELj256ELb0ELb0ELb1EEEvllPKT_S7_PKT0_SA_PS5_SB_
	.p2align	8
	.type	_ZN2at6native12_GLOBAL__N_135GammaBetaBackwardCUDAKernelTemplateIN3c104HalfEfLj64ELj16ELj256ELb0ELb0ELb1EEEvllPKT_S7_PKT0_SA_PS5_SB_,@function
_ZN2at6native12_GLOBAL__N_135GammaBetaBackwardCUDAKernelTemplateIN3c104HalfEfLj64ELj16ELj256ELb0ELb0ELb1EEEvllPKT_S7_PKT0_SA_PS5_SB_: ; @_ZN2at6native12_GLOBAL__N_135GammaBetaBackwardCUDAKernelTemplateIN3c104HalfEfLj64ELj16ELj256ELb0ELb0ELb1EEEvllPKT_S7_PKT0_SA_PS5_SB_
; %bb.0:
	s_load_dwordx8 s[24:31], s[0:1], 0x0
	s_load_dwordx2 s[34:35], s[0:1], 0x28
	s_lshl_b32 s33, s2, 6
	v_mov_b32_e32 v103, v0
	s_or_b32 s36, s33, 63
	s_mov_b32 s37, 0
	s_waitcnt lgkmcnt(0)
	v_mov_b64_e32 v[0:1], s[26:27]
	v_cmp_ge_i64_e32 vcc, s[36:37], v[0:1]
	s_lshl_b32 s36, s3, 8
	v_mov_b64_e32 v[0:1], s[24:25]
	v_cmp_lt_i64_e64 s[4:5], s[36:37], v[0:1]
	s_nop 1
	v_cndmask_b32_e64 v0, 0, 1, s[4:5]
	v_cmp_ne_u32_e64 s[4:5], 1, v0
	s_cbranch_vccz .LBB174_81
; %bb.1:
	s_and_b64 vcc, exec, s[4:5]
	v_mov_b32_e32 v2, 0
	s_cbranch_vccnz .LBB174_83
; %bb.2:
	v_mov_b32_e32 v3, 0
	v_bfe_u32 v119, v103, 10, 10
	s_load_dword s3, s[0:1], 0x44
	v_lshlrev_b32_e32 v0, 4, v119
	v_mov_b32_e32 v1, v3
	v_and_b32_e32 v118, 0x3ff, v103
	v_lshl_add_u64 v[4:5], v[0:1], 0, s[36:37]
	v_add_u32_e32 v2, s33, v118
	v_lshl_add_u64 v[6:7], v[4:5], 0, 15
	s_add_u32 s38, s0, 64
	v_cmp_gt_i64_e64 s[6:7], s[26:27], v[2:3]
	v_lshlrev_b64 v[50:51], 1, v[2:3]
	v_mul_lo_u32 v2, s27, v6
	v_mul_lo_u32 v8, s26, v7
	v_mad_u64_u32 v[6:7], s[10:11], s26, v6, 0
	s_addc_u32 s39, s1, 0
	s_waitcnt lgkmcnt(0)
	s_lshl_b32 s3, s3, 8
	v_add3_u32 v7, v7, v8, v2
	v_lshlrev_b64 v[6:7], 1, v[6:7]
	s_mul_i32 s9, s27, s3
	s_mul_hi_u32 s10, s26, s3
	v_lshl_add_u64 v[52:53], s[28:29], 0, v[6:7]
	s_add_i32 s11, s10, s9
	s_mul_i32 s10, s26, s3
	v_lshl_add_u64 v[54:55], s[30:31], 0, v[6:7]
	v_lshl_add_u64 v[6:7], v[4:5], 0, 14
	s_lshl_b64 s[40:41], s[10:11], 1
	v_mul_lo_u32 v2, s27, v6
	v_mul_lo_u32 v8, s26, v7
	v_mad_u64_u32 v[6:7], s[10:11], s26, v6, 0
	v_add3_u32 v7, v7, v8, v2
	v_lshlrev_b64 v[6:7], 1, v[6:7]
	v_lshl_add_u64 v[56:57], s[28:29], 0, v[6:7]
	v_lshl_add_u64 v[58:59], s[30:31], 0, v[6:7]
	v_lshl_add_u64 v[6:7], v[4:5], 0, 13
	v_mul_lo_u32 v2, s27, v6
	v_mul_lo_u32 v8, s26, v7
	v_mad_u64_u32 v[6:7], s[10:11], s26, v6, 0
	v_add3_u32 v7, v7, v8, v2
	v_lshlrev_b64 v[6:7], 1, v[6:7]
	v_lshl_add_u64 v[60:61], s[28:29], 0, v[6:7]
	v_lshl_add_u64 v[62:63], s[30:31], 0, v[6:7]
	v_lshl_add_u64 v[6:7], v[4:5], 0, 12
	v_mul_lo_u32 v2, s27, v6
	v_mul_lo_u32 v8, s26, v7
	v_mad_u64_u32 v[6:7], s[10:11], s26, v6, 0
	v_add3_u32 v7, v7, v8, v2
	v_lshlrev_b64 v[6:7], 1, v[6:7]
	v_lshl_add_u64 v[64:65], s[28:29], 0, v[6:7]
	v_lshl_add_u64 v[66:67], s[30:31], 0, v[6:7]
	v_lshl_add_u64 v[6:7], v[4:5], 0, 11
	v_mul_lo_u32 v2, s27, v6
	v_mul_lo_u32 v8, s26, v7
	v_mad_u64_u32 v[6:7], s[10:11], s26, v6, 0
	v_add3_u32 v7, v7, v8, v2
	v_lshlrev_b64 v[6:7], 1, v[6:7]
	v_lshl_add_u64 v[68:69], s[28:29], 0, v[6:7]
	v_lshl_add_u64 v[70:71], s[30:31], 0, v[6:7]
	v_lshl_add_u64 v[6:7], v[4:5], 0, 10
	v_mul_lo_u32 v2, s27, v6
	v_mul_lo_u32 v8, s26, v7
	v_mad_u64_u32 v[6:7], s[10:11], s26, v6, 0
	v_add3_u32 v7, v7, v8, v2
	v_lshlrev_b64 v[6:7], 1, v[6:7]
	v_lshl_add_u64 v[72:73], s[28:29], 0, v[6:7]
	v_lshl_add_u64 v[74:75], s[30:31], 0, v[6:7]
	v_lshl_add_u64 v[6:7], v[4:5], 0, 9
	v_mul_lo_u32 v2, s27, v6
	v_mul_lo_u32 v8, s26, v7
	v_mad_u64_u32 v[6:7], s[10:11], s26, v6, 0
	v_add3_u32 v7, v7, v8, v2
	v_lshlrev_b64 v[6:7], 1, v[6:7]
	v_lshl_add_u64 v[76:77], s[28:29], 0, v[6:7]
	v_lshl_add_u64 v[78:79], s[30:31], 0, v[6:7]
	v_lshl_add_u64 v[6:7], v[4:5], 0, 8
	v_mul_lo_u32 v2, s27, v6
	v_mul_lo_u32 v8, s26, v7
	v_mad_u64_u32 v[6:7], s[10:11], s26, v6, 0
	v_add3_u32 v7, v7, v8, v2
	v_lshlrev_b64 v[6:7], 1, v[6:7]
	v_lshl_add_u64 v[80:81], s[28:29], 0, v[6:7]
	v_lshl_add_u64 v[82:83], s[30:31], 0, v[6:7]
	v_lshl_add_u64 v[6:7], v[4:5], 0, 7
	v_mul_lo_u32 v2, s27, v6
	v_mul_lo_u32 v8, s26, v7
	v_mad_u64_u32 v[6:7], s[10:11], s26, v6, 0
	v_add3_u32 v7, v7, v8, v2
	v_lshlrev_b64 v[6:7], 1, v[6:7]
	v_lshl_add_u64 v[84:85], s[28:29], 0, v[6:7]
	v_lshl_add_u64 v[86:87], s[30:31], 0, v[6:7]
	v_lshl_add_u64 v[6:7], v[4:5], 0, 6
	v_mul_lo_u32 v2, s27, v6
	v_mul_lo_u32 v8, s26, v7
	v_mad_u64_u32 v[6:7], s[10:11], s26, v6, 0
	v_add3_u32 v7, v7, v8, v2
	v_lshlrev_b64 v[6:7], 1, v[6:7]
	v_lshl_add_u64 v[88:89], s[28:29], 0, v[6:7]
	v_lshl_add_u64 v[90:91], s[30:31], 0, v[6:7]
	v_lshl_add_u64 v[6:7], v[4:5], 0, 5
	v_mul_lo_u32 v2, s27, v6
	v_mul_lo_u32 v8, s26, v7
	v_mad_u64_u32 v[6:7], s[10:11], s26, v6, 0
	v_add3_u32 v7, v7, v8, v2
	v_lshlrev_b64 v[6:7], 1, v[6:7]
	v_lshl_add_u64 v[92:93], s[28:29], 0, v[6:7]
	v_lshl_add_u64 v[94:95], s[30:31], 0, v[6:7]
	v_lshl_add_u64 v[6:7], v[4:5], 0, 4
	v_mul_lo_u32 v2, s27, v6
	v_mul_lo_u32 v8, s26, v7
	v_mad_u64_u32 v[6:7], s[10:11], s26, v6, 0
	v_add3_u32 v7, v7, v8, v2
	v_lshlrev_b64 v[6:7], 1, v[6:7]
	v_lshl_add_u64 v[96:97], s[28:29], 0, v[6:7]
	v_lshl_add_u64 v[98:99], s[30:31], 0, v[6:7]
	v_lshl_add_u64 v[6:7], v[4:5], 0, 3
	v_mul_lo_u32 v2, s27, v6
	v_mul_lo_u32 v8, s26, v7
	v_mad_u64_u32 v[6:7], s[10:11], s26, v6, 0
	v_add3_u32 v7, v7, v8, v2
	v_lshlrev_b64 v[6:7], 1, v[6:7]
	v_mov_b32_e32 v123, v103
	v_lshl_add_u64 v[100:101], s[28:29], 0, v[6:7]
	v_lshl_add_u64 v[102:103], s[30:31], 0, v[6:7]
	;; [unrolled: 1-line block ×3, first 2 shown]
	v_mul_lo_u32 v2, s27, v6
	v_mul_lo_u32 v8, s26, v7
	v_mad_u64_u32 v[6:7], s[10:11], s26, v6, 0
	v_add3_u32 v7, v7, v8, v2
	v_lshlrev_b64 v[6:7], 1, v[6:7]
	v_lshl_add_u64 v[104:105], s[28:29], 0, v[6:7]
	v_lshl_add_u64 v[106:107], s[30:31], 0, v[6:7]
	v_mov_b64_e32 v[6:7], s[26:27]
	v_mad_u64_u32 v[6:7], s[10:11], s26, v4, v[6:7]
	v_mul_lo_u32 v2, s26, v5
	v_mul_lo_u32 v8, s27, v4
	v_mad_u64_u32 v[4:5], s[10:11], s26, v4, 0
	v_add3_u32 v7, v8, v7, v2
	v_add3_u32 v5, v5, v2, v8
	v_mbcnt_lo_u32_b32 v2, -1, 0
	v_mbcnt_hi_u32_b32 v2, -1, v2
	v_lshlrev_b64 v[6:7], 1, v[6:7]
	s_add_u32 s42, s36, 0xff
	v_lshlrev_b64 v[4:5], 1, v[4:5]
	s_movk_i32 s44, 0xff01
	s_movk_i32 s46, 0xff02
	;; [unrolled: 1-line block ×16, first 2 shown]
	v_lshlrev_b32_e32 v2, 2, v2
	s_mov_b32 s8, 0
	v_lshl_add_u64 v[108:109], s[28:29], 0, v[6:7]
	v_lshl_add_u64 v[110:111], s[30:31], 0, v[6:7]
	s_addc_u32 s43, 0, 0
	v_lshl_add_u64 v[112:113], s[28:29], 0, v[4:5]
	v_lshl_add_u64 v[114:115], s[30:31], 0, v[4:5]
	s_mov_b32 s45, -1
	s_mov_b32 s47, -1
	;; [unrolled: 1-line block ×16, first 2 shown]
	v_and_b32_e32 v120, 0x100, v2
	s_mov_b64 s[76:77], s[36:37]
	v_mov_b32_e32 v121, 0
.LBB174_3:                              ; =>This Inner Loop Header: Depth=1
	v_mov_b64_e32 v[4:5], s[24:25]
	v_cmp_ge_i64_e32 vcc, s[42:43], v[4:5]
	v_lshl_add_u64 v[116:117], v[0:1], 0, s[42:43]
	s_cbranch_vccz .LBB174_41
; %bb.4:                                ;   in Loop: Header=BB174_3 Depth=1
	s_load_dword s9, s[38:39], 0xc
	v_mov_b32_e32 v122, 0
	s_waitcnt lgkmcnt(0)
	s_and_b32 s9, s9, 0xffff
	v_mad_u32_u24 v2, v119, s9, v118
	v_and_b32_e32 v2, 63, v2
	v_cmp_gt_u32_e32 vcc, 16, v2
	s_and_saveexec_b64 s[10:11], vcc
	s_cbranch_execz .LBB174_8
; %bb.5:                                ;   in Loop: Header=BB174_3 Depth=1
	v_lshl_add_u64 v[4:5], v[116:117], 0, v[2:3]
	v_lshl_add_u64 v[4:5], v[4:5], 0, s[44:45]
	v_cmp_gt_i64_e32 vcc, s[24:25], v[4:5]
	v_mov_b32_e32 v122, 0
	s_and_saveexec_b64 s[12:13], vcc
	s_cbranch_execz .LBB174_7
; %bb.6:                                ;   in Loop: Header=BB174_3 Depth=1
	v_lshl_add_u64 v[4:5], v[4:5], 2, s[34:35]
	global_load_dword v122, v[4:5], off
.LBB174_7:                              ;   in Loop: Header=BB174_3 Depth=1
	s_or_b64 exec, exec, s[12:13]
.LBB174_8:                              ;   in Loop: Header=BB174_3 Depth=1
	s_or_b64 exec, exec, s[10:11]
	s_mov_b32 s22, s8
	s_mov_b32 s23, s8
	v_lshl_add_u64 v[4:5], v[116:117], 0, s[44:45]
	s_mov_b32 s9, s8
	s_mov_b32 s10, s8
	;; [unrolled: 1-line block ×13, first 2 shown]
	v_mov_b64_e32 v[32:33], s[22:23]
	v_cmp_gt_i64_e32 vcc, s[24:25], v[4:5]
	v_mov_b64_e32 v[30:31], s[20:21]
	v_mov_b64_e32 v[28:29], s[18:19]
	;; [unrolled: 1-line block ×8, first 2 shown]
	s_and_b64 s[78:79], s[6:7], vcc
	v_mov_b64_e32 v[46:47], v[30:31]
	v_mov_b64_e32 v[44:45], v[28:29]
	;; [unrolled: 1-line block ×7, first 2 shown]
	s_and_saveexec_b64 s[10:11], s[78:79]
	s_cbranch_execz .LBB174_10
; %bb.9:                                ;   in Loop: Header=BB174_3 Depth=1
	v_lshl_add_u64 v[4:5], v[112:113], 0, v[50:51]
	global_load_ushort v2, v[4:5], off
	v_lshl_add_u64 v[4:5], v[114:115], 0, v[50:51]
	global_load_ushort v18, v[4:5], off
	v_mov_b32_e32 v16, v3
	v_mov_b32_e32 v17, v3
	;; [unrolled: 1-line block ×29, first 2 shown]
	s_waitcnt vmcnt(1)
	v_cvt_f32_f16_e32 v2, v2
	v_mov_b64_e32 v[48:49], v[16:17]
	s_waitcnt vmcnt(0)
	v_cvt_f32_f16_e32 v18, v18
	v_mov_b64_e32 v[46:47], v[14:15]
	v_mov_b64_e32 v[44:45], v[12:13]
	v_mov_b64_e32 v[42:43], v[10:11]
	v_mov_b64_e32 v[40:41], v[8:9]
	v_mov_b64_e32 v[38:39], v[6:7]
	v_mov_b64_e32 v[36:37], v[4:5]
	v_mov_b64_e32 v[34:35], v[2:3]
.LBB174_10:                             ;   in Loop: Header=BB174_3 Depth=1
	s_or_b64 exec, exec, s[10:11]
	v_lshl_add_u64 v[4:5], v[116:117], 0, s[46:47]
	v_cmp_gt_i64_e32 vcc, s[24:25], v[4:5]
	s_and_b64 s[12:13], s[6:7], vcc
	s_and_saveexec_b64 s[10:11], s[12:13]
	s_cbranch_execz .LBB174_12
; %bb.11:                               ;   in Loop: Header=BB174_3 Depth=1
	v_lshl_add_u64 v[4:5], v[108:109], 0, v[50:51]
	global_load_ushort v2, v[4:5], off
	v_lshl_add_u64 v[4:5], v[110:111], 0, v[50:51]
	global_load_ushort v4, v[4:5], off
	s_waitcnt vmcnt(1)
	v_cvt_f32_f16_e32 v35, v2
	s_waitcnt vmcnt(0)
	v_cvt_f32_f16_e32 v19, v4
.LBB174_12:                             ;   in Loop: Header=BB174_3 Depth=1
	s_or_b64 exec, exec, s[10:11]
	v_lshl_add_u64 v[4:5], v[116:117], 0, s[48:49]
	v_cmp_gt_i64_e32 vcc, s[24:25], v[4:5]
	s_and_b64 s[12:13], s[6:7], vcc
	s_and_saveexec_b64 s[10:11], s[12:13]
	s_cbranch_execz .LBB174_14
; %bb.13:                               ;   in Loop: Header=BB174_3 Depth=1
	v_lshl_add_u64 v[4:5], v[104:105], 0, v[50:51]
	global_load_ushort v2, v[4:5], off
	v_lshl_add_u64 v[4:5], v[106:107], 0, v[50:51]
	global_load_ushort v4, v[4:5], off
	s_waitcnt vmcnt(1)
	v_cvt_f32_f16_e32 v36, v2
	s_waitcnt vmcnt(0)
	v_cvt_f32_f16_e32 v20, v4
.LBB174_14:                             ;   in Loop: Header=BB174_3 Depth=1
	;; [unrolled: 16-line block ×15, first 2 shown]
	s_or_b64 exec, exec, s[10:11]
	s_waitcnt vmcnt(0)
	ds_bpermute_b32 v2, v120, v122
	ds_bpermute_b32 v4, v120, v122 offset:4
	ds_bpermute_b32 v6, v120, v122 offset:8
	v_mul_f32_e32 v5, v18, v34
	v_mul_f32_e32 v7, v19, v35
	s_waitcnt lgkmcnt(2)
	v_fma_f32 v2, v5, v2, v121
	s_waitcnt lgkmcnt(1)
	v_fmac_f32_e32 v2, v7, v4
	v_mul_f32_e32 v4, v20, v36
	s_waitcnt lgkmcnt(0)
	v_fmac_f32_e32 v2, v4, v6
	ds_bpermute_b32 v4, v120, v122 offset:12
	ds_bpermute_b32 v5, v120, v122 offset:16
	v_pk_mul_f32 v[16:17], v[20:21], v[36:37]
	v_pk_mul_f32 v[18:19], v[22:23], v[38:39]
	v_mov_b32_e32 v16, v17
	v_mov_b32_e32 v17, v18
	s_waitcnt lgkmcnt(0)
	v_pk_mul_f32 v[4:5], v[16:17], v[4:5]
	ds_bpermute_b32 v16, v120, v122 offset:20
	ds_bpermute_b32 v17, v120, v122 offset:24
	v_pk_mul_f32 v[14:15], v[24:25], v[40:41]
	v_add_f32_e32 v2, v2, v4
	v_add_f32_e32 v2, v2, v5
	v_mov_b32_e32 v4, v19
	v_mov_b32_e32 v5, v14
	s_waitcnt lgkmcnt(0)
	v_pk_mul_f32 v[4:5], v[4:5], v[16:17]
	ds_bpermute_b32 v16, v120, v122 offset:28
	ds_bpermute_b32 v17, v120, v122 offset:32
	v_pk_mul_f32 v[12:13], v[26:27], v[42:43]
	v_add_f32_e32 v2, v2, v4
	v_mov_b32_e32 v4, v15
	ds_bpermute_b32 v14, v120, v122 offset:36
	ds_bpermute_b32 v15, v120, v122 offset:40
	v_add_f32_e32 v2, v2, v5
	v_mov_b32_e32 v5, v12
	s_waitcnt lgkmcnt(2)
	v_pk_mul_f32 v[4:5], v[4:5], v[16:17]
	v_pk_mul_f32 v[10:11], v[28:29], v[44:45]
	v_add_f32_e32 v2, v2, v4
	v_mov_b32_e32 v4, v13
	ds_bpermute_b32 v12, v120, v122 offset:44
	ds_bpermute_b32 v13, v120, v122 offset:48
	v_add_f32_e32 v2, v2, v5
	v_mov_b32_e32 v5, v10
	s_waitcnt lgkmcnt(2)
	v_pk_mul_f32 v[4:5], v[4:5], v[14:15]
	;; [unrolled: 9-line block ×3, first 2 shown]
	v_pk_mul_f32 v[6:7], v[32:33], v[48:49]
	v_add_f32_e32 v2, v2, v4
	ds_bpermute_b32 v4, v120, v122 offset:60
	v_mov_b32_e32 v8, v9
	v_mov_b32_e32 v9, v6
	v_add_f32_e32 v2, v2, v5
	s_waitcnt lgkmcnt(1)
	v_pk_mul_f32 v[6:7], v[8:9], v[10:11]
	s_nop 0
	v_add_f32_e32 v2, v2, v6
	v_add_f32_e32 v2, v2, v7
	s_branch .LBB174_64
.LBB174_41:                             ;   in Loop: Header=BB174_3 Depth=1
                                        ; implicit-def: $vgpr2
                                        ; implicit-def: $vgpr18_vgpr19_vgpr20_vgpr21_vgpr22_vgpr23_vgpr24_vgpr25_vgpr26_vgpr27_vgpr28_vgpr29_vgpr30_vgpr31_vgpr32_vgpr33
                                        ; implicit-def: $vgpr34_vgpr35_vgpr36_vgpr37_vgpr38_vgpr39_vgpr40_vgpr41_vgpr42_vgpr43_vgpr44_vgpr45_vgpr46_vgpr47_vgpr48_vgpr49
                                        ; implicit-def: $vgpr4
	s_cbranch_execz .LBB174_64
; %bb.42:                               ;   in Loop: Header=BB174_3 Depth=1
	s_load_dword s9, s[38:39], 0x0
	v_mov_b32_e32 v122, 0
	s_waitcnt lgkmcnt(0)
	s_cmp_lt_u32 s2, s9
	s_cselect_b32 s9, 12, 18
	s_add_u32 s10, s38, s9
	s_addc_u32 s11, s39, 0
	global_load_ushort v2, v3, s[10:11]
	s_waitcnt vmcnt(0)
	v_mad_u32_u24 v2, v119, v2, v118
	v_and_b32_e32 v2, 63, v2
	v_cmp_gt_u32_e32 vcc, 16, v2
	s_and_saveexec_b64 s[10:11], vcc
	s_cbranch_execz .LBB174_46
; %bb.43:                               ;   in Loop: Header=BB174_3 Depth=1
	v_lshl_add_u64 v[4:5], v[116:117], 0, v[2:3]
	v_lshl_add_u64 v[4:5], v[4:5], 0, s[44:45]
	v_cmp_gt_i64_e32 vcc, s[24:25], v[4:5]
	v_mov_b32_e32 v122, 0
	s_and_saveexec_b64 s[12:13], vcc
	s_cbranch_execz .LBB174_45
; %bb.44:                               ;   in Loop: Header=BB174_3 Depth=1
	v_lshl_add_u64 v[4:5], v[4:5], 2, s[34:35]
	global_load_dword v122, v[4:5], off
.LBB174_45:                             ;   in Loop: Header=BB174_3 Depth=1
	s_or_b64 exec, exec, s[12:13]
.LBB174_46:                             ;   in Loop: Header=BB174_3 Depth=1
	s_or_b64 exec, exec, s[10:11]
	s_mov_b32 s22, s8
	s_mov_b32 s23, s8
	;; [unrolled: 1-line block ×15, first 2 shown]
	v_mov_b64_e32 v[32:33], s[22:23]
	v_mov_b64_e32 v[30:31], s[20:21]
	;; [unrolled: 1-line block ×16, first 2 shown]
	s_and_saveexec_b64 s[10:11], s[6:7]
	s_cbranch_execnz .LBB174_66
; %bb.47:                               ;   in Loop: Header=BB174_3 Depth=1
	s_or_b64 exec, exec, s[10:11]
	s_and_saveexec_b64 s[10:11], s[6:7]
	s_cbranch_execnz .LBB174_67
.LBB174_48:                             ;   in Loop: Header=BB174_3 Depth=1
	s_or_b64 exec, exec, s[10:11]
	s_and_saveexec_b64 s[10:11], s[6:7]
	s_cbranch_execnz .LBB174_68
.LBB174_49:                             ;   in Loop: Header=BB174_3 Depth=1
	s_or_b64 exec, exec, s[10:11]
	s_and_saveexec_b64 s[10:11], s[6:7]
	s_cbranch_execnz .LBB174_69
.LBB174_50:                             ;   in Loop: Header=BB174_3 Depth=1
	s_or_b64 exec, exec, s[10:11]
	s_and_saveexec_b64 s[10:11], s[6:7]
	s_cbranch_execnz .LBB174_70
.LBB174_51:                             ;   in Loop: Header=BB174_3 Depth=1
	s_or_b64 exec, exec, s[10:11]
	s_and_saveexec_b64 s[10:11], s[6:7]
	s_cbranch_execnz .LBB174_71
.LBB174_52:                             ;   in Loop: Header=BB174_3 Depth=1
	s_or_b64 exec, exec, s[10:11]
	s_and_saveexec_b64 s[10:11], s[6:7]
	s_cbranch_execnz .LBB174_72
.LBB174_53:                             ;   in Loop: Header=BB174_3 Depth=1
	s_or_b64 exec, exec, s[10:11]
	s_and_saveexec_b64 s[10:11], s[6:7]
	s_cbranch_execnz .LBB174_73
.LBB174_54:                             ;   in Loop: Header=BB174_3 Depth=1
	s_or_b64 exec, exec, s[10:11]
	s_and_saveexec_b64 s[10:11], s[6:7]
	s_cbranch_execnz .LBB174_74
.LBB174_55:                             ;   in Loop: Header=BB174_3 Depth=1
	s_or_b64 exec, exec, s[10:11]
	s_and_saveexec_b64 s[10:11], s[6:7]
	s_cbranch_execnz .LBB174_75
.LBB174_56:                             ;   in Loop: Header=BB174_3 Depth=1
	s_or_b64 exec, exec, s[10:11]
	s_and_saveexec_b64 s[10:11], s[6:7]
	s_cbranch_execnz .LBB174_76
.LBB174_57:                             ;   in Loop: Header=BB174_3 Depth=1
	s_or_b64 exec, exec, s[10:11]
	s_and_saveexec_b64 s[10:11], s[6:7]
	s_cbranch_execnz .LBB174_77
.LBB174_58:                             ;   in Loop: Header=BB174_3 Depth=1
	s_or_b64 exec, exec, s[10:11]
	s_and_saveexec_b64 s[10:11], s[6:7]
	s_cbranch_execnz .LBB174_78
.LBB174_59:                             ;   in Loop: Header=BB174_3 Depth=1
	s_or_b64 exec, exec, s[10:11]
	s_and_saveexec_b64 s[10:11], s[6:7]
	s_cbranch_execnz .LBB174_79
.LBB174_60:                             ;   in Loop: Header=BB174_3 Depth=1
	s_or_b64 exec, exec, s[10:11]
	s_and_saveexec_b64 s[10:11], s[6:7]
	s_cbranch_execnz .LBB174_80
.LBB174_61:                             ;   in Loop: Header=BB174_3 Depth=1
	s_or_b64 exec, exec, s[10:11]
	s_and_saveexec_b64 s[10:11], s[6:7]
	s_cbranch_execz .LBB174_63
.LBB174_62:                             ;   in Loop: Header=BB174_3 Depth=1
	v_lshl_add_u64 v[4:5], v[52:53], 0, v[50:51]
	global_load_ushort v2, v[4:5], off
	v_lshl_add_u64 v[4:5], v[54:55], 0, v[50:51]
	global_load_ushort v4, v[4:5], off
	s_waitcnt vmcnt(1)
	v_cvt_f32_f16_e32 v49, v2
	s_waitcnt vmcnt(0)
	v_cvt_f32_f16_e32 v33, v4
.LBB174_63:                             ;   in Loop: Header=BB174_3 Depth=1
	s_or_b64 exec, exec, s[10:11]
	s_waitcnt vmcnt(0)
	ds_bpermute_b32 v2, v120, v122
	ds_bpermute_b32 v4, v120, v122 offset:4
	v_mul_f32_e32 v5, v18, v34
	v_mul_f32_e32 v7, v19, v35
	ds_bpermute_b32 v6, v120, v122 offset:8
	s_waitcnt lgkmcnt(2)
	v_fmac_f32_e32 v121, v5, v2
	s_waitcnt lgkmcnt(1)
	v_fmac_f32_e32 v121, v7, v4
	ds_bpermute_b32 v4, v120, v122 offset:12
	ds_bpermute_b32 v5, v120, v122 offset:16
	v_pk_mul_f32 v[16:17], v[20:21], v[36:37]
	v_pk_mul_f32 v[18:19], v[22:23], v[38:39]
	v_mov_b32_e32 v16, v17
	v_mov_b32_e32 v17, v18
	s_waitcnt lgkmcnt(0)
	v_pk_mul_f32 v[4:5], v[16:17], v[4:5]
	ds_bpermute_b32 v16, v120, v122 offset:20
	ds_bpermute_b32 v17, v120, v122 offset:24
	v_mul_f32_e32 v2, v20, v36
	v_fmac_f32_e32 v121, v2, v6
	v_pk_mul_f32 v[14:15], v[24:25], v[40:41]
	v_add_f32_e32 v2, v121, v4
	v_add_f32_e32 v2, v2, v5
	v_mov_b32_e32 v4, v19
	v_mov_b32_e32 v5, v14
	s_waitcnt lgkmcnt(0)
	v_pk_mul_f32 v[4:5], v[4:5], v[16:17]
	ds_bpermute_b32 v16, v120, v122 offset:28
	ds_bpermute_b32 v17, v120, v122 offset:32
	v_pk_mul_f32 v[12:13], v[26:27], v[42:43]
	v_add_f32_e32 v2, v2, v4
	v_mov_b32_e32 v4, v15
	ds_bpermute_b32 v14, v120, v122 offset:36
	ds_bpermute_b32 v15, v120, v122 offset:40
	v_add_f32_e32 v2, v2, v5
	v_mov_b32_e32 v5, v12
	s_waitcnt lgkmcnt(2)
	v_pk_mul_f32 v[4:5], v[4:5], v[16:17]
	v_pk_mul_f32 v[10:11], v[28:29], v[44:45]
	v_add_f32_e32 v2, v2, v4
	v_add_f32_e32 v2, v2, v5
	v_mov_b32_e32 v4, v13
	v_mov_b32_e32 v5, v10
	ds_bpermute_b32 v12, v120, v122 offset:44
	ds_bpermute_b32 v13, v120, v122 offset:48
	s_waitcnt lgkmcnt(2)
	v_pk_mul_f32 v[4:5], v[4:5], v[14:15]
	ds_bpermute_b32 v10, v120, v122 offset:52
	v_add_f32_e32 v2, v2, v4
	v_mov_b32_e32 v4, v11
	ds_bpermute_b32 v11, v120, v122 offset:56
	v_pk_mul_f32 v[8:9], v[30:31], v[46:47]
	v_add_f32_e32 v2, v2, v5
	v_mov_b32_e32 v5, v8
	v_pk_mul_f32 v[6:7], v[32:33], v[48:49]
	s_waitcnt lgkmcnt(2)
	v_pk_mul_f32 v[4:5], v[4:5], v[12:13]
	v_mov_b32_e32 v8, v9
	v_add_f32_e32 v2, v2, v4
	v_mov_b32_e32 v9, v6
	v_add_f32_e32 v2, v2, v5
	s_waitcnt lgkmcnt(0)
	v_pk_mul_f32 v[6:7], v[8:9], v[10:11]
	ds_bpermute_b32 v4, v120, v122 offset:60
	v_add_f32_e32 v2, v2, v6
	v_add_f32_e32 v2, v2, v7
.LBB174_64:                             ;   in Loop: Header=BB174_3 Depth=1
	v_mul_f32_e32 v5, v49, v33
	s_add_u32 s76, s76, s3
	s_waitcnt lgkmcnt(0)
	v_fmac_f32_e32 v2, v5, v4
	s_addc_u32 s77, s77, 0
	v_mov_b64_e32 v[4:5], s[24:25]
	s_add_u32 s42, s42, s3
	v_cmp_lt_i64_e32 vcc, s[76:77], v[4:5]
	v_lshl_add_u64 v[52:53], v[52:53], 0, s[40:41]
	v_lshl_add_u64 v[54:55], v[54:55], 0, s[40:41]
	;; [unrolled: 1-line block ×30, first 2 shown]
	s_addc_u32 s43, s43, 0
	v_lshl_add_u64 v[112:113], v[112:113], 0, s[40:41]
	v_lshl_add_u64 v[114:115], v[114:115], 0, s[40:41]
	s_cbranch_vccz .LBB174_82
; %bb.65:                               ;   in Loop: Header=BB174_3 Depth=1
	v_mov_b32_e32 v121, v2
	s_branch .LBB174_3
.LBB174_66:                             ;   in Loop: Header=BB174_3 Depth=1
	v_lshl_add_u64 v[4:5], v[112:113], 0, v[50:51]
	global_load_ushort v2, v[4:5], off
	v_lshl_add_u64 v[4:5], v[114:115], 0, v[50:51]
	global_load_ushort v18, v[4:5], off
	v_mov_b32_e32 v16, v3
	v_mov_b32_e32 v17, v3
	;; [unrolled: 1-line block ×29, first 2 shown]
	s_waitcnt vmcnt(1)
	v_cvt_f32_f16_e32 v2, v2
	v_mov_b64_e32 v[48:49], v[16:17]
	s_waitcnt vmcnt(0)
	v_cvt_f32_f16_e32 v18, v18
	v_mov_b64_e32 v[46:47], v[14:15]
	v_mov_b64_e32 v[44:45], v[12:13]
	;; [unrolled: 1-line block ×7, first 2 shown]
	s_or_b64 exec, exec, s[10:11]
	s_and_saveexec_b64 s[10:11], s[6:7]
	s_cbranch_execz .LBB174_48
.LBB174_67:                             ;   in Loop: Header=BB174_3 Depth=1
	v_lshl_add_u64 v[4:5], v[108:109], 0, v[50:51]
	global_load_ushort v2, v[4:5], off
	v_lshl_add_u64 v[4:5], v[110:111], 0, v[50:51]
	global_load_ushort v4, v[4:5], off
	s_waitcnt vmcnt(1)
	v_cvt_f32_f16_e32 v35, v2
	s_waitcnt vmcnt(0)
	v_cvt_f32_f16_e32 v19, v4
	s_or_b64 exec, exec, s[10:11]
	s_and_saveexec_b64 s[10:11], s[6:7]
	s_cbranch_execz .LBB174_49
.LBB174_68:                             ;   in Loop: Header=BB174_3 Depth=1
	v_lshl_add_u64 v[4:5], v[104:105], 0, v[50:51]
	global_load_ushort v2, v[4:5], off
	v_lshl_add_u64 v[4:5], v[106:107], 0, v[50:51]
	global_load_ushort v4, v[4:5], off
	s_waitcnt vmcnt(1)
	v_cvt_f32_f16_e32 v36, v2
	s_waitcnt vmcnt(0)
	v_cvt_f32_f16_e32 v20, v4
	s_or_b64 exec, exec, s[10:11]
	s_and_saveexec_b64 s[10:11], s[6:7]
	s_cbranch_execz .LBB174_50
.LBB174_69:                             ;   in Loop: Header=BB174_3 Depth=1
	v_lshl_add_u64 v[4:5], v[100:101], 0, v[50:51]
	global_load_ushort v2, v[4:5], off
	v_lshl_add_u64 v[4:5], v[102:103], 0, v[50:51]
	global_load_ushort v4, v[4:5], off
	s_waitcnt vmcnt(1)
	v_cvt_f32_f16_e32 v37, v2
	s_waitcnt vmcnt(0)
	v_cvt_f32_f16_e32 v21, v4
	s_or_b64 exec, exec, s[10:11]
	s_and_saveexec_b64 s[10:11], s[6:7]
	s_cbranch_execz .LBB174_51
.LBB174_70:                             ;   in Loop: Header=BB174_3 Depth=1
	v_lshl_add_u64 v[4:5], v[96:97], 0, v[50:51]
	global_load_ushort v2, v[4:5], off
	v_lshl_add_u64 v[4:5], v[98:99], 0, v[50:51]
	global_load_ushort v4, v[4:5], off
	s_waitcnt vmcnt(1)
	v_cvt_f32_f16_e32 v38, v2
	s_waitcnt vmcnt(0)
	v_cvt_f32_f16_e32 v22, v4
	s_or_b64 exec, exec, s[10:11]
	s_and_saveexec_b64 s[10:11], s[6:7]
	s_cbranch_execz .LBB174_52
.LBB174_71:                             ;   in Loop: Header=BB174_3 Depth=1
	v_lshl_add_u64 v[4:5], v[92:93], 0, v[50:51]
	global_load_ushort v2, v[4:5], off
	v_lshl_add_u64 v[4:5], v[94:95], 0, v[50:51]
	global_load_ushort v4, v[4:5], off
	s_waitcnt vmcnt(1)
	v_cvt_f32_f16_e32 v39, v2
	s_waitcnt vmcnt(0)
	v_cvt_f32_f16_e32 v23, v4
	s_or_b64 exec, exec, s[10:11]
	s_and_saveexec_b64 s[10:11], s[6:7]
	s_cbranch_execz .LBB174_53
.LBB174_72:                             ;   in Loop: Header=BB174_3 Depth=1
	v_lshl_add_u64 v[4:5], v[88:89], 0, v[50:51]
	global_load_ushort v2, v[4:5], off
	v_lshl_add_u64 v[4:5], v[90:91], 0, v[50:51]
	global_load_ushort v4, v[4:5], off
	s_waitcnt vmcnt(1)
	v_cvt_f32_f16_e32 v40, v2
	s_waitcnt vmcnt(0)
	v_cvt_f32_f16_e32 v24, v4
	s_or_b64 exec, exec, s[10:11]
	s_and_saveexec_b64 s[10:11], s[6:7]
	s_cbranch_execz .LBB174_54
.LBB174_73:                             ;   in Loop: Header=BB174_3 Depth=1
	v_lshl_add_u64 v[4:5], v[84:85], 0, v[50:51]
	global_load_ushort v2, v[4:5], off
	v_lshl_add_u64 v[4:5], v[86:87], 0, v[50:51]
	global_load_ushort v4, v[4:5], off
	s_waitcnt vmcnt(1)
	v_cvt_f32_f16_e32 v41, v2
	s_waitcnt vmcnt(0)
	v_cvt_f32_f16_e32 v25, v4
	s_or_b64 exec, exec, s[10:11]
	s_and_saveexec_b64 s[10:11], s[6:7]
	s_cbranch_execz .LBB174_55
.LBB174_74:                             ;   in Loop: Header=BB174_3 Depth=1
	v_lshl_add_u64 v[4:5], v[80:81], 0, v[50:51]
	global_load_ushort v2, v[4:5], off
	v_lshl_add_u64 v[4:5], v[82:83], 0, v[50:51]
	global_load_ushort v4, v[4:5], off
	s_waitcnt vmcnt(1)
	v_cvt_f32_f16_e32 v42, v2
	s_waitcnt vmcnt(0)
	v_cvt_f32_f16_e32 v26, v4
	s_or_b64 exec, exec, s[10:11]
	s_and_saveexec_b64 s[10:11], s[6:7]
	s_cbranch_execz .LBB174_56
.LBB174_75:                             ;   in Loop: Header=BB174_3 Depth=1
	v_lshl_add_u64 v[4:5], v[76:77], 0, v[50:51]
	global_load_ushort v2, v[4:5], off
	v_lshl_add_u64 v[4:5], v[78:79], 0, v[50:51]
	global_load_ushort v4, v[4:5], off
	s_waitcnt vmcnt(1)
	v_cvt_f32_f16_e32 v43, v2
	s_waitcnt vmcnt(0)
	v_cvt_f32_f16_e32 v27, v4
	s_or_b64 exec, exec, s[10:11]
	s_and_saveexec_b64 s[10:11], s[6:7]
	s_cbranch_execz .LBB174_57
.LBB174_76:                             ;   in Loop: Header=BB174_3 Depth=1
	v_lshl_add_u64 v[4:5], v[72:73], 0, v[50:51]
	global_load_ushort v2, v[4:5], off
	v_lshl_add_u64 v[4:5], v[74:75], 0, v[50:51]
	global_load_ushort v4, v[4:5], off
	s_waitcnt vmcnt(1)
	v_cvt_f32_f16_e32 v44, v2
	s_waitcnt vmcnt(0)
	v_cvt_f32_f16_e32 v28, v4
	s_or_b64 exec, exec, s[10:11]
	s_and_saveexec_b64 s[10:11], s[6:7]
	s_cbranch_execz .LBB174_58
.LBB174_77:                             ;   in Loop: Header=BB174_3 Depth=1
	v_lshl_add_u64 v[4:5], v[68:69], 0, v[50:51]
	global_load_ushort v2, v[4:5], off
	v_lshl_add_u64 v[4:5], v[70:71], 0, v[50:51]
	global_load_ushort v4, v[4:5], off
	s_waitcnt vmcnt(1)
	v_cvt_f32_f16_e32 v45, v2
	s_waitcnt vmcnt(0)
	v_cvt_f32_f16_e32 v29, v4
	s_or_b64 exec, exec, s[10:11]
	s_and_saveexec_b64 s[10:11], s[6:7]
	s_cbranch_execz .LBB174_59
.LBB174_78:                             ;   in Loop: Header=BB174_3 Depth=1
	v_lshl_add_u64 v[4:5], v[64:65], 0, v[50:51]
	global_load_ushort v2, v[4:5], off
	v_lshl_add_u64 v[4:5], v[66:67], 0, v[50:51]
	global_load_ushort v4, v[4:5], off
	s_waitcnt vmcnt(1)
	v_cvt_f32_f16_e32 v46, v2
	s_waitcnt vmcnt(0)
	v_cvt_f32_f16_e32 v30, v4
	s_or_b64 exec, exec, s[10:11]
	s_and_saveexec_b64 s[10:11], s[6:7]
	s_cbranch_execz .LBB174_60
.LBB174_79:                             ;   in Loop: Header=BB174_3 Depth=1
	v_lshl_add_u64 v[4:5], v[60:61], 0, v[50:51]
	global_load_ushort v2, v[4:5], off
	v_lshl_add_u64 v[4:5], v[62:63], 0, v[50:51]
	global_load_ushort v4, v[4:5], off
	s_waitcnt vmcnt(1)
	v_cvt_f32_f16_e32 v47, v2
	s_waitcnt vmcnt(0)
	v_cvt_f32_f16_e32 v31, v4
	s_or_b64 exec, exec, s[10:11]
	s_and_saveexec_b64 s[10:11], s[6:7]
	s_cbranch_execz .LBB174_61
.LBB174_80:                             ;   in Loop: Header=BB174_3 Depth=1
	v_lshl_add_u64 v[4:5], v[56:57], 0, v[50:51]
	global_load_ushort v2, v[4:5], off
	v_lshl_add_u64 v[4:5], v[58:59], 0, v[50:51]
	global_load_ushort v4, v[4:5], off
	s_waitcnt vmcnt(1)
	v_cvt_f32_f16_e32 v48, v2
	s_waitcnt vmcnt(0)
	v_cvt_f32_f16_e32 v32, v4
	s_or_b64 exec, exec, s[10:11]
	s_and_saveexec_b64 s[10:11], s[6:7]
	s_cbranch_execnz .LBB174_62
	s_branch .LBB174_63
.LBB174_81:
                                        ; implicit-def: $vgpr2
	s_branch .LBB174_84
.LBB174_82:
	v_mov_b32_e32 v103, v123
.LBB174_83:
	s_cbranch_execnz .LBB174_132
.LBB174_84:
	s_and_b64 vcc, exec, s[4:5]
	v_mov_b32_e32 v2, 0
	s_cbranch_vccnz .LBB174_132
; %bb.85:
	v_mov_b32_e32 v1, v103
	v_and_b32_e32 v0, 0x3ff, v1
	v_add_u32_e32 v2, s33, v0
	v_mov_b32_e32 v3, 0
	v_bfe_u32 v24, v1, 10, 10
	v_lshlrev_b64 v[50:51], 1, v[2:3]
	v_lshlrev_b32_e32 v2, 5, v24
	v_lshl_add_u64 v[0:1], s[36:37], 1, v[2:3]
	v_lshl_add_u64 v[6:7], v[0:1], 0, 2
	v_mov_b64_e32 v[4:5], s[28:29]
	v_mad_u64_u32 v[8:9], s[4:5], s26, v6, v[4:5]
	v_mul_lo_u32 v2, s26, v7
	v_mul_lo_u32 v7, s27, v6
	v_add3_u32 v9, v7, v9, v2
	scratch_store_dwordx2 off, v[8:9], off  ; 8-byte Folded Spill
	v_lshl_add_u64 v[8:9], v[0:1], 0, 4
	v_mad_u64_u32 v[10:11], s[4:5], s26, v8, v[4:5]
	v_mul_lo_u32 v9, s26, v9
	v_mul_lo_u32 v20, s27, v8
	v_add3_u32 v11, v20, v11, v9
	scratch_store_dwordx2 off, v[10:11], off offset:8 ; 8-byte Folded Spill
	v_lshl_add_u64 v[10:11], v[0:1], 0, 6
	v_mad_u64_u32 v[12:13], s[4:5], s26, v10, v[4:5]
	v_mul_lo_u32 v11, s26, v11
	v_mul_lo_u32 v21, s27, v10
	v_add3_u32 v13, v21, v13, v11
	scratch_store_dwordx2 off, v[12:13], off offset:16 ; 8-byte Folded Spill
	;; [unrolled: 6-line block ×3, first 2 shown]
	v_lshl_add_u64 v[14:15], v[0:1], 0, 10
	v_mad_u64_u32 v[16:17], s[4:5], s26, v14, v[4:5]
	v_mul_lo_u32 v15, s26, v15
	v_mul_lo_u32 v23, s27, v14
	v_mov_b64_e32 v[18:19], s[30:31]
	v_add3_u32 v17, v23, v17, v15
	v_mad_u64_u32 v[26:27], s[4:5], s26, v6, v[18:19]
	scratch_store_dwordx2 off, v[16:17], off offset:32 ; 8-byte Folded Spill
	v_lshl_add_u64 v[16:17], v[0:1], 0, 12
	v_add3_u32 v27, v7, v27, v2
	scratch_store_dwordx2 off, v[26:27], off offset:40 ; 8-byte Folded Spill
	v_mad_u64_u32 v[6:7], s[4:5], s26, v16, v[4:5]
	v_mul_lo_u32 v2, s26, v17
	v_mad_u64_u32 v[26:27], s[4:5], s26, v8, v[18:19]
	v_mul_lo_u32 v8, s27, v16
	v_add3_u32 v7, v8, v7, v2
	scratch_store_dwordx2 off, v[6:7], off offset:48 ; 8-byte Folded Spill
	v_mad_u64_u32 v[6:7], s[4:5], s26, v10, v[18:19]
	v_add3_u32 v7, v21, v7, v11
	v_mad_u64_u32 v[10:11], s[4:5], s26, v12, v[18:19]
	v_add3_u32 v11, v22, v11, v13
	scratch_store_dwordx2 off, v[10:11], off offset:72 ; 8-byte Folded Spill
	v_mad_u64_u32 v[10:11], s[4:5], s26, v14, v[18:19]
	scratch_store_dwordx2 off, v[6:7], off offset:64 ; 8-byte Folded Spill
	v_lshl_add_u64 v[6:7], v[0:1], 0, 14
	v_add3_u32 v11, v23, v11, v15
	v_mad_u64_u32 v[12:13], s[4:5], s26, v6, v[4:5]
	v_mul_lo_u32 v7, s26, v7
	scratch_store_dwordx2 off, v[10:11], off offset:88 ; 8-byte Folded Spill
	v_mul_lo_u32 v10, s27, v6
	v_add3_u32 v13, v10, v13, v7
	scratch_store_dwordx2 off, v[12:13], off offset:80 ; 8-byte Folded Spill
	v_mad_u64_u32 v[12:13], s[4:5], s26, v16, v[18:19]
	v_add3_u32 v13, v8, v13, v2
	v_add3_u32 v27, v20, v27, v9
	scratch_store_dwordx2 off, v[12:13], off offset:96 ; 8-byte Folded Spill
	v_lshl_add_u64 v[8:9], v[0:1], 0, 16
	v_mad_u64_u32 v[12:13], s[4:5], s26, v6, v[18:19]
	v_add3_u32 v13, v10, v13, v7
	v_mad_u64_u32 v[10:11], s[4:5], s26, v8, v[4:5]
	v_mul_lo_u32 v2, s26, v9
	v_mul_lo_u32 v6, s27, v8
	v_mad_u64_u32 v[8:9], s[4:5], s26, v8, v[18:19]
	v_add3_u32 v11, v6, v11, v2
	v_add3_u32 v9, v6, v9, v2
	v_lshl_add_u64 v[6:7], v[0:1], 0, 18
	scratch_store_dwordx2 off, v[8:9], off offset:120 ; 8-byte Folded Spill
	v_mul_lo_u32 v2, s26, v7
	v_mul_lo_u32 v7, s27, v6
	v_mad_u64_u32 v[8:9], s[4:5], s26, v6, v[4:5]
	v_add3_u32 v9, v7, v9, v2
	scratch_store_dwordx2 off, v[8:9], off offset:128 ; 8-byte Folded Spill
	v_mad_u64_u32 v[8:9], s[4:5], s26, v6, v[18:19]
	v_add3_u32 v9, v7, v9, v2
	v_lshl_add_u64 v[6:7], v[0:1], 0, 20
	scratch_store_dwordx2 off, v[8:9], off offset:136 ; 8-byte Folded Spill
	v_mul_lo_u32 v2, s26, v7
	v_mul_lo_u32 v7, s27, v6
	v_mad_u64_u32 v[8:9], s[4:5], s26, v6, v[4:5]
	v_add3_u32 v9, v7, v9, v2
	scratch_store_dwordx2 off, v[8:9], off offset:144 ; 8-byte Folded Spill
	v_mad_u64_u32 v[8:9], s[4:5], s26, v6, v[18:19]
	;; [unrolled: 9-line block ×5, first 2 shown]
	v_add3_u32 v9, v7, v9, v2
	v_lshl_add_u64 v[6:7], v[0:1], 0, 28
	v_lshl_add_u64 v[0:1], v[0:1], 0, 30
	v_mad_u64_u32 v[108:109], s[4:5], s26, v0, v[4:5]
	v_mad_u64_u32 v[110:111], s[4:5], s26, v0, v[18:19]
	v_mul_lo_u32 v1, s26, v1
	v_mul_lo_u32 v0, s27, v0
	;; [unrolled: 1-line block ×4, first 2 shown]
	v_mad_u64_u32 v[104:105], s[4:5], s26, v6, v[4:5]
	v_mad_u64_u32 v[106:107], s[4:5], s26, v6, v[18:19]
	v_add3_u32 v109, v0, v109, v1
	v_add3_u32 v111, v0, v111, v1
	v_lshlrev_b32_e32 v0, 4, v24
	v_mov_b32_e32 v1, v3
	v_add3_u32 v105, v7, v105, v2
	v_add3_u32 v107, v7, v107, v2
	v_lshl_add_u64 v[6:7], v[0:1], 0, s[36:37]
	scratch_store_dwordx2 off, v[0:1], off offset:212 ; 8-byte Folded Spill
	v_lshl_add_u64 v[0:1], v[6:7], 0, 15
	v_mul_lo_u32 v2, s27, v0
	v_mul_lo_u32 v4, s26, v1
	v_mad_u64_u32 v[0:1], s[4:5], s26, v0, 0
	v_add3_u32 v1, v1, v4, v2
	v_lshl_add_u64 v[4:5], v[6:7], 0, 14
	scratch_store_dwordx2 off, v[8:9], off offset:200 ; 8-byte Folded Spill
	v_mul_lo_u32 v2, s27, v4
	v_mul_lo_u32 v8, s26, v5
	v_mad_u64_u32 v[4:5], s[4:5], s26, v4, 0
	v_add3_u32 v5, v5, v8, v2
	v_lshl_add_u64 v[8:9], v[6:7], 0, 13
	scratch_store_dwordx2 off, v[10:11], off offset:112 ; 8-byte Folded Spill
	;; [unrolled: 6-line block ×3, first 2 shown]
	v_mul_lo_u32 v2, s27, v10
	v_mul_lo_u32 v12, s26, v11
	v_mad_u64_u32 v[10:11], s[4:5], s26, v10, 0
	v_add3_u32 v11, v11, v12, v2
	v_lshl_add_u64 v[12:13], v[6:7], 0, 11
	v_mul_lo_u32 v2, s27, v12
	v_mul_lo_u32 v14, s26, v13
	v_mad_u64_u32 v[12:13], s[4:5], s26, v12, 0
	v_add3_u32 v13, v13, v14, v2
	v_lshl_add_u64 v[14:15], v[6:7], 0, 10
	;; [unrolled: 5-line block ×6, first 2 shown]
	v_lshlrev_b64 v[0:1], 1, v[0:1]
	scratch_store_dword off, v24, off offset:208 ; 4-byte Folded Spill
	v_mul_lo_u32 v2, s27, v22
	v_mul_lo_u32 v24, s26, v23
	v_mad_u64_u32 v[22:23], s[4:5], s26, v22, 0
	v_lshl_add_u64 v[118:119], s[28:29], 0, v[0:1]
	v_lshl_add_u64 v[120:121], s[30:31], 0, v[0:1]
	v_lshlrev_b64 v[0:1], 1, v[4:5]
	v_add3_u32 v23, v23, v24, v2
	v_lshl_add_u64 v[24:25], v[6:7], 0, 5
	v_lshl_add_u64 v[122:123], s[28:29], 0, v[0:1]
	;; [unrolled: 1-line block ×3, first 2 shown]
	v_lshlrev_b64 v[0:1], 1, v[8:9]
	v_lshlrev_b64 v[4:5], 1, v[10:11]
	scratch_store_dwordx2 off, v[26:27], off offset:56 ; 8-byte Folded Spill
	v_mul_lo_u32 v2, s27, v24
	v_mul_lo_u32 v26, s26, v25
	v_mad_u64_u32 v[24:25], s[4:5], s26, v24, 0
	v_lshl_add_u64 v[126:127], s[28:29], 0, v[0:1]
	v_lshl_add_u64 v[112:113], s[30:31], 0, v[0:1]
	;; [unrolled: 1-line block ×4, first 2 shown]
	v_lshlrev_b64 v[4:5], 1, v[12:13]
	v_add3_u32 v25, v25, v26, v2
	v_lshl_add_u64 v[26:27], v[6:7], 0, 4
	v_lshl_add_u64 v[54:55], s[28:29], 0, v[4:5]
	v_lshl_add_u64 v[56:57], s[30:31], 0, v[4:5]
	v_lshlrev_b64 v[4:5], 1, v[14:15]
	v_mul_lo_u32 v2, s27, v26
	v_mul_lo_u32 v28, s26, v27
	v_mad_u64_u32 v[26:27], s[4:5], s26, v26, 0
	v_lshl_add_u64 v[58:59], s[28:29], 0, v[4:5]
	v_lshl_add_u64 v[60:61], s[30:31], 0, v[4:5]
	v_lshlrev_b64 v[4:5], 1, v[16:17]
	v_add3_u32 v27, v27, v28, v2
	v_lshl_add_u64 v[28:29], v[6:7], 0, 3
	v_lshl_add_u64 v[62:63], s[28:29], 0, v[4:5]
	;; [unrolled: 1-line block ×3, first 2 shown]
	v_lshlrev_b64 v[4:5], 1, v[18:19]
	v_mul_lo_u32 v2, s27, v28
	v_mul_lo_u32 v30, s26, v29
	v_mad_u64_u32 v[28:29], s[4:5], s26, v28, 0
	s_load_dword s3, s[0:1], 0x44
	v_lshl_add_u64 v[66:67], s[28:29], 0, v[4:5]
	v_lshl_add_u64 v[68:69], s[30:31], 0, v[4:5]
	v_lshlrev_b64 v[4:5], 1, v[20:21]
	v_add3_u32 v29, v29, v30, v2
	v_lshl_add_u64 v[30:31], v[6:7], 0, 2
	v_lshl_add_u64 v[70:71], s[28:29], 0, v[4:5]
	v_lshl_add_u64 v[72:73], s[30:31], 0, v[4:5]
	v_lshlrev_b64 v[4:5], 1, v[22:23]
	v_mul_lo_u32 v2, s27, v30
	v_mul_lo_u32 v32, s26, v31
	v_mad_u64_u32 v[30:31], s[4:5], s26, v30, 0
	v_lshl_add_u64 v[74:75], s[28:29], 0, v[4:5]
	v_lshl_add_u64 v[76:77], s[30:31], 0, v[4:5]
	v_lshlrev_b64 v[4:5], 1, v[24:25]
	v_add3_u32 v31, v31, v32, v2
	v_mov_b64_e32 v[32:33], s[26:27]
	v_lshl_add_u64 v[78:79], s[28:29], 0, v[4:5]
	v_lshl_add_u64 v[80:81], s[30:31], 0, v[4:5]
	v_lshlrev_b64 v[4:5], 1, v[26:27]
	v_mad_u64_u32 v[32:33], s[4:5], s26, v6, v[32:33]
	v_mul_lo_u32 v2, s27, v6
	v_mul_lo_u32 v34, s26, v7
	v_mad_u64_u32 v[6:7], s[4:5], s26, v6, 0
	s_add_u32 s20, s0, 64
	v_lshl_add_u64 v[82:83], s[28:29], 0, v[4:5]
	v_lshl_add_u64 v[84:85], s[30:31], 0, v[4:5]
	v_lshlrev_b64 v[4:5], 1, v[28:29]
	v_add3_u32 v7, v7, v34, v2
	v_add3_u32 v33, v2, v33, v34
	s_addc_u32 s21, s1, 0
	s_waitcnt lgkmcnt(0)
	s_lshl_b32 s3, s3, 8
	v_lshl_add_u64 v[86:87], s[28:29], 0, v[4:5]
	v_lshl_add_u64 v[88:89], s[30:31], 0, v[4:5]
	v_lshlrev_b64 v[4:5], 1, v[30:31]
	v_mbcnt_lo_u32_b32 v2, -1, 0
	s_add_u32 s22, s36, 0xff
	s_mul_i32 s5, s27, s3
	s_mul_hi_u32 s6, s26, s3
	v_lshlrev_b64 v[6:7], 1, v[6:7]
	v_lshl_add_u64 v[90:91], s[28:29], 0, v[4:5]
	v_lshl_add_u64 v[92:93], s[30:31], 0, v[4:5]
	v_lshlrev_b64 v[4:5], 1, v[32:33]
	v_mbcnt_hi_u32_b32 v2, -1, v2
	s_addc_u32 s23, 0, 0
	s_add_i32 s7, s6, s5
	s_mul_i32 s6, s26, s3
	v_lshl_add_u64 v[114:115], s[28:29], 0, v[6:7]
	v_lshl_add_u64 v[116:117], s[30:31], 0, v[6:7]
	;; [unrolled: 1-line block ×4, first 2 shown]
	s_movk_i32 s28, 0xff01
	s_movk_i32 s30, 0xff02
	;; [unrolled: 1-line block ×16, first 2 shown]
	v_lshlrev_b32_e32 v2, 2, v2
	s_mov_b32 s4, 0
	s_lshl_b64 s[38:39], s[6:7], 1
	s_mov_b32 s29, -1
	s_mov_b32 s31, -1
	;; [unrolled: 1-line block ×16, first 2 shown]
	v_and_b32_e32 v100, 0x100, v2
	v_mov_b32_e32 v101, 0
.LBB174_86:                             ; =>This Inner Loop Header: Depth=1
	v_mov_b64_e32 v[4:5], s[24:25]
	v_cmp_ge_i64_e32 vcc, s[22:23], v[4:5]
	scratch_load_dwordx2 v[4:5], off, off offset:212 ; 8-byte Folded Reload
	s_waitcnt vmcnt(0)
	v_lshl_add_u64 v[98:99], v[4:5], 0, s[22:23]
	s_cbranch_vccz .LBB174_124
; %bb.87:                               ;   in Loop: Header=BB174_86 Depth=1
	scratch_load_dword v4, off, off offset:208 ; 4-byte Folded Reload
	s_load_dword s5, s[20:21], 0xc
	v_mov_b32_e32 v2, v103
	v_and_b32_e32 v2, 0x3ff, v2
	v_mov_b32_e32 v102, 0
	s_waitcnt lgkmcnt(0)
	s_and_b32 s5, s5, 0xffff
	s_waitcnt vmcnt(0)
	v_mad_u32_u24 v2, v4, s5, v2
	v_and_b32_e32 v2, 63, v2
	v_cmp_gt_u32_e32 vcc, 16, v2
	s_and_saveexec_b64 s[6:7], vcc
	s_cbranch_execz .LBB174_91
; %bb.88:                               ;   in Loop: Header=BB174_86 Depth=1
	v_lshl_add_u64 v[4:5], v[98:99], 0, v[2:3]
	v_lshl_add_u64 v[4:5], v[4:5], 0, s[28:29]
	v_cmp_gt_i64_e32 vcc, s[24:25], v[4:5]
	v_mov_b32_e32 v102, 0
	s_and_saveexec_b64 s[8:9], vcc
	s_cbranch_execz .LBB174_90
; %bb.89:                               ;   in Loop: Header=BB174_86 Depth=1
	v_lshl_add_u64 v[4:5], v[4:5], 2, s[34:35]
	global_load_dword v102, v[4:5], off
.LBB174_90:                             ;   in Loop: Header=BB174_86 Depth=1
	s_or_b64 exec, exec, s[8:9]
.LBB174_91:                             ;   in Loop: Header=BB174_86 Depth=1
	s_or_b64 exec, exec, s[6:7]
	s_mov_b32 s18, s4
	s_mov_b32 s19, s4
	;; [unrolled: 1-line block ×15, first 2 shown]
	v_mov_b64_e32 v[32:33], s[18:19]
	v_lshl_add_u64 v[4:5], v[98:99], 0, s[28:29]
	v_mov_b64_e32 v[30:31], s[16:17]
	v_mov_b64_e32 v[28:29], s[14:15]
	;; [unrolled: 1-line block ×8, first 2 shown]
	v_cmp_gt_i64_e32 vcc, s[24:25], v[4:5]
	v_mov_b64_e32 v[46:47], v[30:31]
	v_mov_b64_e32 v[44:45], v[28:29]
	;; [unrolled: 1-line block ×7, first 2 shown]
	s_and_saveexec_b64 s[6:7], vcc
	s_cbranch_execz .LBB174_93
; %bb.92:                               ;   in Loop: Header=BB174_86 Depth=1
	v_lshl_add_u64 v[4:5], v[114:115], 0, v[50:51]
	global_load_ushort v2, v[4:5], off
	v_lshl_add_u64 v[4:5], v[116:117], 0, v[50:51]
	global_load_ushort v18, v[4:5], off
	v_mov_b32_e32 v16, v3
	v_mov_b32_e32 v17, v3
	;; [unrolled: 1-line block ×29, first 2 shown]
	s_waitcnt vmcnt(1)
	v_cvt_f32_f16_e32 v2, v2
	v_mov_b64_e32 v[48:49], v[16:17]
	s_waitcnt vmcnt(0)
	v_cvt_f32_f16_e32 v18, v18
	v_mov_b64_e32 v[46:47], v[14:15]
	v_mov_b64_e32 v[44:45], v[12:13]
	;; [unrolled: 1-line block ×7, first 2 shown]
.LBB174_93:                             ;   in Loop: Header=BB174_86 Depth=1
	s_or_b64 exec, exec, s[6:7]
	v_lshl_add_u64 v[4:5], v[98:99], 0, s[30:31]
	v_cmp_gt_i64_e32 vcc, s[24:25], v[4:5]
	s_and_saveexec_b64 s[6:7], vcc
	s_cbranch_execz .LBB174_95
; %bb.94:                               ;   in Loop: Header=BB174_86 Depth=1
	v_lshl_add_u64 v[4:5], v[94:95], 0, v[50:51]
	global_load_ushort v2, v[4:5], off
	v_lshl_add_u64 v[4:5], v[96:97], 0, v[50:51]
	global_load_ushort v4, v[4:5], off
	s_waitcnt vmcnt(1)
	v_cvt_f32_f16_e32 v35, v2
	s_waitcnt vmcnt(0)
	v_cvt_f32_f16_e32 v19, v4
.LBB174_95:                             ;   in Loop: Header=BB174_86 Depth=1
	s_or_b64 exec, exec, s[6:7]
	v_lshl_add_u64 v[4:5], v[98:99], 0, s[40:41]
	v_cmp_gt_i64_e32 vcc, s[24:25], v[4:5]
	s_and_saveexec_b64 s[6:7], vcc
	s_cbranch_execz .LBB174_97
; %bb.96:                               ;   in Loop: Header=BB174_86 Depth=1
	v_lshl_add_u64 v[4:5], v[90:91], 0, v[50:51]
	global_load_ushort v2, v[4:5], off
	v_lshl_add_u64 v[4:5], v[92:93], 0, v[50:51]
	global_load_ushort v4, v[4:5], off
	s_waitcnt vmcnt(1)
	v_cvt_f32_f16_e32 v36, v2
	s_waitcnt vmcnt(0)
	v_cvt_f32_f16_e32 v20, v4
.LBB174_97:                             ;   in Loop: Header=BB174_86 Depth=1
	;; [unrolled: 15-line block ×3, first 2 shown]
	s_or_b64 exec, exec, s[6:7]
	v_lshl_add_u64 v[4:5], v[98:99], 0, s[44:45]
	v_cmp_gt_i64_e32 vcc, s[24:25], v[4:5]
	s_and_saveexec_b64 s[6:7], vcc
	s_cbranch_execz .LBB174_101
; %bb.100:                              ;   in Loop: Header=BB174_86 Depth=1
	v_lshl_add_u64 v[4:5], v[82:83], 0, v[50:51]
	global_load_ushort v2, v[4:5], off
	v_lshl_add_u64 v[4:5], v[84:85], 0, v[50:51]
	global_load_ushort v4, v[4:5], off
	s_waitcnt vmcnt(1)
	v_cvt_f32_f16_e32 v38, v2
	s_waitcnt vmcnt(0)
	v_cvt_f32_f16_e32 v22, v4
.LBB174_101:                            ;   in Loop: Header=BB174_86 Depth=1
	s_or_b64 exec, exec, s[6:7]
	v_lshl_add_u64 v[4:5], v[98:99], 0, s[46:47]
	v_cmp_gt_i64_e32 vcc, s[24:25], v[4:5]
	s_and_saveexec_b64 s[6:7], vcc
	s_cbranch_execz .LBB174_103
; %bb.102:                              ;   in Loop: Header=BB174_86 Depth=1
	v_lshl_add_u64 v[4:5], v[78:79], 0, v[50:51]
	global_load_ushort v2, v[4:5], off
	v_lshl_add_u64 v[4:5], v[80:81], 0, v[50:51]
	global_load_ushort v4, v[4:5], off
	s_waitcnt vmcnt(1)
	v_cvt_f32_f16_e32 v39, v2
	s_waitcnt vmcnt(0)
	v_cvt_f32_f16_e32 v23, v4
.LBB174_103:                            ;   in Loop: Header=BB174_86 Depth=1
	;; [unrolled: 15-line block ×12, first 2 shown]
	s_or_b64 exec, exec, s[6:7]
	s_waitcnt vmcnt(0)
	ds_bpermute_b32 v2, v100, v102
	v_mul_f32_e32 v4, v18, v34
	v_mul_f32_e32 v5, v19, v35
	ds_bpermute_b32 v6, v100, v102 offset:16
	ds_bpermute_b32 v7, v100, v102 offset:20
	s_waitcnt lgkmcnt(2)
	v_fma_f32 v2, v4, v2, v101
	ds_bpermute_b32 v4, v100, v102 offset:4
	v_pk_mul_f32 v[16:17], v[22:23], v[38:39]
	v_pk_mul_f32 v[14:15], v[24:25], v[40:41]
	s_waitcnt lgkmcnt(1)
	v_pk_mul_f32 v[6:7], v[16:17], v[6:7]
	v_pk_mul_f32 v[12:13], v[26:27], v[42:43]
	s_waitcnt lgkmcnt(0)
	v_fmac_f32_e32 v2, v5, v4
	ds_bpermute_b32 v4, v100, v102 offset:8
	v_mul_f32_e32 v5, v20, v36
	v_pk_mul_f32 v[10:11], v[28:29], v[44:45]
	v_pk_mul_f32 v[8:9], v[30:31], v[46:47]
	s_waitcnt lgkmcnt(0)
	v_fmac_f32_e32 v2, v5, v4
	ds_bpermute_b32 v4, v100, v102 offset:12
	v_mul_f32_e32 v5, v21, v37
	s_waitcnt lgkmcnt(0)
	v_fmac_f32_e32 v2, v5, v4
	v_add_f32_e32 v2, v2, v6
	v_add_f32_e32 v2, v2, v7
	ds_bpermute_b32 v6, v100, v102 offset:24
	ds_bpermute_b32 v7, v100, v102 offset:28
	v_pk_mul_f32 v[4:5], v[32:33], v[48:49]
	s_waitcnt lgkmcnt(0)
	v_pk_mul_f32 v[6:7], v[14:15], v[6:7]
	s_nop 0
	v_add_f32_e32 v2, v2, v6
	v_add_f32_e32 v2, v2, v7
	ds_bpermute_b32 v6, v100, v102 offset:32
	ds_bpermute_b32 v7, v100, v102 offset:36
	s_waitcnt lgkmcnt(0)
	v_pk_mul_f32 v[6:7], v[12:13], v[6:7]
	s_nop 0
	v_add_f32_e32 v2, v2, v6
	v_add_f32_e32 v2, v2, v7
	ds_bpermute_b32 v6, v100, v102 offset:40
	ds_bpermute_b32 v7, v100, v102 offset:44
	;; [unrolled: 7-line block ×4, first 2 shown]
	s_waitcnt lgkmcnt(0)
	v_pk_mul_f32 v[4:5], v[4:5], v[6:7]
	s_nop 0
	v_add_f32_e32 v2, v2, v4
	v_add_f32_e32 v2, v2, v5
	s_branch .LBB174_130
.LBB174_124:                            ;   in Loop: Header=BB174_86 Depth=1
                                        ; implicit-def: $vgpr2
	s_cbranch_execz .LBB174_130
; %bb.125:                              ;   in Loop: Header=BB174_86 Depth=1
	s_load_dword s5, s[20:21], 0x0
	scratch_load_dword v5, off, off offset:208 ; 4-byte Folded Reload
	v_mov_b32_e32 v4, v103
	v_and_b32_e32 v4, 0x3ff, v4
	v_mov_b32_e32 v6, 0
	s_waitcnt lgkmcnt(0)
	s_cmp_lt_u32 s2, s5
	s_cselect_b32 s5, 12, 18
	s_add_u32 s6, s20, s5
	s_addc_u32 s7, s21, 0
	global_load_ushort v2, v3, s[6:7]
	s_waitcnt vmcnt(0)
	v_mad_u32_u24 v2, v5, v2, v4
	v_and_b32_e32 v2, 63, v2
	v_cmp_gt_u32_e32 vcc, 16, v2
	s_and_saveexec_b64 s[6:7], vcc
	s_cbranch_execz .LBB174_129
; %bb.126:                              ;   in Loop: Header=BB174_86 Depth=1
	v_lshl_add_u64 v[4:5], v[98:99], 0, v[2:3]
	v_lshl_add_u64 v[4:5], v[4:5], 0, s[28:29]
	v_cmp_gt_i64_e32 vcc, s[24:25], v[4:5]
	v_mov_b32_e32 v6, 0
	s_and_saveexec_b64 s[8:9], vcc
	s_cbranch_execz .LBB174_128
; %bb.127:                              ;   in Loop: Header=BB174_86 Depth=1
	v_lshl_add_u64 v[4:5], v[4:5], 2, s[34:35]
	global_load_dword v6, v[4:5], off
.LBB174_128:                            ;   in Loop: Header=BB174_86 Depth=1
	s_or_b64 exec, exec, s[8:9]
.LBB174_129:                            ;   in Loop: Header=BB174_86 Depth=1
	s_or_b64 exec, exec, s[6:7]
	v_lshl_add_u64 v[4:5], v[114:115], 0, v[50:51]
	global_load_ushort v2, v[4:5], off
	v_lshl_add_u64 v[4:5], v[116:117], 0, v[50:51]
	scratch_load_dwordx2 v[8:9], off, off offset:184 ; 8-byte Folded Reload
	scratch_load_dwordx2 v[36:37], off, off offset:192 ; 8-byte Folded Reload
	s_waitcnt vmcnt(2)
	v_cvt_f32_f16_e32 v33, v2
	global_load_ushort v2, v[4:5], off
	s_waitcnt vmcnt(2)
	v_lshl_add_u64 v[8:9], v[8:9], 0, v[50:51]
	scratch_load_dwordx2 v[4:5], off, off   ; 8-byte Folded Reload
	s_waitcnt vmcnt(2)
	v_lshl_add_u64 v[36:37], v[36:37], 0, v[50:51]
	s_waitcnt vmcnt(1)
	v_cvt_f32_f16_e32 v35, v2
	s_waitcnt vmcnt(0)
	v_lshl_add_u64 v[4:5], v[4:5], 0, v[50:51]
	global_load_ushort v2, v[4:5], off
	v_mul_f32_e32 v33, v33, v35
	scratch_load_dwordx2 v[4:5], off, off offset:40 ; 8-byte Folded Reload
	s_waitcnt vmcnt(1)
	v_cvt_f32_f16_e32 v31, v2
	s_waitcnt vmcnt(0)
	v_lshl_add_u64 v[4:5], v[4:5], 0, v[50:51]
	global_load_ushort v2, v[4:5], off
	s_waitcnt vmcnt(0)
	v_cvt_f32_f16_e32 v34, v2
	scratch_load_dwordx2 v[4:5], off, off offset:8 ; 8-byte Folded Reload
	v_mul_f32_e32 v31, v31, v34
	s_waitcnt vmcnt(0)
	v_lshl_add_u64 v[4:5], v[4:5], 0, v[50:51]
	global_load_ushort v2, v[4:5], off
	s_waitcnt vmcnt(0)
	v_cvt_f32_f16_e32 v29, v2
	scratch_load_dwordx2 v[4:5], off, off offset:56 ; 8-byte Folded Reload
	s_waitcnt vmcnt(0)
	v_lshl_add_u64 v[4:5], v[4:5], 0, v[50:51]
	global_load_ushort v2, v[4:5], off
	s_waitcnt vmcnt(0)
	v_cvt_f32_f16_e32 v32, v2
	scratch_load_dwordx2 v[4:5], off, off offset:16 ; 8-byte Folded Reload
	v_mul_f32_e32 v29, v29, v32
	s_waitcnt vmcnt(0)
	v_lshl_add_u64 v[4:5], v[4:5], 0, v[50:51]
	global_load_ushort v2, v[4:5], off
	s_waitcnt vmcnt(0)
	v_cvt_f32_f16_e32 v27, v2
	scratch_load_dwordx2 v[4:5], off, off offset:64 ; 8-byte Folded Reload
	;; [unrolled: 13-line block ×10, first 2 shown]
	s_waitcnt vmcnt(0)
	v_lshl_add_u64 v[4:5], v[4:5], 0, v[50:51]
	global_load_ushort v2, v[4:5], off
	s_waitcnt vmcnt(0)
	v_cvt_f32_f16_e32 v14, v2
	scratch_load_dwordx2 v[4:5], off, off offset:176 ; 8-byte Folded Reload
	v_mul_f32_e32 v10, v10, v14
	s_waitcnt vmcnt(0)
	v_lshl_add_u64 v[4:5], v[4:5], 0, v[50:51]
	global_load_ushort v2, v[4:5], off
	s_waitcnt vmcnt(0)
	v_cvt_f32_f16_e32 v4, v2
	global_load_ushort v2, v[8:9], off
	s_waitcnt vmcnt(0)
	v_cvt_f32_f16_e32 v9, v2
	global_load_ushort v2, v[36:37], off
	v_mul_f32_e32 v4, v4, v9
	scratch_load_dwordx2 v[36:37], off, off offset:200 ; 8-byte Folded Reload
	s_waitcnt vmcnt(1)
	v_cvt_f32_f16_e32 v8, v2
	s_waitcnt vmcnt(0)
	v_lshl_add_u64 v[36:37], v[36:37], 0, v[50:51]
	global_load_ushort v2, v[36:37], off
	v_lshl_add_u64 v[36:37], v[104:105], 0, v[50:51]
	s_waitcnt vmcnt(0)
	v_cvt_f32_f16_e32 v12, v2
	global_load_ushort v2, v[36:37], off
	v_lshl_add_u64 v[36:37], v[106:107], 0, v[50:51]
	v_mul_f32_e32 v8, v8, v12
	s_waitcnt vmcnt(0)
	v_cvt_f32_f16_e32 v7, v2
	global_load_ushort v2, v[36:37], off
	v_lshl_add_u64 v[36:37], v[108:109], 0, v[50:51]
	s_waitcnt vmcnt(0)
	v_cvt_f32_f16_e32 v11, v2
	global_load_ushort v2, v[36:37], off
	v_lshl_add_u64 v[36:37], v[110:111], 0, v[50:51]
	global_load_ushort v5, v[36:37], off
	ds_bpermute_b32 v36, v100, v6
	v_mul_f32_e32 v7, v7, v11
	s_waitcnt lgkmcnt(0)
	v_fmac_f32_e32 v101, v33, v36
	ds_bpermute_b32 v33, v100, v6 offset:4
	s_waitcnt lgkmcnt(0)
	v_fmac_f32_e32 v101, v31, v33
	ds_bpermute_b32 v31, v100, v6 offset:8
	;; [unrolled: 3-line block ×13, first 2 shown]
	s_waitcnt vmcnt(1)
	v_cvt_f32_f16_e32 v2, v2
	s_waitcnt vmcnt(0)
	v_cvt_f32_f16_e32 v5, v5
	s_waitcnt lgkmcnt(0)
	v_fmac_f32_e32 v101, v8, v4
	ds_bpermute_b32 v4, v100, v6 offset:56
	v_mul_f32_e32 v2, v2, v5
	s_waitcnt lgkmcnt(0)
	v_fmac_f32_e32 v101, v7, v4
	ds_bpermute_b32 v4, v100, v6 offset:60
	s_waitcnt lgkmcnt(0)
	v_fmac_f32_e32 v101, v2, v4
	v_mov_b32_e32 v2, v101
.LBB174_130:                            ;   in Loop: Header=BB174_86 Depth=1
	s_add_u32 s36, s36, s3
	s_addc_u32 s37, s37, 0
	v_mov_b64_e32 v[4:5], s[24:25]
	v_cmp_ge_i64_e32 vcc, s[36:37], v[4:5]
	scratch_load_dwordx2 v[4:5], off, off   ; 8-byte Folded Reload
	s_add_u32 s22, s22, s3
	s_addc_u32 s23, s23, 0
	v_lshl_add_u64 v[104:105], v[104:105], 0, s[38:39]
	v_lshl_add_u64 v[108:109], v[108:109], 0, s[38:39]
	;; [unrolled: 1-line block ×36, first 2 shown]
	s_and_b64 vcc, exec, vcc
	s_waitcnt vmcnt(0)
	v_lshl_add_u64 v[4:5], v[4:5], 0, s[38:39]
	scratch_store_dwordx2 off, v[4:5], off  ; 8-byte Folded Spill
	scratch_load_dwordx2 v[4:5], off, off offset:8 ; 8-byte Folded Reload
	s_waitcnt vmcnt(0)
	v_lshl_add_u64 v[4:5], v[4:5], 0, s[38:39]
	scratch_store_dwordx2 off, v[4:5], off offset:8 ; 8-byte Folded Spill
	scratch_load_dwordx2 v[4:5], off, off offset:16 ; 8-byte Folded Reload
	s_waitcnt vmcnt(0)
	v_lshl_add_u64 v[4:5], v[4:5], 0, s[38:39]
	scratch_store_dwordx2 off, v[4:5], off offset:16 ; 8-byte Folded Spill
	;; [unrolled: 4-line block ×25, first 2 shown]
	s_cbranch_vccnz .LBB174_132
; %bb.131:                              ;   in Loop: Header=BB174_86 Depth=1
	v_mov_b32_e32 v101, v2
	s_branch .LBB174_86
.LBB174_132:
	v_bfe_u32 v0, v103, 10, 10
	v_and_b32_e32 v4, 0x3ff, v103
	s_movk_i32 s3, 0x41
	v_mad_u32_u24 v1, v0, s3, v4
	v_lshl_add_u32 v1, v1, 2, 0
	ds_write_b32 v1, v2
	v_mov_b32_e32 v3, 0
	v_lshrrev_b32_e32 v2, 6, v4
	ds_write_b32 v1, v3 offset:4160
	v_add_u32_e32 v1, v2, v0
	s_mov_b32 s3, 0
	v_cmp_gt_u32_e32 vcc, 64, v1
	s_waitcnt lgkmcnt(0)
	s_barrier
	s_and_saveexec_b64 s[4:5], vcc
	s_cbranch_execz .LBB174_139
; %bb.133:
	v_mbcnt_lo_u32_b32 v6, -1, 0
	v_mbcnt_hi_u32_b32 v7, -1, v6
	v_and_b32_e32 v6, 64, v7
	s_load_dwordx2 s[10:11], s[0:1], 0x30
	v_and_b32_e32 v5, 63, v4
	v_add_u32_e32 v8, 64, v6
	v_cmp_ne_u32_e64 s[0:1], 0, v4
	v_xor_b32_e32 v4, 8, v7
	v_cmp_gt_u32_e32 vcc, 16, v5
	s_lshl_b64 s[4:5], s[2:3], 6
	v_mul_u32_u24_e32 v9, 0x104, v5
	v_cmp_lt_i32_e64 s[2:3], v4, v8
	v_xor_b32_e32 v5, 4, v7
	v_xor_b32_e32 v6, 2, v7
	v_cndmask_b32_e64 v4, v7, v4, s[2:3]
	v_cmp_lt_i32_e64 s[2:3], v5, v8
	v_xor_b32_e32 v10, 1, v7
	v_lshlrev_b32_e32 v1, 2, v1
	v_cndmask_b32_e64 v5, v7, v5, s[2:3]
	v_cmp_lt_i32_e64 s[2:3], v6, v8
	s_waitcnt lgkmcnt(0)
	s_cmp_eq_u64 s[10:11], 0
	s_mov_b64 s[6:7], 0
	v_cndmask_b32_e64 v6, v7, v6, s[2:3]
	v_cmp_lt_i32_e64 s[2:3], v10, v8
	v_add3_u32 v8, v9, v1, 0
	v_mov_b32_e32 v1, v3
	v_lshl_add_u64 v[0:1], v[2:3], 0, v[0:1]
	v_cndmask_b32_e64 v7, v7, v10, s[2:3]
	v_lshl_add_u64 v[2:3], v[0:1], 0, s[4:5]
	s_cselect_b64 s[8:9], -1, 0
	v_lshlrev_b32_e32 v4, 2, v4
	v_lshlrev_b32_e32 v5, 2, v5
	;; [unrolled: 1-line block ×4, first 2 shown]
	v_lshl_add_u64 v[2:3], v[2:3], 1, s[10:11]
                                        ; implicit-def: $vgpr9
	s_branch .LBB174_135
.LBB174_134:                            ;   in Loop: Header=BB174_135 Depth=1
	s_or_b64 exec, exec, s[2:3]
	v_lshl_add_u64 v[0:1], v[0:1], 0, 16
	v_add_u32_e32 v10, -16, v0
	v_cmp_lt_u32_e64 s[2:3], 47, v10
	v_add_u32_e32 v8, 64, v8
	s_or_b64 s[6:7], s[2:3], s[6:7]
	v_lshl_add_u64 v[2:3], v[2:3], 0, 32
	s_andn2_b64 exec, exec, s[6:7]
	s_cbranch_execz .LBB174_139
.LBB174_135:                            ; =>This Inner Loop Header: Depth=1
	s_and_saveexec_b64 s[2:3], vcc
	s_cbranch_execz .LBB174_137
; %bb.136:                              ;   in Loop: Header=BB174_135 Depth=1
	ds_read_b32 v9, v8
.LBB174_137:                            ;   in Loop: Header=BB174_135 Depth=1
	s_or_b64 exec, exec, s[2:3]
	s_waitcnt lgkmcnt(0)
	ds_bpermute_b32 v10, v4, v9
	s_waitcnt lgkmcnt(0)
	v_add_f32_e32 v9, v9, v10
	ds_bpermute_b32 v10, v5, v9
	s_waitcnt lgkmcnt(0)
	v_add_f32_e32 v9, v9, v10
	;; [unrolled: 3-line block ×3, first 2 shown]
	ds_bpermute_b32 v12, v7, v9
	v_lshl_add_u64 v[10:11], s[4:5], 0, v[0:1]
	v_cmp_le_i64_e64 s[2:3], s[26:27], v[10:11]
	s_or_b64 s[2:3], s[0:1], s[2:3]
	s_or_b64 s[2:3], s[8:9], s[2:3]
	s_waitcnt lgkmcnt(0)
	v_add_f32_e32 v9, v9, v12
	s_xor_b64 s[10:11], s[2:3], -1
	s_and_saveexec_b64 s[2:3], s[10:11]
	s_cbranch_execz .LBB174_134
; %bb.138:                              ;   in Loop: Header=BB174_135 Depth=1
	v_cvt_f16_f32_e32 v10, v9
	global_store_short v[2:3], v10, off
	s_branch .LBB174_134
.LBB174_139:
	s_endpgm
	.section	.rodata,"a",@progbits
	.p2align	6, 0x0
	.amdhsa_kernel _ZN2at6native12_GLOBAL__N_135GammaBetaBackwardCUDAKernelTemplateIN3c104HalfEfLj64ELj16ELj256ELb0ELb0ELb1EEEvllPKT_S7_PKT0_SA_PS5_SB_
		.amdhsa_group_segment_fixed_size 0
		.amdhsa_private_segment_fixed_size 224
		.amdhsa_kernarg_size 320
		.amdhsa_user_sgpr_count 2
		.amdhsa_user_sgpr_dispatch_ptr 0
		.amdhsa_user_sgpr_queue_ptr 0
		.amdhsa_user_sgpr_kernarg_segment_ptr 1
		.amdhsa_user_sgpr_dispatch_id 0
		.amdhsa_user_sgpr_kernarg_preload_length 0
		.amdhsa_user_sgpr_kernarg_preload_offset 0
		.amdhsa_user_sgpr_private_segment_size 0
		.amdhsa_uses_dynamic_stack 0
		.amdhsa_enable_private_segment 1
		.amdhsa_system_sgpr_workgroup_id_x 1
		.amdhsa_system_sgpr_workgroup_id_y 1
		.amdhsa_system_sgpr_workgroup_id_z 0
		.amdhsa_system_sgpr_workgroup_info 0
		.amdhsa_system_vgpr_workitem_id 1
		.amdhsa_next_free_vgpr 128
		.amdhsa_next_free_sgpr 80
		.amdhsa_accum_offset 128
		.amdhsa_reserve_vcc 1
		.amdhsa_float_round_mode_32 0
		.amdhsa_float_round_mode_16_64 0
		.amdhsa_float_denorm_mode_32 3
		.amdhsa_float_denorm_mode_16_64 3
		.amdhsa_dx10_clamp 1
		.amdhsa_ieee_mode 1
		.amdhsa_fp16_overflow 0
		.amdhsa_tg_split 0
		.amdhsa_exception_fp_ieee_invalid_op 0
		.amdhsa_exception_fp_denorm_src 0
		.amdhsa_exception_fp_ieee_div_zero 0
		.amdhsa_exception_fp_ieee_overflow 0
		.amdhsa_exception_fp_ieee_underflow 0
		.amdhsa_exception_fp_ieee_inexact 0
		.amdhsa_exception_int_div_zero 0
	.end_amdhsa_kernel
	.section	.text._ZN2at6native12_GLOBAL__N_135GammaBetaBackwardCUDAKernelTemplateIN3c104HalfEfLj64ELj16ELj256ELb0ELb0ELb1EEEvllPKT_S7_PKT0_SA_PS5_SB_,"axG",@progbits,_ZN2at6native12_GLOBAL__N_135GammaBetaBackwardCUDAKernelTemplateIN3c104HalfEfLj64ELj16ELj256ELb0ELb0ELb1EEEvllPKT_S7_PKT0_SA_PS5_SB_,comdat
.Lfunc_end174:
	.size	_ZN2at6native12_GLOBAL__N_135GammaBetaBackwardCUDAKernelTemplateIN3c104HalfEfLj64ELj16ELj256ELb0ELb0ELb1EEEvllPKT_S7_PKT0_SA_PS5_SB_, .Lfunc_end174-_ZN2at6native12_GLOBAL__N_135GammaBetaBackwardCUDAKernelTemplateIN3c104HalfEfLj64ELj16ELj256ELb0ELb0ELb1EEEvllPKT_S7_PKT0_SA_PS5_SB_
                                        ; -- End function
	.section	.AMDGPU.csdata,"",@progbits
; Kernel info:
; codeLenInByte = 13068
; NumSgprs: 86
; NumVgprs: 128
; NumAgprs: 0
; TotalNumVgprs: 128
; ScratchSize: 224
; MemoryBound: 0
; FloatMode: 240
; IeeeMode: 1
; LDSByteSize: 0 bytes/workgroup (compile time only)
; SGPRBlocks: 10
; VGPRBlocks: 15
; NumSGPRsForWavesPerEU: 86
; NumVGPRsForWavesPerEU: 128
; AccumOffset: 128
; Occupancy: 4
; WaveLimiterHint : 0
; COMPUTE_PGM_RSRC2:SCRATCH_EN: 1
; COMPUTE_PGM_RSRC2:USER_SGPR: 2
; COMPUTE_PGM_RSRC2:TRAP_HANDLER: 0
; COMPUTE_PGM_RSRC2:TGID_X_EN: 1
; COMPUTE_PGM_RSRC2:TGID_Y_EN: 1
; COMPUTE_PGM_RSRC2:TGID_Z_EN: 0
; COMPUTE_PGM_RSRC2:TIDIG_COMP_CNT: 1
; COMPUTE_PGM_RSRC3_GFX90A:ACCUM_OFFSET: 31
; COMPUTE_PGM_RSRC3_GFX90A:TG_SPLIT: 0
	.section	.text._ZN2at6native12_GLOBAL__N_135GammaBetaBackwardCUDAKernelTemplateIN3c104HalfEfLj32ELj1ELj32ELb1ELb1ELb1EEEvllPKT_S7_PKT0_SA_PS5_SB_,"axG",@progbits,_ZN2at6native12_GLOBAL__N_135GammaBetaBackwardCUDAKernelTemplateIN3c104HalfEfLj32ELj1ELj32ELb1ELb1ELb1EEEvllPKT_S7_PKT0_SA_PS5_SB_,comdat
	.globl	_ZN2at6native12_GLOBAL__N_135GammaBetaBackwardCUDAKernelTemplateIN3c104HalfEfLj32ELj1ELj32ELb1ELb1ELb1EEEvllPKT_S7_PKT0_SA_PS5_SB_ ; -- Begin function _ZN2at6native12_GLOBAL__N_135GammaBetaBackwardCUDAKernelTemplateIN3c104HalfEfLj32ELj1ELj32ELb1ELb1ELb1EEEvllPKT_S7_PKT0_SA_PS5_SB_
	.p2align	8
	.type	_ZN2at6native12_GLOBAL__N_135GammaBetaBackwardCUDAKernelTemplateIN3c104HalfEfLj32ELj1ELj32ELb1ELb1ELb1EEEvllPKT_S7_PKT0_SA_PS5_SB_,@function
_ZN2at6native12_GLOBAL__N_135GammaBetaBackwardCUDAKernelTemplateIN3c104HalfEfLj32ELj1ELj32ELb1ELb1ELb1EEEvllPKT_S7_PKT0_SA_PS5_SB_: ; @_ZN2at6native12_GLOBAL__N_135GammaBetaBackwardCUDAKernelTemplateIN3c104HalfEfLj32ELj1ELj32ELb1ELb1ELb1EEEvllPKT_S7_PKT0_SA_PS5_SB_
; %bb.0:
	s_load_dwordx4 s[8:11], s[0:1], 0x0
	s_load_dwordx2 s[16:17], s[0:1], 0x30
	s_lshl_b32 s18, s3, 5
	s_mov_b32 s19, 0
	s_mov_b32 s6, s3
	s_waitcnt lgkmcnt(0)
	v_mov_b64_e32 v[2:3], s[8:9]
	v_cmp_ge_i64_e32 vcc, s[18:19], v[2:3]
	v_mov_b32_e32 v1, 0
	v_bfe_u32 v2, v0, 10, 10
	s_cbranch_vccnz .LBB175_8
; %bb.1:
	s_load_dword s3, s[0:1], 0x4c
	s_load_dword s7, s[0:1], 0x44
	s_load_dwordx4 s[12:15], s[0:1], 0x10
	s_load_dwordx2 s[22:23], s[0:1], 0x28
	v_and_b32_e32 v1, 0x3ff, v0
	s_waitcnt lgkmcnt(0)
	s_and_b32 s3, s3, 0xffff
	v_mad_u32_u24 v3, v2, s3, v1
	v_lshlrev_b32_e32 v4, 5, v2
	v_mov_b32_e32 v5, 0
	v_lshl_or_b32 v10, s2, 5, v1
	v_mbcnt_lo_u32_b32 v1, -1, 0
	v_and_b32_e32 v6, 63, v3
	v_mov_b32_e32 v7, v5
	v_mbcnt_hi_u32_b32 v1, -1, v1
	s_lshl_b32 s20, s7, 5
	v_lshl_add_u64 v[12:13], v[4:5], 0, s[18:19]
	v_cmp_gt_u32_e64 s[4:5], 32, v6
	v_mov_b32_e32 v11, v5
	v_lshlrev_b32_e32 v1, 2, v1
	v_lshl_add_u64 v[6:7], v[12:13], 0, v[6:7]
	v_mul_lo_u32 v4, s11, v12
	v_mul_lo_u32 v44, s10, v13
	v_mad_u64_u32 v[12:13], s[24:25], s10, v12, 0
	s_mul_i32 s3, s11, s20
	s_mul_hi_u32 s7, s10, s20
	v_and_b32_e32 v1, 0x100, v1
	s_mov_b32 s21, s19
	v_add3_u32 v13, v13, v44, v4
	v_lshlrev_b64 v[10:11], 1, v[10:11]
	s_add_i32 s25, s7, s3
	s_mul_i32 s24, s10, s20
	v_or_b32_e32 v3, 4, v1
	v_or_b32_e32 v14, 8, v1
	;; [unrolled: 1-line block ×31, first 2 shown]
	v_lshl_add_u64 v[8:9], v[6:7], 2, s[22:23]
	s_lshl_b64 s[22:23], s[20:21], 2
	v_lshl_add_u64 v[10:11], v[12:13], 1, v[10:11]
	s_lshl_b64 s[24:25], s[24:25], 1
	s_lshl_b64 s[26:27], s[10:11], 1
	v_mov_b64_e32 v[12:13], s[8:9]
	s_branch .LBB175_4
.LBB175_2:                              ;   in Loop: Header=BB175_4 Depth=1
	s_or_b64 exec, exec, s[30:31]
.LBB175_3:                              ;   in Loop: Header=BB175_4 Depth=1
	s_or_b64 exec, exec, s[28:29]
	v_lshl_add_u64 v[44:45], s[12:13], 0, v[10:11]
	v_lshl_add_u64 v[46:47], s[14:15], 0, v[10:11]
	global_load_ushort v48, v[44:45], off
	global_load_ushort v49, v[46:47], off
	v_lshl_add_u64 v[44:45], v[44:45], 0, s[26:27]
	v_lshl_add_u64 v[46:47], v[46:47], 0, s[26:27]
	global_load_ushort v50, v[44:45], off
	global_load_ushort v51, v[46:47], off
	v_lshl_add_u64 v[44:45], v[44:45], 0, s[26:27]
	v_lshl_add_u64 v[46:47], v[46:47], 0, s[26:27]
	global_load_ushort v52, v[44:45], off
	global_load_ushort v53, v[46:47], off
	v_lshl_add_u64 v[44:45], v[44:45], 0, s[26:27]
	v_lshl_add_u64 v[46:47], v[46:47], 0, s[26:27]
	global_load_ushort v54, v[44:45], off
	global_load_ushort v55, v[46:47], off
	v_lshl_add_u64 v[44:45], v[44:45], 0, s[26:27]
	v_lshl_add_u64 v[46:47], v[46:47], 0, s[26:27]
	global_load_ushort v56, v[44:45], off
	global_load_ushort v57, v[46:47], off
	v_lshl_add_u64 v[44:45], v[44:45], 0, s[26:27]
	v_lshl_add_u64 v[46:47], v[46:47], 0, s[26:27]
	global_load_ushort v58, v[44:45], off
	global_load_ushort v59, v[46:47], off
	s_waitcnt vmcnt(12)
	ds_bpermute_b32 v60, v1, v4
	v_lshl_add_u64 v[44:45], v[44:45], 0, s[26:27]
	v_lshl_add_u64 v[46:47], v[46:47], 0, s[26:27]
	s_add_u32 s18, s18, s20
	s_addc_u32 s19, s19, 0
	v_cmp_lt_i64_e32 vcc, s[18:19], v[12:13]
	v_lshl_add_u64 v[8:9], v[8:9], 0, s[22:23]
	v_lshl_add_u64 v[6:7], v[6:7], 0, s[20:21]
	v_lshl_add_u64 v[10:11], v[10:11], 0, s[24:25]
	s_and_b64 vcc, exec, vcc
	s_waitcnt vmcnt(11)
	v_cvt_f32_f16_e32 v48, v48
	s_waitcnt vmcnt(10)
	v_cvt_f32_f16_e32 v49, v49
	;; [unrolled: 2-line block ×4, first 2 shown]
	v_mul_f32_e32 v48, v48, v49
	ds_bpermute_b32 v49, v3, v4
	s_waitcnt lgkmcnt(1)
	v_fmac_f32_e32 v5, v48, v60
	v_mul_f32_e32 v50, v50, v51
	ds_bpermute_b32 v48, v14, v4
	ds_bpermute_b32 v60, v15, v4
	s_waitcnt lgkmcnt(2)
	v_fmac_f32_e32 v5, v50, v49
	s_waitcnt vmcnt(7)
	v_cvt_f32_f16_e32 v50, v52
	s_waitcnt vmcnt(6)
	v_cvt_f32_f16_e32 v52, v53
	ds_bpermute_b32 v51, v16, v4
	s_waitcnt vmcnt(3)
	v_cvt_f32_f16_e32 v56, v56
	s_waitcnt vmcnt(2)
	v_cvt_f32_f16_e32 v57, v57
	v_mul_f32_e32 v50, v50, v52
	s_waitcnt lgkmcnt(2)
	v_fmac_f32_e32 v5, v50, v48
	v_cvt_f32_f16_e32 v50, v54
	v_cvt_f32_f16_e32 v54, v55
	global_load_ushort v53, v[44:45], off
	v_lshl_add_u64 v[44:45], v[44:45], 0, s[26:27]
	v_mul_f32_e32 v56, v56, v57
	v_mul_f32_e32 v50, v50, v54
	s_waitcnt lgkmcnt(1)
	v_fmac_f32_e32 v5, v50, v60
	global_load_ushort v52, v[46:47], off
	v_lshl_add_u64 v[46:47], v[46:47], 0, s[26:27]
	global_load_ushort v48, v[44:45], off
	v_lshl_add_u64 v[44:45], v[44:45], 0, s[26:27]
	s_waitcnt lgkmcnt(0)
	v_fmac_f32_e32 v5, v56, v51
	s_waitcnt vmcnt(4)
	v_cvt_f32_f16_e32 v56, v58
	s_waitcnt vmcnt(3)
	v_cvt_f32_f16_e32 v58, v59
	global_load_ushort v55, v[46:47], off
	v_lshl_add_u64 v[46:47], v[46:47], 0, s[26:27]
	global_load_ushort v54, v[44:45], off
	v_lshl_add_u64 v[44:45], v[44:45], 0, s[26:27]
	;; [unrolled: 2-line block ×4, first 2 shown]
	global_load_ushort v57, v[46:47], off
	global_load_ushort v51, v[44:45], off
	v_lshl_add_u64 v[44:45], v[44:45], 0, s[26:27]
	v_mul_f32_e32 v56, v56, v58
	global_load_ushort v58, v[44:45], off
	v_lshl_add_u64 v[46:47], v[46:47], 0, s[26:27]
	global_load_ushort v59, v[46:47], off
	ds_bpermute_b32 v49, v17, v4
	v_lshl_add_u64 v[46:47], v[46:47], 0, s[26:27]
	v_lshl_add_u64 v[44:45], v[44:45], 0, s[26:27]
	s_waitcnt lgkmcnt(0)
	v_fmac_f32_e32 v5, v56, v49
	global_load_ushort v49, v[46:47], off
	ds_bpermute_b32 v56, v18, v4
	v_lshl_add_u64 v[46:47], v[46:47], 0, s[26:27]
	s_waitcnt vmcnt(11)
	v_cvt_f32_f16_e32 v53, v53
	s_waitcnt vmcnt(10)
	v_cvt_f32_f16_e32 v52, v52
	;; [unrolled: 2-line block ×3, first 2 shown]
	v_mul_f32_e32 v52, v53, v52
	s_waitcnt lgkmcnt(0)
	v_fmac_f32_e32 v5, v52, v56
	global_load_ushort v52, v[46:47], off
	s_waitcnt vmcnt(9)
	v_cvt_f32_f16_e32 v55, v55
	ds_bpermute_b32 v56, v19, v4
	s_waitcnt vmcnt(8)
	v_cvt_f32_f16_e32 v54, v54
	v_lshl_add_u64 v[46:47], v[46:47], 0, s[26:27]
	s_waitcnt vmcnt(7)
	v_cvt_f32_f16_e32 v50, v50
	v_mul_f32_e32 v48, v48, v55
	s_waitcnt vmcnt(6)
	v_cvt_f32_f16_e32 v60, v60
	s_waitcnt lgkmcnt(0)
	v_fmac_f32_e32 v5, v48, v56
	s_waitcnt vmcnt(5)
	v_cvt_f32_f16_e32 v57, v57
	v_mul_f32_e32 v50, v54, v50
	global_load_ushort v48, v[46:47], off
	ds_bpermute_b32 v56, v20, v4
	s_waitcnt vmcnt(4)
	v_cvt_f32_f16_e32 v53, v58
	global_load_ushort v58, v[44:45], off
	v_lshl_add_u64 v[44:45], v[44:45], 0, s[26:27]
	global_load_ushort v55, v[44:45], off
	v_lshl_add_u64 v[44:45], v[44:45], 0, s[26:27]
	;; [unrolled: 2-line block ×3, first 2 shown]
	v_mul_f32_e32 v57, v60, v57
	global_load_ushort v60, v[44:45], off
	v_lshl_add_u64 v[46:47], v[46:47], 0, s[26:27]
	s_waitcnt lgkmcnt(0)
	v_fmac_f32_e32 v5, v50, v56
	global_load_ushort v50, v[46:47], off
	ds_bpermute_b32 v56, v21, v4
	v_lshl_add_u64 v[46:47], v[46:47], 0, s[26:27]
	v_cvt_f32_f16_e32 v51, v51
	s_waitcnt vmcnt(8)
	v_cvt_f32_f16_e32 v59, v59
	v_lshl_add_u64 v[44:45], v[44:45], 0, s[26:27]
	s_waitcnt lgkmcnt(0)
	v_fmac_f32_e32 v5, v57, v56
	global_load_ushort v56, v[46:47], off
	ds_bpermute_b32 v57, v22, v4
	v_mul_f32_e32 v51, v51, v59
	v_lshl_add_u64 v[46:47], v[46:47], 0, s[26:27]
	global_load_ushort v59, v[44:45], off
	s_waitcnt vmcnt(9)
	v_cvt_f32_f16_e32 v49, v49
	s_waitcnt lgkmcnt(0)
	v_fmac_f32_e32 v5, v51, v57
	global_load_ushort v51, v[46:47], off
	ds_bpermute_b32 v57, v23, v4
	v_lshl_add_u64 v[44:45], v[44:45], 0, s[26:27]
	v_mul_f32_e32 v49, v53, v49
	v_lshl_add_u64 v[46:47], v[46:47], 0, s[26:27]
	global_load_ushort v53, v[44:45], off
	s_waitcnt lgkmcnt(0)
	v_fmac_f32_e32 v5, v49, v57
	global_load_ushort v49, v[46:47], off
	v_lshl_add_u64 v[44:45], v[44:45], 0, s[26:27]
	v_lshl_add_u64 v[46:47], v[46:47], 0, s[26:27]
	s_waitcnt vmcnt(11)
	v_cvt_f32_f16_e32 v52, v52
	s_waitcnt vmcnt(10)
	v_cvt_f32_f16_e32 v48, v48
	;; [unrolled: 2-line block ×4, first 2 shown]
	v_mul_f32_e32 v52, v57, v52
	global_load_ushort v57, v[44:45], off
	v_mul_f32_e32 v48, v55, v48
	s_waitcnt vmcnt(7)
	v_cvt_f32_f16_e32 v58, v60
	ds_bpermute_b32 v60, v24, v4
	v_cvt_f32_f16_e32 v54, v54
	s_waitcnt vmcnt(6)
	v_cvt_f32_f16_e32 v50, v50
	v_lshl_add_u64 v[44:45], v[44:45], 0, s[26:27]
	global_load_ushort v55, v[44:45], off
	s_waitcnt lgkmcnt(0)
	v_fmac_f32_e32 v5, v52, v60
	ds_bpermute_b32 v60, v25, v4
	global_load_ushort v52, v[46:47], off
	v_lshl_add_u64 v[46:47], v[46:47], 0, s[26:27]
	v_mul_f32_e32 v50, v54, v50
	s_waitcnt vmcnt(7)
	v_cvt_f32_f16_e32 v56, v56
	s_waitcnt lgkmcnt(0)
	v_fmac_f32_e32 v5, v48, v60
	ds_bpermute_b32 v60, v26, v4
	global_load_ushort v48, v[46:47], off
	v_lshl_add_u64 v[44:45], v[44:45], 0, s[26:27]
	v_lshl_add_u64 v[46:47], v[46:47], 0, s[26:27]
	global_load_ushort v54, v[44:45], off
	s_waitcnt lgkmcnt(0)
	v_fmac_f32_e32 v5, v50, v60
	ds_bpermute_b32 v60, v27, v4
	global_load_ushort v50, v[46:47], off
	v_mul_f32_e32 v56, v58, v56
	s_waitcnt vmcnt(9)
	v_cvt_f32_f16_e32 v59, v59
	s_waitcnt vmcnt(8)
	v_cvt_f32_f16_e32 v51, v51
	s_waitcnt lgkmcnt(0)
	v_fmac_f32_e32 v5, v56, v60
	ds_bpermute_b32 v60, v28, v4
	v_lshl_add_u64 v[44:45], v[44:45], 0, s[26:27]
	v_lshl_add_u64 v[46:47], v[46:47], 0, s[26:27]
	global_load_ushort v58, v[44:45], off
	global_load_ushort v56, v[46:47], off
	v_lshl_add_u64 v[44:45], v[44:45], 0, s[26:27]
	v_mul_f32_e32 v51, v59, v51
	v_lshl_add_u64 v[46:47], v[46:47], 0, s[26:27]
	global_load_ushort v59, v[44:45], off
	s_waitcnt lgkmcnt(0)
	v_fmac_f32_e32 v5, v51, v60
	global_load_ushort v51, v[46:47], off
	s_waitcnt vmcnt(11)
	v_cvt_f32_f16_e32 v53, v53
	s_waitcnt vmcnt(10)
	v_cvt_f32_f16_e32 v49, v49
	ds_bpermute_b32 v60, v29, v4
	v_lshl_add_u64 v[44:45], v[44:45], 0, s[26:27]
	v_lshl_add_u64 v[46:47], v[46:47], 0, s[26:27]
	v_mul_f32_e32 v49, v53, v49
	global_load_ushort v53, v[44:45], off
	s_waitcnt lgkmcnt(0)
	v_fmac_f32_e32 v5, v49, v60
	global_load_ushort v49, v[46:47], off
	ds_bpermute_b32 v60, v30, v4
	v_lshl_add_u64 v[44:45], v[44:45], 0, s[26:27]
	v_lshl_add_u64 v[46:47], v[46:47], 0, s[26:27]
	s_waitcnt vmcnt(11)
	v_cvt_f32_f16_e32 v57, v57
	s_waitcnt vmcnt(10)
	v_cvt_f32_f16_e32 v55, v55
	;; [unrolled: 2-line block ×3, first 2 shown]
	v_mul_f32_e32 v52, v57, v52
	s_waitcnt lgkmcnt(0)
	v_fmac_f32_e32 v5, v52, v60
	s_waitcnt vmcnt(8)
	v_cvt_f32_f16_e32 v48, v48
	ds_bpermute_b32 v60, v31, v4
	global_load_ushort v57, v[44:45], off
	s_waitcnt vmcnt(8)
	v_cvt_f32_f16_e32 v54, v54
	v_mul_f32_e32 v48, v55, v48
	v_lshl_add_u64 v[44:45], v[44:45], 0, s[26:27]
	s_waitcnt vmcnt(7)
	v_cvt_f32_f16_e32 v50, v50
	s_waitcnt lgkmcnt(0)
	v_fmac_f32_e32 v5, v48, v60
	ds_bpermute_b32 v60, v32, v4
	global_load_ushort v52, v[46:47], off
	v_mul_f32_e32 v50, v54, v50
	global_load_ushort v55, v[44:45], off
	v_lshl_add_u64 v[46:47], v[46:47], 0, s[26:27]
	s_waitcnt lgkmcnt(0)
	v_fmac_f32_e32 v5, v50, v60
	s_waitcnt vmcnt(8)
	v_cvt_f32_f16_e32 v58, v58
	s_waitcnt vmcnt(7)
	v_cvt_f32_f16_e32 v56, v56
	ds_bpermute_b32 v60, v33, v4
	v_lshl_add_u64 v[44:45], v[44:45], 0, s[26:27]
	global_load_ushort v48, v[46:47], off
	s_waitcnt vmcnt(7)
	v_cvt_f32_f16_e32 v59, v59
	global_load_ushort v54, v[44:45], off
	s_waitcnt vmcnt(7)
	v_cvt_f32_f16_e32 v51, v51
	v_lshl_add_u64 v[46:47], v[46:47], 0, s[26:27]
	v_lshl_add_u64 v[44:45], v[44:45], 0, s[26:27]
	global_load_ushort v50, v[46:47], off
	v_mul_f32_e32 v56, v58, v56
	global_load_ushort v58, v[44:45], off
	v_lshl_add_u64 v[46:47], v[46:47], 0, s[26:27]
	v_lshl_add_u64 v[44:45], v[44:45], 0, s[26:27]
	s_waitcnt lgkmcnt(0)
	v_fmac_f32_e32 v5, v56, v60
	global_load_ushort v56, v[46:47], off
	v_mul_f32_e32 v51, v59, v51
	global_load_ushort v59, v[44:45], off
	ds_bpermute_b32 v60, v34, v4
	s_waitcnt vmcnt(10)
	v_cvt_f32_f16_e32 v53, v53
	s_waitcnt vmcnt(9)
	v_cvt_f32_f16_e32 v49, v49
	v_lshl_add_u64 v[46:47], v[46:47], 0, s[26:27]
	v_lshl_add_u64 v[44:45], v[44:45], 0, s[26:27]
	s_waitcnt lgkmcnt(0)
	v_fmac_f32_e32 v5, v51, v60
	ds_bpermute_b32 v60, v35, v4
	global_load_ushort v51, v[46:47], off
	v_mul_f32_e32 v49, v53, v49
	global_load_ushort v53, v[44:45], off
	v_lshl_add_u64 v[46:47], v[46:47], 0, s[26:27]
	v_lshl_add_u64 v[44:45], v[44:45], 0, s[26:27]
	s_waitcnt lgkmcnt(0)
	v_fmac_f32_e32 v5, v49, v60
	global_load_ushort v49, v[46:47], off
	global_load_ushort v60, v[44:45], off
	v_lshl_add_u64 v[46:47], v[46:47], 0, s[26:27]
	v_lshl_add_u64 v[44:45], v[44:45], 0, s[26:27]
	global_load_ushort v61, v[44:45], off
	global_load_ushort v62, v[46:47], off
	v_lshl_add_u64 v[44:45], v[46:47], 0, s[26:27]
	global_load_ushort v44, v[44:45], off
	s_waitcnt vmcnt(15)
	v_cvt_f32_f16_e32 v45, v57
	s_waitcnt vmcnt(14)
	v_cvt_f32_f16_e32 v46, v52
	;; [unrolled: 2-line block ×3, first 2 shown]
	v_mul_f32_e32 v45, v45, v46
	ds_bpermute_b32 v46, v37, v4
	s_waitcnt vmcnt(12)
	v_cvt_f32_f16_e32 v48, v48
	s_waitcnt vmcnt(11)
	v_cvt_f32_f16_e32 v52, v54
	v_mul_f32_e32 v47, v47, v48
	s_waitcnt vmcnt(10)
	v_cvt_f32_f16_e32 v50, v50
	s_waitcnt vmcnt(9)
	v_cvt_f32_f16_e32 v54, v58
	;; [unrolled: 2-line block ×4, first 2 shown]
	ds_bpermute_b32 v59, v36, v4
	s_waitcnt lgkmcnt(0)
	v_fmac_f32_e32 v5, v45, v59
	ds_bpermute_b32 v45, v38, v4
	v_fmac_f32_e32 v5, v47, v46
	ds_bpermute_b32 v46, v39, v4
	v_mul_f32_e32 v47, v52, v50
	s_waitcnt vmcnt(6)
	v_cvt_f32_f16_e32 v51, v51
	s_waitcnt lgkmcnt(1)
	v_fmac_f32_e32 v5, v47, v45
	ds_bpermute_b32 v45, v40, v4
	v_mul_f32_e32 v47, v54, v55
	s_waitcnt vmcnt(5)
	v_cvt_f32_f16_e32 v53, v53
	s_waitcnt vmcnt(4)
	v_cvt_f32_f16_e32 v49, v49
	s_waitcnt lgkmcnt(1)
	v_fmac_f32_e32 v5, v47, v46
	v_mul_f32_e32 v46, v56, v51
	ds_bpermute_b32 v47, v41, v4
	s_waitcnt vmcnt(3)
	v_cvt_f32_f16_e32 v57, v60
	s_waitcnt vmcnt(1)
	v_cvt_f32_f16_e32 v58, v62
	s_waitcnt lgkmcnt(1)
	v_fmac_f32_e32 v5, v46, v45
	ds_bpermute_b32 v45, v42, v4
	v_cvt_f32_f16_e32 v60, v61
	s_waitcnt vmcnt(0)
	v_cvt_f32_f16_e32 v44, v44
	ds_bpermute_b32 v4, v43, v4
	v_mul_f32_e32 v46, v53, v49
	s_waitcnt lgkmcnt(2)
	v_fmac_f32_e32 v5, v46, v47
	v_mul_f32_e32 v46, v57, v58
	s_waitcnt lgkmcnt(1)
	v_fmac_f32_e32 v5, v46, v45
	;; [unrolled: 3-line block ×3, first 2 shown]
	s_cbranch_vccz .LBB175_7
.LBB175_4:                              ; =>This Inner Loop Header: Depth=1
	v_mov_b32_e32 v4, 0
	s_and_saveexec_b64 s[28:29], s[4:5]
	s_cbranch_execz .LBB175_3
; %bb.5:                                ;   in Loop: Header=BB175_4 Depth=1
	v_cmp_gt_i64_e32 vcc, s[8:9], v[6:7]
	v_mov_b32_e32 v4, 0
	s_and_saveexec_b64 s[30:31], vcc
	s_cbranch_execz .LBB175_2
; %bb.6:                                ;   in Loop: Header=BB175_4 Depth=1
	global_load_dword v4, v[8:9], off
	s_branch .LBB175_2
.LBB175_7:
	v_cvt_f16_f32_e32 v1, v5
.LBB175_8:
	s_cmp_eq_u64 s[16:17], 0
	s_cbranch_scc1 .LBB175_10
; %bb.9:
	s_load_dword s0, s[0:1], 0x4c
	v_mov_b32_e32 v3, 0
	v_mov_b32_e32 v4, s6
	s_mov_b32 s3, 0
	v_and_b32_e32 v0, 0x3ff, v0
	s_waitcnt lgkmcnt(0)
	s_lshr_b32 s0, s0, 16
	v_mad_u64_u32 v[4:5], s[0:1], s0, v4, v[2:3]
	v_mul_lo_u32 v2, v5, s10
	v_mul_lo_u32 v6, v4, s11
	v_mad_u64_u32 v[4:5], s[0:1], v4, s10, 0
	s_lshl_b64 s[0:1], s[2:3], 6
	s_add_u32 s0, s0, s16
	v_add3_u32 v5, v5, v6, v2
	s_addc_u32 s1, s1, s17
	v_lshl_add_u64 v[4:5], v[4:5], 1, s[0:1]
	v_lshlrev_b32_e32 v2, 1, v0
	v_lshl_add_u64 v[2:3], v[4:5], 0, v[2:3]
	global_store_short v[2:3], v1, off
.LBB175_10:
	s_endpgm
	.section	.rodata,"a",@progbits
	.p2align	6, 0x0
	.amdhsa_kernel _ZN2at6native12_GLOBAL__N_135GammaBetaBackwardCUDAKernelTemplateIN3c104HalfEfLj32ELj1ELj32ELb1ELb1ELb1EEEvllPKT_S7_PKT0_SA_PS5_SB_
		.amdhsa_group_segment_fixed_size 0
		.amdhsa_private_segment_fixed_size 0
		.amdhsa_kernarg_size 320
		.amdhsa_user_sgpr_count 2
		.amdhsa_user_sgpr_dispatch_ptr 0
		.amdhsa_user_sgpr_queue_ptr 0
		.amdhsa_user_sgpr_kernarg_segment_ptr 1
		.amdhsa_user_sgpr_dispatch_id 0
		.amdhsa_user_sgpr_kernarg_preload_length 0
		.amdhsa_user_sgpr_kernarg_preload_offset 0
		.amdhsa_user_sgpr_private_segment_size 0
		.amdhsa_uses_dynamic_stack 0
		.amdhsa_enable_private_segment 0
		.amdhsa_system_sgpr_workgroup_id_x 1
		.amdhsa_system_sgpr_workgroup_id_y 1
		.amdhsa_system_sgpr_workgroup_id_z 0
		.amdhsa_system_sgpr_workgroup_info 0
		.amdhsa_system_vgpr_workitem_id 1
		.amdhsa_next_free_vgpr 63
		.amdhsa_next_free_sgpr 32
		.amdhsa_accum_offset 64
		.amdhsa_reserve_vcc 1
		.amdhsa_float_round_mode_32 0
		.amdhsa_float_round_mode_16_64 0
		.amdhsa_float_denorm_mode_32 3
		.amdhsa_float_denorm_mode_16_64 3
		.amdhsa_dx10_clamp 1
		.amdhsa_ieee_mode 1
		.amdhsa_fp16_overflow 0
		.amdhsa_tg_split 0
		.amdhsa_exception_fp_ieee_invalid_op 0
		.amdhsa_exception_fp_denorm_src 0
		.amdhsa_exception_fp_ieee_div_zero 0
		.amdhsa_exception_fp_ieee_overflow 0
		.amdhsa_exception_fp_ieee_underflow 0
		.amdhsa_exception_fp_ieee_inexact 0
		.amdhsa_exception_int_div_zero 0
	.end_amdhsa_kernel
	.section	.text._ZN2at6native12_GLOBAL__N_135GammaBetaBackwardCUDAKernelTemplateIN3c104HalfEfLj32ELj1ELj32ELb1ELb1ELb1EEEvllPKT_S7_PKT0_SA_PS5_SB_,"axG",@progbits,_ZN2at6native12_GLOBAL__N_135GammaBetaBackwardCUDAKernelTemplateIN3c104HalfEfLj32ELj1ELj32ELb1ELb1ELb1EEEvllPKT_S7_PKT0_SA_PS5_SB_,comdat
.Lfunc_end175:
	.size	_ZN2at6native12_GLOBAL__N_135GammaBetaBackwardCUDAKernelTemplateIN3c104HalfEfLj32ELj1ELj32ELb1ELb1ELb1EEEvllPKT_S7_PKT0_SA_PS5_SB_, .Lfunc_end175-_ZN2at6native12_GLOBAL__N_135GammaBetaBackwardCUDAKernelTemplateIN3c104HalfEfLj32ELj1ELj32ELb1ELb1ELb1EEEvllPKT_S7_PKT0_SA_PS5_SB_
                                        ; -- End function
	.section	.AMDGPU.csdata,"",@progbits
; Kernel info:
; codeLenInByte = 2860
; NumSgprs: 38
; NumVgprs: 63
; NumAgprs: 0
; TotalNumVgprs: 63
; ScratchSize: 0
; MemoryBound: 0
; FloatMode: 240
; IeeeMode: 1
; LDSByteSize: 0 bytes/workgroup (compile time only)
; SGPRBlocks: 4
; VGPRBlocks: 7
; NumSGPRsForWavesPerEU: 38
; NumVGPRsForWavesPerEU: 63
; AccumOffset: 64
; Occupancy: 8
; WaveLimiterHint : 0
; COMPUTE_PGM_RSRC2:SCRATCH_EN: 0
; COMPUTE_PGM_RSRC2:USER_SGPR: 2
; COMPUTE_PGM_RSRC2:TRAP_HANDLER: 0
; COMPUTE_PGM_RSRC2:TGID_X_EN: 1
; COMPUTE_PGM_RSRC2:TGID_Y_EN: 1
; COMPUTE_PGM_RSRC2:TGID_Z_EN: 0
; COMPUTE_PGM_RSRC2:TIDIG_COMP_CNT: 1
; COMPUTE_PGM_RSRC3_GFX90A:ACCUM_OFFSET: 15
; COMPUTE_PGM_RSRC3_GFX90A:TG_SPLIT: 0
	.section	.text._ZN2at6native12_GLOBAL__N_135GammaBetaBackwardCUDAKernelTemplateIN3c104HalfEfLj32ELj1ELj32ELb1ELb0ELb1EEEvllPKT_S7_PKT0_SA_PS5_SB_,"axG",@progbits,_ZN2at6native12_GLOBAL__N_135GammaBetaBackwardCUDAKernelTemplateIN3c104HalfEfLj32ELj1ELj32ELb1ELb0ELb1EEEvllPKT_S7_PKT0_SA_PS5_SB_,comdat
	.globl	_ZN2at6native12_GLOBAL__N_135GammaBetaBackwardCUDAKernelTemplateIN3c104HalfEfLj32ELj1ELj32ELb1ELb0ELb1EEEvllPKT_S7_PKT0_SA_PS5_SB_ ; -- Begin function _ZN2at6native12_GLOBAL__N_135GammaBetaBackwardCUDAKernelTemplateIN3c104HalfEfLj32ELj1ELj32ELb1ELb0ELb1EEEvllPKT_S7_PKT0_SA_PS5_SB_
	.p2align	8
	.type	_ZN2at6native12_GLOBAL__N_135GammaBetaBackwardCUDAKernelTemplateIN3c104HalfEfLj32ELj1ELj32ELb1ELb0ELb1EEEvllPKT_S7_PKT0_SA_PS5_SB_,@function
_ZN2at6native12_GLOBAL__N_135GammaBetaBackwardCUDAKernelTemplateIN3c104HalfEfLj32ELj1ELj32ELb1ELb0ELb1EEEvllPKT_S7_PKT0_SA_PS5_SB_: ; @_ZN2at6native12_GLOBAL__N_135GammaBetaBackwardCUDAKernelTemplateIN3c104HalfEfLj32ELj1ELj32ELb1ELb0ELb1EEEvllPKT_S7_PKT0_SA_PS5_SB_
; %bb.0:
	s_load_dwordx8 s[12:19], s[0:1], 0x0
	s_load_dwordx2 s[10:11], s[0:1], 0x28
	s_mov_b32 s8, s3
	s_lshl_b32 s3, s2, 5
	v_mov_b32_e32 v206, v0
	s_or_b32 s20, s3, 31
	s_mov_b32 s21, 0
	s_waitcnt lgkmcnt(0)
	v_mov_b64_e32 v[0:1], s[14:15]
	v_cmp_ge_i64_e32 vcc, s[20:21], v[0:1]
	s_lshl_b32 s20, s8, 5
	v_mov_b64_e32 v[0:1], s[12:13]
	v_cmp_lt_i64_e64 s[4:5], s[20:21], v[0:1]
	s_nop 1
	v_cndmask_b32_e64 v0, 0, 1, s[4:5]
	v_cmp_ne_u32_e64 s[4:5], 1, v0
	s_cbranch_vccz .LBB176_145
; %bb.1:
	s_and_b64 vcc, exec, s[4:5]
	v_mov_b32_e32 v31, 0
	s_cbranch_vccnz .LBB176_146
; %bb.2:
	v_mov_b32_e32 v1, 0
	v_bfe_u32 v161, v206, 10, 10
	v_lshlrev_b32_e32 v2, 5, v161
	v_mov_b32_e32 v3, v1
	v_and_b32_e32 v160, 0x3ff, v206
	v_lshl_add_u64 v[130:131], v[2:3], 0, s[20:21]
	v_add_u32_e32 v0, s3, v160
	v_lshl_add_u64 v[6:7], v[130:131], 0, 31
	v_cmp_gt_i64_e64 s[6:7], s[14:15], v[0:1]
	v_lshlrev_b64 v[4:5], 1, v[0:1]
	v_mul_lo_u32 v0, s15, v6
	v_mul_lo_u32 v8, s14, v7
	v_mad_u64_u32 v[6:7], s[28:29], s14, v6, 0
	v_lshl_add_u64 v[10:11], v[130:131], 0, 30
	v_add3_u32 v7, v7, v8, v0
	v_mul_lo_u32 v0, s15, v10
	v_mul_lo_u32 v12, s14, v11
	v_mad_u64_u32 v[10:11], s[30:31], s14, v10, 0
	v_lshl_add_u64 v[14:15], v[130:131], 0, 29
	v_add3_u32 v11, v11, v12, v0
	;; [unrolled: 5-line block ×6, first 2 shown]
	v_mul_lo_u32 v0, s15, v30
	v_mul_lo_u32 v32, s14, v31
	v_mad_u64_u32 v[30:31], s[30:31], s14, v30, 0
	v_add3_u32 v31, v31, v32, v0
	v_lshlrev_b64 v[30:31], 1, v[30:31]
	v_lshl_add_u64 v[178:179], s[16:17], 0, v[30:31]
	v_lshl_add_u64 v[32:33], s[18:19], 0, v[30:31]
	v_lshl_add_u64 v[30:31], v[130:131], 0, 24
	v_mul_lo_u32 v0, s15, v30
	v_mul_lo_u32 v34, s14, v31
	v_mad_u64_u32 v[30:31], s[30:31], s14, v30, 0
	v_add3_u32 v31, v31, v34, v0
	v_lshlrev_b64 v[30:31], 1, v[30:31]
	v_lshl_add_u64 v[34:35], s[16:17], 0, v[30:31]
	v_lshl_add_u64 v[36:37], s[18:19], 0, v[30:31]
	v_lshl_add_u64 v[30:31], v[130:131], 0, 23
	v_mul_lo_u32 v0, s15, v30
	v_mul_lo_u32 v38, s14, v31
	v_mad_u64_u32 v[30:31], s[30:31], s14, v30, 0
	v_add3_u32 v31, v31, v38, v0
	v_lshlrev_b64 v[30:31], 1, v[30:31]
	v_lshl_add_u64 v[38:39], s[16:17], 0, v[30:31]
	v_lshl_add_u64 v[40:41], s[18:19], 0, v[30:31]
	v_lshl_add_u64 v[30:31], v[130:131], 0, 22
	v_mul_lo_u32 v0, s15, v30
	v_mul_lo_u32 v42, s14, v31
	v_mad_u64_u32 v[30:31], s[30:31], s14, v30, 0
	v_add3_u32 v31, v31, v42, v0
	v_lshlrev_b64 v[30:31], 1, v[30:31]
	v_lshl_add_u64 v[42:43], s[16:17], 0, v[30:31]
	v_lshl_add_u64 v[44:45], s[18:19], 0, v[30:31]
	v_lshl_add_u64 v[30:31], v[130:131], 0, 21
	v_mul_lo_u32 v0, s15, v30
	v_mul_lo_u32 v46, s14, v31
	v_mad_u64_u32 v[30:31], s[30:31], s14, v30, 0
	v_add3_u32 v31, v31, v46, v0
	v_lshlrev_b64 v[30:31], 1, v[30:31]
	v_lshl_add_u64 v[46:47], s[16:17], 0, v[30:31]
	v_lshl_add_u64 v[48:49], s[18:19], 0, v[30:31]
	v_lshl_add_u64 v[30:31], v[130:131], 0, 20
	v_mul_lo_u32 v0, s15, v30
	v_mul_lo_u32 v50, s14, v31
	v_mad_u64_u32 v[30:31], s[30:31], s14, v30, 0
	v_add3_u32 v31, v31, v50, v0
	v_lshlrev_b64 v[30:31], 1, v[30:31]
	v_lshl_add_u64 v[50:51], s[16:17], 0, v[30:31]
	v_lshl_add_u64 v[52:53], s[18:19], 0, v[30:31]
	v_lshl_add_u64 v[30:31], v[130:131], 0, 19
	v_mul_lo_u32 v0, s15, v30
	v_mul_lo_u32 v54, s14, v31
	v_mad_u64_u32 v[30:31], s[30:31], s14, v30, 0
	v_add3_u32 v31, v31, v54, v0
	v_lshlrev_b64 v[30:31], 1, v[30:31]
	v_lshl_add_u64 v[54:55], s[16:17], 0, v[30:31]
	v_lshl_add_u64 v[56:57], s[18:19], 0, v[30:31]
	v_lshl_add_u64 v[30:31], v[130:131], 0, 18
	v_mul_lo_u32 v0, s15, v30
	v_mul_lo_u32 v58, s14, v31
	v_mad_u64_u32 v[30:31], s[30:31], s14, v30, 0
	v_add3_u32 v31, v31, v58, v0
	v_lshlrev_b64 v[30:31], 1, v[30:31]
	v_lshl_add_u64 v[58:59], s[16:17], 0, v[30:31]
	v_lshl_add_u64 v[60:61], s[18:19], 0, v[30:31]
	v_lshl_add_u64 v[30:31], v[130:131], 0, 17
	v_mul_lo_u32 v0, s15, v30
	v_mul_lo_u32 v62, s14, v31
	v_mad_u64_u32 v[30:31], s[30:31], s14, v30, 0
	v_add3_u32 v31, v31, v62, v0
	v_lshlrev_b64 v[30:31], 1, v[30:31]
	v_lshl_add_u64 v[62:63], s[16:17], 0, v[30:31]
	v_lshl_add_u64 v[64:65], s[18:19], 0, v[30:31]
	v_lshl_add_u64 v[30:31], v[130:131], 0, 16
	v_mul_lo_u32 v0, s15, v30
	v_mul_lo_u32 v66, s14, v31
	v_mad_u64_u32 v[30:31], s[30:31], s14, v30, 0
	v_add3_u32 v31, v31, v66, v0
	v_lshlrev_b64 v[30:31], 1, v[30:31]
	v_lshl_add_u64 v[66:67], s[16:17], 0, v[30:31]
	v_lshl_add_u64 v[68:69], s[18:19], 0, v[30:31]
	v_lshl_add_u64 v[30:31], v[130:131], 0, 15
	v_mul_lo_u32 v0, s15, v30
	v_mul_lo_u32 v70, s14, v31
	v_mad_u64_u32 v[30:31], s[30:31], s14, v30, 0
	v_add3_u32 v31, v31, v70, v0
	v_lshlrev_b64 v[30:31], 1, v[30:31]
	v_lshl_add_u64 v[70:71], s[16:17], 0, v[30:31]
	v_lshl_add_u64 v[72:73], s[18:19], 0, v[30:31]
	v_lshl_add_u64 v[30:31], v[130:131], 0, 14
	v_mul_lo_u32 v0, s15, v30
	v_mul_lo_u32 v74, s14, v31
	v_mad_u64_u32 v[30:31], s[30:31], s14, v30, 0
	v_add3_u32 v31, v31, v74, v0
	v_lshlrev_b64 v[30:31], 1, v[30:31]
	v_lshl_add_u64 v[74:75], s[16:17], 0, v[30:31]
	v_lshl_add_u64 v[76:77], s[18:19], 0, v[30:31]
	v_lshl_add_u64 v[30:31], v[130:131], 0, 13
	v_mul_lo_u32 v0, s15, v30
	v_mul_lo_u32 v78, s14, v31
	v_mad_u64_u32 v[30:31], s[30:31], s14, v30, 0
	v_add3_u32 v31, v31, v78, v0
	v_lshlrev_b64 v[30:31], 1, v[30:31]
	v_lshl_add_u64 v[78:79], s[16:17], 0, v[30:31]
	v_lshl_add_u64 v[80:81], s[18:19], 0, v[30:31]
	v_lshl_add_u64 v[30:31], v[130:131], 0, 12
	v_mul_lo_u32 v0, s15, v30
	v_mul_lo_u32 v82, s14, v31
	v_mad_u64_u32 v[30:31], s[30:31], s14, v30, 0
	v_add3_u32 v31, v31, v82, v0
	v_lshlrev_b64 v[30:31], 1, v[30:31]
	v_lshl_add_u64 v[82:83], s[16:17], 0, v[30:31]
	v_lshl_add_u64 v[84:85], s[18:19], 0, v[30:31]
	v_lshl_add_u64 v[30:31], v[130:131], 0, 11
	v_mul_lo_u32 v0, s15, v30
	v_mul_lo_u32 v86, s14, v31
	v_mad_u64_u32 v[30:31], s[30:31], s14, v30, 0
	v_add3_u32 v31, v31, v86, v0
	v_lshlrev_b64 v[30:31], 1, v[30:31]
	v_lshl_add_u64 v[86:87], s[16:17], 0, v[30:31]
	v_lshl_add_u64 v[88:89], s[18:19], 0, v[30:31]
	v_lshl_add_u64 v[30:31], v[130:131], 0, 10
	v_mul_lo_u32 v0, s15, v30
	v_mul_lo_u32 v90, s14, v31
	v_mad_u64_u32 v[30:31], s[30:31], s14, v30, 0
	v_add3_u32 v31, v31, v90, v0
	v_lshlrev_b64 v[30:31], 1, v[30:31]
	v_lshl_add_u64 v[90:91], s[16:17], 0, v[30:31]
	v_lshl_add_u64 v[92:93], s[18:19], 0, v[30:31]
	v_lshl_add_u64 v[30:31], v[130:131], 0, 9
	v_mul_lo_u32 v0, s15, v30
	v_mul_lo_u32 v94, s14, v31
	v_mad_u64_u32 v[30:31], s[30:31], s14, v30, 0
	v_add3_u32 v31, v31, v94, v0
	v_lshlrev_b64 v[30:31], 1, v[30:31]
	v_lshl_add_u64 v[94:95], s[16:17], 0, v[30:31]
	v_lshl_add_u64 v[96:97], s[18:19], 0, v[30:31]
	v_lshl_add_u64 v[30:31], v[130:131], 0, 8
	v_mul_lo_u32 v0, s15, v30
	v_mul_lo_u32 v98, s14, v31
	v_mad_u64_u32 v[30:31], s[30:31], s14, v30, 0
	v_add3_u32 v31, v31, v98, v0
	v_lshlrev_b64 v[30:31], 1, v[30:31]
	v_lshl_add_u64 v[98:99], s[16:17], 0, v[30:31]
	v_lshl_add_u64 v[100:101], s[18:19], 0, v[30:31]
	v_lshl_add_u64 v[30:31], v[130:131], 0, 7
	v_mul_lo_u32 v0, s15, v30
	v_mul_lo_u32 v102, s14, v31
	v_mad_u64_u32 v[30:31], s[30:31], s14, v30, 0
	v_add3_u32 v31, v31, v102, v0
	v_lshlrev_b64 v[30:31], 1, v[30:31]
	v_lshl_add_u64 v[102:103], s[16:17], 0, v[30:31]
	v_lshl_add_u64 v[104:105], s[18:19], 0, v[30:31]
	v_lshl_add_u64 v[30:31], v[130:131], 0, 6
	v_mul_lo_u32 v0, s15, v30
	v_mul_lo_u32 v106, s14, v31
	v_mad_u64_u32 v[30:31], s[30:31], s14, v30, 0
	v_add3_u32 v31, v31, v106, v0
	v_lshlrev_b64 v[30:31], 1, v[30:31]
	v_lshl_add_u64 v[106:107], s[16:17], 0, v[30:31]
	v_lshl_add_u64 v[108:109], s[18:19], 0, v[30:31]
	v_lshl_add_u64 v[30:31], v[130:131], 0, 5
	v_mul_lo_u32 v0, s15, v30
	v_mul_lo_u32 v110, s14, v31
	v_mad_u64_u32 v[30:31], s[30:31], s14, v30, 0
	v_add3_u32 v31, v31, v110, v0
	v_lshlrev_b64 v[30:31], 1, v[30:31]
	v_lshl_add_u64 v[110:111], s[16:17], 0, v[30:31]
	v_lshl_add_u64 v[112:113], s[18:19], 0, v[30:31]
	v_lshl_add_u64 v[30:31], v[130:131], 0, 4
	v_mul_lo_u32 v0, s15, v30
	v_mul_lo_u32 v114, s14, v31
	v_mad_u64_u32 v[30:31], s[30:31], s14, v30, 0
	v_add3_u32 v31, v31, v114, v0
	v_lshlrev_b64 v[30:31], 1, v[30:31]
	v_lshl_add_u64 v[114:115], s[16:17], 0, v[30:31]
	v_lshl_add_u64 v[116:117], s[18:19], 0, v[30:31]
	v_lshl_add_u64 v[30:31], v[130:131], 0, 3
	v_mul_lo_u32 v0, s15, v30
	v_mul_lo_u32 v118, s14, v31
	v_mad_u64_u32 v[30:31], s[30:31], s14, v30, 0
	v_add3_u32 v31, v31, v118, v0
	v_lshlrev_b64 v[30:31], 1, v[30:31]
	v_lshl_add_u64 v[118:119], s[16:17], 0, v[30:31]
	v_lshl_add_u64 v[120:121], s[18:19], 0, v[30:31]
	v_lshl_add_u64 v[30:31], v[130:131], 0, 2
	v_mul_lo_u32 v0, s15, v30
	v_mul_lo_u32 v122, s14, v31
	v_mad_u64_u32 v[30:31], s[30:31], s14, v30, 0
	v_add3_u32 v31, v31, v122, v0
	v_lshlrev_b64 v[30:31], 1, v[30:31]
	s_load_dword s9, s[0:1], 0x44
	v_lshl_add_u64 v[122:123], s[16:17], 0, v[30:31]
	v_lshl_add_u64 v[124:125], s[18:19], 0, v[30:31]
	v_mov_b64_e32 v[30:31], s[14:15]
	v_mad_u64_u32 v[30:31], s[30:31], s14, v130, v[30:31]
	v_mul_lo_u32 v0, s14, v131
	v_mul_lo_u32 v131, s15, v130
	v_add3_u32 v31, v131, v31, v0
	v_lshlrev_b64 v[30:31], 1, v[30:31]
	s_add_u32 s24, s0, 64
	v_lshl_add_u64 v[126:127], s[16:17], 0, v[30:31]
	v_lshl_add_u64 v[128:129], s[18:19], 0, v[30:31]
	v_mad_u64_u32 v[30:31], s[30:31], s14, v130, 0
	s_addc_u32 s25, s1, 0
	s_waitcnt lgkmcnt(0)
	s_lshl_b32 s22, s9, 5
	v_add3_u32 v31, v31, v0, v131
	v_mbcnt_lo_u32_b32 v0, -1, 0
	s_mul_i32 s9, s15, s22
	s_mul_hi_u32 s28, s14, s22
	v_mbcnt_hi_u32_b32 v0, -1, v0
	v_lshlrev_b64 v[8:9], 1, v[6:7]
	s_add_i32 s29, s28, s9
	s_mul_i32 s28, s14, s22
	v_lshlrev_b64 v[12:13], 1, v[10:11]
	v_lshlrev_b64 v[16:17], 1, v[14:15]
	;; [unrolled: 1-line block ×6, first 2 shown]
	v_lshlrev_b32_e32 v0, 2, v0
	s_mov_b32 s23, 0
	s_mov_b64 s[26:27], 31
	v_lshl_add_u64 v[6:7], s[16:17], 0, v[8:9]
	s_lshl_b64 s[28:29], s[28:29], 1
	v_lshl_add_u64 v[8:9], s[18:19], 0, v[8:9]
	v_lshl_add_u64 v[10:11], s[16:17], 0, v[12:13]
	;; [unrolled: 1-line block ×13, first 2 shown]
	v_and_b32_e32 v162, 0x100, v0
	s_mov_b64 s[30:31], s[20:21]
	v_mov_b32_e32 v163, 0
.LBB176_3:                              ; =>This Inner Loop Header: Depth=1
	s_add_u32 s34, s20, s26
	s_addc_u32 s35, 0, s27
	v_mov_b64_e32 v[30:31], s[12:13]
	v_cmp_ge_i64_e32 vcc, s[34:35], v[30:31]
	v_lshl_add_u64 v[134:135], s[20:21], 0, v[2:3]
	s_cbranch_vccz .LBB176_73
; %bb.4:                                ;   in Loop: Header=BB176_3 Depth=1
	s_load_dword s9, s[24:25], 0xc
	v_mov_b32_e32 v165, 0
	v_mov_b32_e32 v164, 0
	s_waitcnt lgkmcnt(0)
	s_and_b32 s9, s9, 0xffff
	v_mad_u32_u24 v0, v161, s9, v160
	v_and_b32_e32 v0, 63, v0
	v_cmp_gt_u32_e32 vcc, 32, v0
	s_and_saveexec_b64 s[34:35], vcc
	s_cbranch_execz .LBB176_8
; %bb.5:                                ;   in Loop: Header=BB176_3 Depth=1
	v_lshl_add_u64 v[136:137], v[134:135], 0, v[0:1]
	v_cmp_gt_i64_e32 vcc, s[12:13], v[136:137]
	v_mov_b32_e32 v164, 0
	s_and_saveexec_b64 s[36:37], vcc
	s_cbranch_execz .LBB176_7
; %bb.6:                                ;   in Loop: Header=BB176_3 Depth=1
	v_lshl_add_u64 v[30:31], v[136:137], 2, s[10:11]
	global_load_dword v164, v[30:31], off
.LBB176_7:                              ;   in Loop: Header=BB176_3 Depth=1
	s_or_b64 exec, exec, s[36:37]
.LBB176_8:                              ;   in Loop: Header=BB176_3 Depth=1
	s_or_b64 exec, exec, s[34:35]
	v_cmp_gt_i64_e32 vcc, s[12:13], v[134:135]
	s_and_b64 s[36:37], s[6:7], vcc
	v_mov_b32_e32 v0, 0
	s_and_saveexec_b64 s[34:35], s[36:37]
	s_cbranch_execz .LBB176_10
; %bb.9:                                ;   in Loop: Header=BB176_3 Depth=1
	v_lshl_add_u64 v[30:31], v[130:131], 0, v[4:5]
	global_load_ushort v0, v[30:31], off
	v_lshl_add_u64 v[30:31], v[132:133], 0, v[4:5]
	global_load_ushort v30, v[30:31], off
	s_waitcnt vmcnt(1)
	v_cvt_f32_f16_e32 v165, v0
	s_waitcnt vmcnt(0)
	v_cvt_f32_f16_e32 v0, v30
.LBB176_10:                             ;   in Loop: Header=BB176_3 Depth=1
	s_or_b64 exec, exec, s[34:35]
	v_lshl_add_u64 v[30:31], v[134:135], 0, 1
	v_cmp_gt_i64_e32 vcc, s[12:13], v[30:31]
	s_and_b64 s[36:37], s[6:7], vcc
	v_mov_b32_e32 v166, 0
	v_mov_b32_e32 v167, 0
	v_mov_b32_e32 v168, 0
	s_and_saveexec_b64 s[34:35], s[36:37]
	s_cbranch_execz .LBB176_12
; %bb.11:                               ;   in Loop: Header=BB176_3 Depth=1
	v_lshl_add_u64 v[30:31], v[126:127], 0, v[4:5]
	global_load_ushort v136, v[30:31], off
	v_lshl_add_u64 v[30:31], v[128:129], 0, v[4:5]
	global_load_ushort v30, v[30:31], off
	s_waitcnt vmcnt(1)
	v_cvt_f32_f16_e32 v167, v136
	s_waitcnt vmcnt(0)
	v_cvt_f32_f16_e32 v168, v30
.LBB176_12:                             ;   in Loop: Header=BB176_3 Depth=1
	s_or_b64 exec, exec, s[34:35]
	v_lshl_add_u64 v[30:31], v[134:135], 0, 2
	v_cmp_gt_i64_e32 vcc, s[12:13], v[30:31]
	s_and_b64 s[36:37], s[6:7], vcc
	v_mov_b32_e32 v169, 0
	s_and_saveexec_b64 s[34:35], s[36:37]
	s_cbranch_execz .LBB176_14
; %bb.13:                               ;   in Loop: Header=BB176_3 Depth=1
	v_lshl_add_u64 v[30:31], v[122:123], 0, v[4:5]
	global_load_ushort v136, v[30:31], off
	v_lshl_add_u64 v[30:31], v[124:125], 0, v[4:5]
	global_load_ushort v30, v[30:31], off
	s_waitcnt vmcnt(1)
	v_cvt_f32_f16_e32 v166, v136
	s_waitcnt vmcnt(0)
	v_cvt_f32_f16_e32 v169, v30
.LBB176_14:                             ;   in Loop: Header=BB176_3 Depth=1
	s_or_b64 exec, exec, s[34:35]
	v_lshl_add_u64 v[30:31], v[134:135], 0, 3
	v_cmp_gt_i64_e32 vcc, s[12:13], v[30:31]
	s_and_b64 s[36:37], s[6:7], vcc
	v_mov_b32_e32 v170, 0
	v_mov_b32_e32 v171, 0
	v_mov_b32_e32 v172, 0
	s_and_saveexec_b64 s[34:35], s[36:37]
	s_cbranch_execz .LBB176_16
; %bb.15:                               ;   in Loop: Header=BB176_3 Depth=1
	v_lshl_add_u64 v[30:31], v[118:119], 0, v[4:5]
	global_load_ushort v136, v[30:31], off
	v_lshl_add_u64 v[30:31], v[120:121], 0, v[4:5]
	global_load_ushort v30, v[30:31], off
	s_waitcnt vmcnt(1)
	v_cvt_f32_f16_e32 v171, v136
	s_waitcnt vmcnt(0)
	v_cvt_f32_f16_e32 v172, v30
.LBB176_16:                             ;   in Loop: Header=BB176_3 Depth=1
	s_or_b64 exec, exec, s[34:35]
	v_lshl_add_u64 v[30:31], v[134:135], 0, 4
	v_cmp_gt_i64_e32 vcc, s[12:13], v[30:31]
	s_and_b64 s[36:37], s[6:7], vcc
	v_mov_b32_e32 v173, 0
	s_and_saveexec_b64 s[34:35], s[36:37]
	s_cbranch_execz .LBB176_18
; %bb.17:                               ;   in Loop: Header=BB176_3 Depth=1
	v_lshl_add_u64 v[30:31], v[114:115], 0, v[4:5]
	global_load_ushort v136, v[30:31], off
	v_lshl_add_u64 v[30:31], v[116:117], 0, v[4:5]
	global_load_ushort v30, v[30:31], off
	s_waitcnt vmcnt(1)
	v_cvt_f32_f16_e32 v170, v136
	s_waitcnt vmcnt(0)
	v_cvt_f32_f16_e32 v173, v30
.LBB176_18:                             ;   in Loop: Header=BB176_3 Depth=1
	;; [unrolled: 36-line block ×15, first 2 shown]
	s_or_b64 exec, exec, s[34:35]
	v_lshl_add_u64 v[204:205], v[134:135], 0, 31
	v_cmp_gt_i64_e32 vcc, s[12:13], v[204:205]
	s_and_b64 s[36:37], s[6:7], vcc
	v_mov_b32_e32 v199, 0
	s_and_saveexec_b64 s[34:35], s[36:37]
	s_cbranch_execz .LBB176_72
; %bb.71:                               ;   in Loop: Header=BB176_3 Depth=1
	v_lshl_add_u64 v[204:205], v[6:7], 0, v[4:5]
	global_load_ushort v199, v[204:205], off
	v_lshl_add_u64 v[204:205], v[8:9], 0, v[4:5]
	global_load_ushort v203, v[204:205], off
	s_waitcnt vmcnt(1)
	v_cvt_f32_f16_e32 v199, v199
	s_waitcnt vmcnt(0)
	v_cvt_f32_f16_e32 v203, v203
	v_mul_f32_e32 v199, v199, v203
.LBB176_72:                             ;   in Loop: Header=BB176_3 Depth=1
	s_or_b64 exec, exec, s[34:35]
	s_waitcnt vmcnt(0)
	ds_bpermute_b32 v203, v162, v164
	ds_bpermute_b32 v204, v162, v164 offset:4
	v_mul_f32_e32 v0, v165, v0
	v_mul_f32_e32 v165, v167, v168
	ds_bpermute_b32 v167, v162, v164 offset:8
	s_waitcnt lgkmcnt(2)
	v_fma_f32 v0, v0, v203, v163
	s_waitcnt lgkmcnt(1)
	v_fmac_f32_e32 v0, v165, v204
	ds_bpermute_b32 v165, v162, v164 offset:12
	v_mul_f32_e32 v166, v166, v169
	s_waitcnt lgkmcnt(1)
	v_fmac_f32_e32 v0, v166, v167
	ds_bpermute_b32 v166, v162, v164 offset:16
	v_mul_f32_e32 v167, v171, v172
	;; [unrolled: 4-line block ×11, first 2 shown]
	s_waitcnt lgkmcnt(1)
	v_fmac_f32_e32 v0, v165, v30
	v_mul_f32_e32 v30, v191, v192
	ds_bpermute_b32 v165, v162, v164 offset:56
	s_waitcnt lgkmcnt(1)
	v_fmac_f32_e32 v0, v30, v31
	ds_bpermute_b32 v30, v162, v164 offset:60
	ds_bpermute_b32 v166, v162, v164 offset:64
	v_mul_f32_e32 v31, v190, v193
	s_waitcnt lgkmcnt(2)
	v_fmac_f32_e32 v0, v31, v165
	v_mul_f32_e32 v31, v195, v196
	s_waitcnt lgkmcnt(1)
	v_fmac_f32_e32 v0, v31, v30
	;; [unrolled: 3-line block ×3, first 2 shown]
	ds_bpermute_b32 v30, v162, v164 offset:76
	ds_bpermute_b32 v31, v162, v164 offset:80
	;; [unrolled: 1-line block ×4, first 2 shown]
	v_pk_mul_f32 v[136:137], v[136:137], v[138:139]
	v_mul_f32_e32 v166, v200, v201
	s_waitcnt lgkmcnt(2)
	v_pk_mul_f32 v[30:31], v[136:137], v[30:31]
	ds_bpermute_b32 v136, v162, v164 offset:84
	ds_bpermute_b32 v137, v162, v164 offset:88
	s_waitcnt lgkmcnt(3)
	v_fmac_f32_e32 v0, v166, v165
	v_mul_f32_e32 v165, v198, v202
	s_waitcnt lgkmcnt(2)
	v_fmac_f32_e32 v0, v165, v167
	v_add_f32_e32 v0, v0, v30
	ds_bpermute_b32 v138, v162, v164 offset:92
	ds_bpermute_b32 v139, v162, v164 offset:96
	v_add_f32_e32 v0, v0, v31
	v_pk_mul_f32 v[30:31], v[140:141], v[142:143]
	s_waitcnt lgkmcnt(2)
	v_pk_mul_f32 v[30:31], v[30:31], v[136:137]
	ds_bpermute_b32 v136, v162, v164 offset:100
	v_add_f32_e32 v0, v0, v30
	ds_bpermute_b32 v137, v162, v164 offset:104
	v_add_f32_e32 v0, v0, v31
	v_pk_mul_f32 v[30:31], v[144:145], v[146:147]
	s_waitcnt lgkmcnt(2)
	v_pk_mul_f32 v[30:31], v[30:31], v[138:139]
	ds_bpermute_b32 v138, v162, v164 offset:108
	v_add_f32_e32 v0, v0, v30
	;; [unrolled: 7-line block ×3, first 2 shown]
	v_add_f32_e32 v0, v0, v31
	v_pk_mul_f32 v[30:31], v[152:153], v[154:155]
	ds_bpermute_b32 v137, v162, v164 offset:120
	s_waitcnt lgkmcnt(2)
	v_pk_mul_f32 v[30:31], v[30:31], v[138:139]
	s_nop 0
	v_add_f32_e32 v0, v0, v30
	v_add_f32_e32 v138, v0, v31
	ds_bpermute_b32 v0, v162, v164 offset:124
	v_pk_mul_f32 v[30:31], v[156:157], v[158:159]
	s_waitcnt lgkmcnt(1)
	v_pk_mul_f32 v[30:31], v[30:31], v[136:137]
	s_nop 0
	v_add_f32_e32 v30, v138, v30
	v_add_f32_e32 v31, v30, v31
	s_branch .LBB176_141
.LBB176_73:                             ;   in Loop: Header=BB176_3 Depth=1
                                        ; implicit-def: $vgpr31
                                        ; implicit-def: $vgpr199
                                        ; implicit-def: $vgpr0
	s_cbranch_execz .LBB176_141
; %bb.74:                               ;   in Loop: Header=BB176_3 Depth=1
	s_load_dword s9, s[24:25], 0x0
	v_mov_b32_e32 v159, 0
	v_mov_b32_e32 v158, 0
	s_waitcnt lgkmcnt(0)
	s_cmp_lt_u32 s2, s9
	s_cselect_b32 s9, 12, 18
	s_add_u32 s34, s24, s9
	s_addc_u32 s35, s25, 0
	global_load_ushort v0, v1, s[34:35]
	s_waitcnt vmcnt(0)
	v_mad_u32_u24 v0, v161, v0, v160
	v_and_b32_e32 v0, 63, v0
	v_cmp_gt_u32_e32 vcc, 32, v0
	s_and_saveexec_b64 s[34:35], vcc
	s_cbranch_execz .LBB176_78
; %bb.75:                               ;   in Loop: Header=BB176_3 Depth=1
	v_lshl_add_u64 v[134:135], v[134:135], 0, v[0:1]
	v_cmp_gt_i64_e32 vcc, s[12:13], v[134:135]
	v_mov_b32_e32 v158, 0
	s_and_saveexec_b64 s[36:37], vcc
	s_cbranch_execz .LBB176_77
; %bb.76:                               ;   in Loop: Header=BB176_3 Depth=1
	v_lshl_add_u64 v[30:31], v[134:135], 2, s[10:11]
	global_load_dword v158, v[30:31], off
.LBB176_77:                             ;   in Loop: Header=BB176_3 Depth=1
	s_or_b64 exec, exec, s[36:37]
.LBB176_78:                             ;   in Loop: Header=BB176_3 Depth=1
	s_or_b64 exec, exec, s[34:35]
	v_mov_b32_e32 v0, 0
	s_and_saveexec_b64 s[34:35], s[6:7]
	s_cbranch_execz .LBB176_80
; %bb.79:                               ;   in Loop: Header=BB176_3 Depth=1
	v_lshl_add_u64 v[30:31], v[130:131], 0, v[4:5]
	global_load_ushort v0, v[30:31], off
	v_lshl_add_u64 v[30:31], v[132:133], 0, v[4:5]
	global_load_ushort v30, v[30:31], off
	s_waitcnt vmcnt(1)
	v_cvt_f32_f16_e32 v159, v0
	s_waitcnt vmcnt(0)
	v_cvt_f32_f16_e32 v0, v30
.LBB176_80:                             ;   in Loop: Header=BB176_3 Depth=1
	s_or_b64 exec, exec, s[34:35]
	v_mov_b32_e32 v164, 0
	v_mov_b32_e32 v30, 0
	v_mov_b32_e32 v31, 0
	s_and_saveexec_b64 s[34:35], s[6:7]
	s_cbranch_execz .LBB176_82
; %bb.81:                               ;   in Loop: Header=BB176_3 Depth=1
	v_lshl_add_u64 v[30:31], v[126:127], 0, v[4:5]
	global_load_ushort v134, v[30:31], off
	v_lshl_add_u64 v[30:31], v[128:129], 0, v[4:5]
	global_load_ushort v31, v[30:31], off
	s_waitcnt vmcnt(1)
	v_cvt_f32_f16_e32 v30, v134
	s_waitcnt vmcnt(0)
	v_cvt_f32_f16_e32 v31, v31
.LBB176_82:                             ;   in Loop: Header=BB176_3 Depth=1
	s_or_b64 exec, exec, s[34:35]
	v_mov_b32_e32 v165, 0
	s_and_saveexec_b64 s[34:35], s[6:7]
	s_cbranch_execz .LBB176_84
; %bb.83:                               ;   in Loop: Header=BB176_3 Depth=1
	v_lshl_add_u64 v[134:135], v[122:123], 0, v[4:5]
	global_load_ushort v136, v[134:135], off
	v_lshl_add_u64 v[134:135], v[124:125], 0, v[4:5]
	global_load_ushort v134, v[134:135], off
	s_waitcnt vmcnt(1)
	v_cvt_f32_f16_e32 v164, v136
	s_waitcnt vmcnt(0)
	v_cvt_f32_f16_e32 v165, v134
.LBB176_84:                             ;   in Loop: Header=BB176_3 Depth=1
	s_or_b64 exec, exec, s[34:35]
	v_mov_b32_e32 v166, 0
	v_mov_b32_e32 v167, 0
	v_mov_b32_e32 v168, 0
	s_and_saveexec_b64 s[34:35], s[6:7]
	s_cbranch_execz .LBB176_86
; %bb.85:                               ;   in Loop: Header=BB176_3 Depth=1
	v_lshl_add_u64 v[134:135], v[118:119], 0, v[4:5]
	global_load_ushort v136, v[134:135], off
	v_lshl_add_u64 v[134:135], v[120:121], 0, v[4:5]
	global_load_ushort v134, v[134:135], off
	s_waitcnt vmcnt(1)
	v_cvt_f32_f16_e32 v167, v136
	s_waitcnt vmcnt(0)
	v_cvt_f32_f16_e32 v168, v134
.LBB176_86:                             ;   in Loop: Header=BB176_3 Depth=1
	;; [unrolled: 30-line block ×5, first 2 shown]
	s_or_b64 exec, exec, s[34:35]
	v_mov_b32_e32 v183, 0
	s_and_saveexec_b64 s[34:35], s[6:7]
	s_cbranch_execz .LBB176_100
; %bb.99:                               ;   in Loop: Header=BB176_3 Depth=1
	v_lshl_add_u64 v[134:135], v[90:91], 0, v[4:5]
	global_load_ushort v136, v[134:135], off
	v_lshl_add_u64 v[134:135], v[92:93], 0, v[4:5]
	global_load_ushort v134, v[134:135], off
	s_waitcnt vmcnt(1)
	v_cvt_f32_f16_e32 v180, v136
	s_waitcnt vmcnt(0)
	v_cvt_f32_f16_e32 v183, v134
.LBB176_100:                            ;   in Loop: Header=BB176_3 Depth=1
	s_or_b64 exec, exec, s[34:35]
	v_mov_b32_e32 v184, 0
	v_mov_b32_e32 v185, 0
	v_mov_b32_e32 v186, 0
	s_and_saveexec_b64 s[34:35], s[6:7]
	s_cbranch_execz .LBB176_102
; %bb.101:                              ;   in Loop: Header=BB176_3 Depth=1
	v_lshl_add_u64 v[134:135], v[86:87], 0, v[4:5]
	global_load_ushort v136, v[134:135], off
	v_lshl_add_u64 v[134:135], v[88:89], 0, v[4:5]
	global_load_ushort v134, v[134:135], off
	s_waitcnt vmcnt(1)
	v_cvt_f32_f16_e32 v185, v136
	s_waitcnt vmcnt(0)
	v_cvt_f32_f16_e32 v186, v134
.LBB176_102:                            ;   in Loop: Header=BB176_3 Depth=1
	s_or_b64 exec, exec, s[34:35]
	v_mov_b32_e32 v187, 0
	s_and_saveexec_b64 s[34:35], s[6:7]
	s_cbranch_execz .LBB176_104
; %bb.103:                              ;   in Loop: Header=BB176_3 Depth=1
	v_lshl_add_u64 v[134:135], v[82:83], 0, v[4:5]
	global_load_ushort v136, v[134:135], off
	v_lshl_add_u64 v[134:135], v[84:85], 0, v[4:5]
	global_load_ushort v134, v[134:135], off
	s_waitcnt vmcnt(1)
	v_cvt_f32_f16_e32 v184, v136
	s_waitcnt vmcnt(0)
	v_cvt_f32_f16_e32 v187, v134
.LBB176_104:                            ;   in Loop: Header=BB176_3 Depth=1
	s_or_b64 exec, exec, s[34:35]
	v_mov_b32_e32 v188, 0
	v_mov_b32_e32 v189, 0
	v_mov_b32_e32 v190, 0
	s_and_saveexec_b64 s[34:35], s[6:7]
	s_cbranch_execz .LBB176_106
; %bb.105:                              ;   in Loop: Header=BB176_3 Depth=1
	v_lshl_add_u64 v[134:135], v[78:79], 0, v[4:5]
	global_load_ushort v136, v[134:135], off
	v_lshl_add_u64 v[134:135], v[80:81], 0, v[4:5]
	global_load_ushort v134, v[134:135], off
	s_waitcnt vmcnt(1)
	v_cvt_f32_f16_e32 v189, v136
	s_waitcnt vmcnt(0)
	v_cvt_f32_f16_e32 v190, v134
.LBB176_106:                            ;   in Loop: Header=BB176_3 Depth=1
	s_or_b64 exec, exec, s[34:35]
	v_mov_b32_e32 v191, 0
	s_and_saveexec_b64 s[34:35], s[6:7]
	s_cbranch_execz .LBB176_108
; %bb.107:                              ;   in Loop: Header=BB176_3 Depth=1
	v_lshl_add_u64 v[134:135], v[74:75], 0, v[4:5]
	global_load_ushort v136, v[134:135], off
	v_lshl_add_u64 v[134:135], v[76:77], 0, v[4:5]
	global_load_ushort v134, v[134:135], off
	s_waitcnt vmcnt(1)
	v_cvt_f32_f16_e32 v188, v136
	s_waitcnt vmcnt(0)
	v_cvt_f32_f16_e32 v191, v134
.LBB176_108:                            ;   in Loop: Header=BB176_3 Depth=1
	;; [unrolled: 30-line block ×9, first 2 shown]
	s_or_b64 exec, exec, s[34:35]
	v_mov_b32_e32 v155, 0
	v_mov_b32_e32 v154, 0
	;; [unrolled: 1-line block ×3, first 2 shown]
	s_and_saveexec_b64 s[34:35], s[6:7]
	s_cbranch_execnz .LBB176_143
; %bb.137:                              ;   in Loop: Header=BB176_3 Depth=1
	s_or_b64 exec, exec, s[34:35]
	v_mov_b32_e32 v157, 0
	s_and_saveexec_b64 s[34:35], s[6:7]
	s_cbranch_execnz .LBB176_144
.LBB176_138:                            ;   in Loop: Header=BB176_3 Depth=1
	s_or_b64 exec, exec, s[34:35]
	v_mov_b32_e32 v199, 0
	s_and_saveexec_b64 s[34:35], s[6:7]
	s_cbranch_execz .LBB176_140
.LBB176_139:                            ;   in Loop: Header=BB176_3 Depth=1
	v_lshl_add_u64 v[202:203], v[6:7], 0, v[4:5]
	global_load_ushort v199, v[202:203], off
	v_lshl_add_u64 v[202:203], v[8:9], 0, v[4:5]
	global_load_ushort v201, v[202:203], off
	s_waitcnt vmcnt(1)
	v_cvt_f32_f16_e32 v199, v199
	s_waitcnt vmcnt(0)
	v_cvt_f32_f16_e32 v201, v201
	v_mul_f32_e32 v199, v199, v201
.LBB176_140:                            ;   in Loop: Header=BB176_3 Depth=1
	s_or_b64 exec, exec, s[34:35]
	s_waitcnt vmcnt(0)
	ds_bpermute_b32 v201, v162, v158
	ds_bpermute_b32 v202, v162, v158 offset:4
	v_mul_f32_e32 v0, v159, v0
	v_mul_f32_e32 v30, v30, v31
	ds_bpermute_b32 v31, v162, v158 offset:8
	s_waitcnt lgkmcnt(2)
	v_fmac_f32_e32 v163, v0, v201
	ds_bpermute_b32 v0, v162, v158 offset:12
	s_waitcnt lgkmcnt(2)
	v_fmac_f32_e32 v163, v30, v202
	v_mul_f32_e32 v30, v164, v165
	s_waitcnt lgkmcnt(1)
	v_fmac_f32_e32 v163, v30, v31
	ds_bpermute_b32 v30, v162, v158 offset:16
	v_mul_f32_e32 v31, v167, v168
	s_waitcnt lgkmcnt(1)
	v_fmac_f32_e32 v163, v31, v0
	ds_bpermute_b32 v0, v162, v158 offset:20
	;; [unrolled: 4-line block ×10, first 2 shown]
	v_mul_f32_e32 v31, v184, v187
	s_waitcnt lgkmcnt(1)
	v_fmac_f32_e32 v163, v31, v30
	v_mul_f32_e32 v30, v189, v190
	ds_bpermute_b32 v31, v162, v158 offset:56
	s_waitcnt lgkmcnt(1)
	v_fmac_f32_e32 v163, v30, v0
	ds_bpermute_b32 v0, v162, v158 offset:60
	ds_bpermute_b32 v159, v162, v158 offset:64
	v_mul_f32_e32 v30, v188, v191
	s_waitcnt lgkmcnt(2)
	v_fmac_f32_e32 v163, v30, v31
	v_mul_f32_e32 v30, v193, v194
	s_waitcnt lgkmcnt(1)
	v_fmac_f32_e32 v163, v30, v0
	v_mul_f32_e32 v0, v192, v195
	ds_bpermute_b32 v30, v162, v158 offset:76
	ds_bpermute_b32 v31, v162, v158 offset:80
	s_waitcnt lgkmcnt(2)
	v_fmac_f32_e32 v163, v0, v159
	ds_bpermute_b32 v0, v162, v158 offset:68
	ds_bpermute_b32 v164, v162, v158 offset:72
	v_pk_mul_f32 v[134:135], v[134:135], v[136:137]
	v_mul_f32_e32 v159, v197, v198
	s_waitcnt lgkmcnt(2)
	v_pk_mul_f32 v[30:31], v[134:135], v[30:31]
	ds_bpermute_b32 v134, v162, v158 offset:84
	ds_bpermute_b32 v135, v162, v158 offset:88
	s_waitcnt lgkmcnt(3)
	v_fmac_f32_e32 v163, v159, v0
	v_mul_f32_e32 v0, v196, v200
	s_waitcnt lgkmcnt(2)
	v_fmac_f32_e32 v163, v0, v164
	v_add_f32_e32 v0, v163, v30
	ds_bpermute_b32 v136, v162, v158 offset:92
	ds_bpermute_b32 v137, v162, v158 offset:96
	v_add_f32_e32 v0, v0, v31
	v_pk_mul_f32 v[30:31], v[138:139], v[140:141]
	s_waitcnt lgkmcnt(2)
	v_pk_mul_f32 v[30:31], v[30:31], v[134:135]
	ds_bpermute_b32 v134, v162, v158 offset:100
	v_add_f32_e32 v0, v0, v30
	ds_bpermute_b32 v135, v162, v158 offset:104
	v_add_f32_e32 v0, v0, v31
	v_pk_mul_f32 v[30:31], v[142:143], v[144:145]
	s_waitcnt lgkmcnt(2)
	v_pk_mul_f32 v[30:31], v[30:31], v[136:137]
	ds_bpermute_b32 v136, v162, v158 offset:108
	v_add_f32_e32 v0, v0, v30
	;; [unrolled: 7-line block ×3, first 2 shown]
	ds_bpermute_b32 v135, v162, v158 offset:120
	v_add_f32_e32 v0, v0, v31
	v_pk_mul_f32 v[30:31], v[150:151], v[152:153]
	s_waitcnt lgkmcnt(2)
	v_pk_mul_f32 v[30:31], v[30:31], v[136:137]
	s_nop 0
	v_add_f32_e32 v0, v0, v30
	v_add_f32_e32 v136, v0, v31
	v_pk_mul_f32 v[30:31], v[154:155], v[156:157]
	ds_bpermute_b32 v0, v162, v158 offset:124
	s_waitcnt lgkmcnt(1)
	v_pk_mul_f32 v[30:31], v[30:31], v[134:135]
	s_nop 0
	v_add_f32_e32 v30, v136, v30
	v_add_f32_e32 v31, v30, v31
.LBB176_141:                            ;   in Loop: Header=BB176_3 Depth=1
	s_add_u32 s30, s30, s22
	s_addc_u32 s31, s31, 0
	v_mov_b64_e32 v[134:135], s[12:13]
	s_add_u32 s26, s26, s22
	v_cmp_lt_i64_e32 vcc, s[30:31], v[134:135]
	s_waitcnt lgkmcnt(0)
	v_fmac_f32_e32 v31, v199, v0
	v_lshl_add_u64 v[6:7], v[6:7], 0, s[28:29]
	v_lshl_add_u64 v[8:9], v[8:9], 0, s[28:29]
	;; [unrolled: 1-line block ×65, first 2 shown]
	s_addc_u32 s27, s27, 0
	s_cbranch_vccz .LBB176_146
; %bb.142:                              ;   in Loop: Header=BB176_3 Depth=1
	v_mov_b32_e32 v163, v31
	s_branch .LBB176_3
.LBB176_143:                            ;   in Loop: Header=BB176_3 Depth=1
	v_lshl_add_u64 v[156:157], v[14:15], 0, v[4:5]
	global_load_ushort v154, v[156:157], off
	v_lshl_add_u64 v[156:157], v[16:17], 0, v[4:5]
	global_load_ushort v156, v[156:157], off
	s_waitcnt vmcnt(1)
	v_cvt_f32_f16_e32 v154, v154
	s_waitcnt vmcnt(0)
	v_cvt_f32_f16_e32 v156, v156
	s_or_b64 exec, exec, s[34:35]
	v_mov_b32_e32 v157, 0
	s_and_saveexec_b64 s[34:35], s[6:7]
	s_cbranch_execz .LBB176_138
.LBB176_144:                            ;   in Loop: Header=BB176_3 Depth=1
	v_lshl_add_u64 v[202:203], v[10:11], 0, v[4:5]
	global_load_ushort v155, v[202:203], off
	v_lshl_add_u64 v[202:203], v[12:13], 0, v[4:5]
	global_load_ushort v157, v[202:203], off
	s_waitcnt vmcnt(1)
	v_cvt_f32_f16_e32 v155, v155
	s_waitcnt vmcnt(0)
	v_cvt_f32_f16_e32 v157, v157
	s_or_b64 exec, exec, s[34:35]
	v_mov_b32_e32 v199, 0
	s_and_saveexec_b64 s[34:35], s[6:7]
	s_cbranch_execnz .LBB176_139
	s_branch .LBB176_140
.LBB176_145:
                                        ; implicit-def: $vgpr31
	s_load_dwordx2 s[6:7], s[0:1], 0x30
	s_branch .LBB176_147
.LBB176_146:
	s_load_dwordx2 s[6:7], s[0:1], 0x30
	s_cbranch_execnz .LBB176_228
.LBB176_147:
	s_and_b64 vcc, exec, s[4:5]
	v_mov_b32_e32 v31, 0
	s_cbranch_vccnz .LBB176_228
; %bb.148:
	v_and_b32_e32 v0, 0x3ff, v206
	v_add_u32_e32 v130, s3, v0
	v_mov_b32_e32 v131, 0
	v_bfe_u32 v31, v206, 10, 10
	v_lshlrev_b64 v[4:5], 1, v[130:131]
	v_lshlrev_b32_e32 v130, 6, v31
	v_accvgpr_write_b32 a1, v0
	v_lshl_add_u64 v[0:1], s[20:21], 1, v[130:131]
	v_lshl_add_u64 v[6:7], v[0:1], 0, 2
	v_mov_b64_e32 v[2:3], s[16:17]
	v_mad_u64_u32 v[8:9], s[4:5], s14, v6, v[2:3]
	v_mul_lo_u32 v7, s14, v7
	v_mul_lo_u32 v24, s15, v6
	v_add3_u32 v9, v24, v9, v7
	v_accvgpr_write_b32 a6, v8
	v_lshl_add_u64 v[10:11], v[0:1], 0, 4
	v_accvgpr_write_b32 a7, v9
	v_mad_u64_u32 v[8:9], s[4:5], s14, v10, v[2:3]
	v_mul_lo_u32 v11, s14, v11
	v_mul_lo_u32 v25, s15, v10
	v_add3_u32 v9, v25, v9, v11
	v_accvgpr_write_b32 a8, v8
	v_lshl_add_u64 v[12:13], v[0:1], 0, 6
	v_accvgpr_write_b32 a9, v9
	;; [unrolled: 7-line block ×6, first 2 shown]
	v_mad_u64_u32 v[8:9], s[4:5], s14, v20, v[2:3]
	v_mul_lo_u32 v21, s14, v21
	v_mul_lo_u32 v30, s15, v20
	v_add3_u32 v9, v30, v9, v21
	v_accvgpr_write_b32 a19, v9
	v_accvgpr_write_b32 a18, v8
	v_mov_b64_e32 v[8:9], s[18:19]
	v_mad_u64_u32 v[34:35], s[4:5], s14, v6, v[8:9]
	v_add3_u32 v35, v24, v35, v7
	v_mad_u64_u32 v[6:7], s[4:5], s14, v10, v[8:9]
	v_add3_u32 v7, v25, v7, v11
	v_mad_u64_u32 v[10:11], s[4:5], s14, v12, v[8:9]
	v_accvgpr_write_b32 a25, v7
	v_add3_u32 v11, v26, v11, v13
	v_accvgpr_write_b32 a24, v6
	v_lshl_add_u64 v[6:7], v[0:1], 0, 18
	v_accvgpr_write_b32 a27, v11
	v_accvgpr_write_b32 a26, v10
	v_mad_u64_u32 v[10:11], s[4:5], s14, v6, v[2:3]
	v_mul_lo_u32 v7, s14, v7
	v_mad_u64_u32 v[12:13], s[4:5], s14, v14, v[8:9]
	v_mul_lo_u32 v14, s15, v6
	v_add3_u32 v11, v14, v11, v7
	v_add3_u32 v13, v27, v13, v15
	v_accvgpr_write_b32 a29, v11
	v_accvgpr_write_b32 a31, v13
	;; [unrolled: 1-line block ×3, first 2 shown]
	v_mad_u64_u32 v[10:11], s[4:5], s14, v16, v[8:9]
	v_accvgpr_write_b32 a30, v12
	v_add3_u32 v11, v28, v11, v17
	v_mad_u64_u32 v[12:13], s[4:5], s14, v18, v[8:9]
	v_accvgpr_write_b32 a33, v11
	v_add3_u32 v13, v29, v13, v19
	v_accvgpr_write_b32 a32, v10
	v_lshl_add_u64 v[10:11], v[0:1], 0, 20
	v_accvgpr_write_b32 a35, v13
	v_accvgpr_write_b32 a34, v12
	v_mad_u64_u32 v[12:13], s[4:5], s14, v10, v[2:3]
	v_mul_lo_u32 v11, s14, v11
	v_mul_lo_u32 v15, s15, v10
	v_add3_u32 v13, v15, v13, v11
	v_lshl_add_u64 v[22:23], v[0:1], 0, 16
	v_mad_u64_u32 v[16:17], s[4:5], s14, v20, v[8:9]
	v_accvgpr_write_b32 a37, v13
	v_mul_lo_u32 v23, s14, v23
	v_mul_lo_u32 v24, s15, v22
	v_add3_u32 v17, v30, v17, v21
	v_accvgpr_write_b32 a36, v12
	v_mad_u64_u32 v[12:13], s[4:5], s14, v22, v[8:9]
	v_accvgpr_write_b32 a39, v17
	v_add3_u32 v13, v24, v13, v23
	v_accvgpr_write_b32 a38, v16
	v_accvgpr_write_b32 a41, v13
	v_mad_u64_u32 v[16:17], s[4:5], s14, v6, v[8:9]
	v_accvgpr_write_b32 a40, v12
	v_lshl_add_u64 v[12:13], v[0:1], 0, 22
	v_add3_u32 v17, v14, v17, v7
	v_mad_u64_u32 v[18:19], s[4:5], s14, v10, v[8:9]
	v_accvgpr_write_b32 a43, v17
	v_mul_lo_u32 v6, s14, v13
	v_add3_u32 v19, v15, v19, v11
	v_mul_lo_u32 v7, s15, v12
	v_mad_u64_u32 v[10:11], s[4:5], s14, v12, v[8:9]
	v_accvgpr_write_b32 a42, v16
	v_mad_u64_u32 v[16:17], s[4:5], s14, v12, v[2:3]
	v_add3_u32 v11, v7, v11, v6
	v_add3_u32 v17, v7, v17, v6
	v_accvgpr_write_b32 a49, v11
	v_lshl_add_u64 v[6:7], v[0:1], 0, 24
	v_accvgpr_write_b32 a48, v10
	v_mul_lo_u32 v7, s14, v7
	v_mul_lo_u32 v10, s15, v6
	v_mad_u64_u32 v[12:13], s[4:5], s14, v6, v[2:3]
	v_add3_u32 v13, v10, v13, v7
	v_accvgpr_write_b32 a51, v13
	v_accvgpr_write_b32 a50, v12
	v_mad_u64_u32 v[12:13], s[4:5], s14, v6, v[8:9]
	v_add3_u32 v13, v10, v13, v7
	v_accvgpr_write_b32 a53, v13
	v_lshl_add_u64 v[6:7], v[0:1], 0, 26
	v_accvgpr_write_b32 a52, v12
	v_mul_lo_u32 v7, s14, v7
	v_mul_lo_u32 v10, s15, v6
	v_mad_u64_u32 v[12:13], s[4:5], s14, v6, v[2:3]
	v_add3_u32 v13, v10, v13, v7
	v_accvgpr_write_b32 a55, v13
	v_accvgpr_write_b32 a54, v12
	v_mad_u64_u32 v[12:13], s[4:5], s14, v6, v[8:9]
	;; [unrolled: 11-line block ×4, first 2 shown]
	v_add3_u32 v13, v10, v13, v7
	v_lshl_add_u64 v[6:7], v[0:1], 0, 32
	v_mul_lo_u32 v7, s14, v7
	v_mul_lo_u32 v10, s15, v6
	v_mad_u64_u32 v[66:67], s[4:5], s14, v6, v[2:3]
	v_mad_u64_u32 v[68:69], s[4:5], s14, v6, v[8:9]
	v_add3_u32 v67, v10, v67, v7
	v_add3_u32 v69, v10, v69, v7
	v_lshl_add_u64 v[6:7], v[0:1], 0, 34
	v_mul_lo_u32 v7, s14, v7
	v_mul_lo_u32 v10, s15, v6
	v_mad_u64_u32 v[70:71], s[4:5], s14, v6, v[2:3]
	v_mad_u64_u32 v[72:73], s[4:5], s14, v6, v[8:9]
	v_add3_u32 v71, v10, v71, v7
	;; [unrolled: 7-line block ×14, first 2 shown]
	v_add3_u32 v121, v10, v121, v7
	v_lshl_add_u64 v[6:7], v[0:1], 0, 60
	v_mul_lo_u32 v7, s14, v7
	v_mul_lo_u32 v10, s15, v6
	v_mad_u64_u32 v[122:123], s[4:5], s14, v6, v[2:3]
	v_mad_u64_u32 v[124:125], s[4:5], s14, v6, v[8:9]
	v_lshl_add_u64 v[0:1], v[0:1], 0, 62
	v_lshlrev_b32_e32 v130, 5, v31
	v_add3_u32 v123, v10, v123, v7
	v_add3_u32 v125, v10, v125, v7
	v_mad_u64_u32 v[126:127], s[4:5], s14, v0, v[2:3]
	v_mad_u64_u32 v[128:129], s[4:5], s14, v0, v[8:9]
	v_mul_lo_u32 v1, s14, v1
	v_mul_lo_u32 v0, s15, v0
	v_lshl_add_u64 v[6:7], v[130:131], 0, s[20:21]
	v_add3_u32 v127, v0, v127, v1
	v_add3_u32 v129, v0, v129, v1
	v_lshl_add_u64 v[0:1], v[6:7], 0, 31
	v_mad_u64_u32 v[32:33], s[4:5], s14, v22, v[2:3]
	v_mul_lo_u32 v2, s15, v0
	v_mul_lo_u32 v1, s14, v1
	v_mad_u64_u32 v[136:137], s[4:5], s14, v0, 0
	v_add3_u32 v137, v137, v1, v2
	v_lshl_add_u64 v[2:3], v[6:7], 0, 30
	v_mul_lo_u32 v0, s15, v2
	v_mul_lo_u32 v1, s14, v3
	v_mad_u64_u32 v[2:3], s[4:5], s14, v2, 0
	v_lshl_add_u64 v[8:9], v[6:7], 0, 29
	v_accvgpr_write_b32 a65, v13
	v_add3_u32 v3, v3, v1, v0
	v_mul_lo_u32 v0, s15, v8
	v_mul_lo_u32 v1, s14, v9
	v_mad_u64_u32 v[8:9], s[4:5], s14, v8, 0
	v_lshl_add_u64 v[10:11], v[6:7], 0, 28
	v_accvgpr_write_b32 a64, v12
	v_add3_u32 v9, v9, v1, v0
	;; [unrolled: 6-line block ×3, first 2 shown]
	v_mul_lo_u32 v0, s15, v12
	v_mul_lo_u32 v1, s14, v13
	v_mad_u64_u32 v[12:13], s[4:5], s14, v12, 0
	v_lshl_add_u64 v[14:15], v[6:7], 0, 26
	v_accvgpr_write_b32 a47, v19
	v_accvgpr_write_b32 a44, v16
	v_add3_u32 v13, v13, v1, v0
	v_mul_lo_u32 v0, s15, v14
	v_mul_lo_u32 v1, s14, v15
	v_mad_u64_u32 v[14:15], s[4:5], s14, v14, 0
	v_lshl_add_u64 v[16:17], v[6:7], 0, 25
	v_accvgpr_write_b32 a46, v18
	v_add3_u32 v15, v15, v1, v0
	v_mul_lo_u32 v0, s15, v16
	v_mul_lo_u32 v1, s14, v17
	v_mad_u64_u32 v[16:17], s[4:5], s14, v16, 0
	v_lshl_add_u64 v[18:19], v[6:7], 0, 24
	v_add3_u32 v17, v17, v1, v0
	v_mul_lo_u32 v0, s15, v18
	v_mul_lo_u32 v1, s14, v19
	v_mad_u64_u32 v[18:19], s[4:5], s14, v18, 0
	v_lshl_add_u64 v[20:21], v[6:7], 0, 23
	v_add3_u32 v33, v24, v33, v23
	v_add3_u32 v19, v19, v1, v0
	v_mul_lo_u32 v0, s15, v20
	v_mul_lo_u32 v1, s14, v21
	v_mad_u64_u32 v[20:21], s[4:5], s14, v20, 0
	v_lshl_add_u64 v[22:23], v[6:7], 0, 22
	v_lshlrev_b64 v[2:3], 1, v[2:3]
	v_add3_u32 v21, v21, v1, v0
	v_mul_lo_u32 v0, s15, v22
	v_mul_lo_u32 v1, s14, v23
	v_mad_u64_u32 v[22:23], s[4:5], s14, v22, 0
	v_lshl_add_u64 v[24:25], v[6:7], 0, 21
	v_lshl_add_u64 v[140:141], s[16:17], 0, v[2:3]
	v_lshl_add_u64 v[142:143], s[18:19], 0, v[2:3]
	v_lshlrev_b64 v[2:3], 1, v[8:9]
	v_add3_u32 v23, v23, v1, v0
	v_mul_lo_u32 v0, s15, v24
	v_mul_lo_u32 v1, s14, v25
	v_mad_u64_u32 v[24:25], s[4:5], s14, v24, 0
	v_lshl_add_u64 v[26:27], v[6:7], 0, 20
	v_lshl_add_u64 v[144:145], s[16:17], 0, v[2:3]
	;; [unrolled: 8-line block ×3, first 2 shown]
	v_lshl_add_u64 v[150:151], s[18:19], 0, v[2:3]
	v_lshlrev_b64 v[2:3], 1, v[12:13]
	v_accvgpr_write_b32 a20, v32
	v_accvgpr_write_b32 a4, v31
	v_add3_u32 v27, v27, v1, v0
	v_mul_lo_u32 v0, s15, v28
	v_mul_lo_u32 v1, s14, v29
	v_mad_u64_u32 v[28:29], s[4:5], s14, v28, 0
	v_lshl_add_u64 v[30:31], v[6:7], 0, 18
	v_lshl_add_u64 v[152:153], s[16:17], 0, v[2:3]
	;; [unrolled: 1-line block ×3, first 2 shown]
	v_lshlrev_b64 v[2:3], 1, v[14:15]
	v_accvgpr_write_b32 a22, v34
	v_accvgpr_write_b32 a21, v33
	v_add3_u32 v29, v29, v1, v0
	v_mul_lo_u32 v0, s15, v30
	v_mul_lo_u32 v1, s14, v31
	v_mad_u64_u32 v[30:31], s[4:5], s14, v30, 0
	v_lshl_add_u64 v[32:33], v[6:7], 0, 17
	v_lshl_add_u64 v[156:157], s[16:17], 0, v[2:3]
	;; [unrolled: 1-line block ×3, first 2 shown]
	v_lshlrev_b64 v[2:3], 1, v[16:17]
	v_accvgpr_write_b32 a23, v35
	v_add3_u32 v31, v31, v1, v0
	v_mul_lo_u32 v0, s15, v32
	v_mul_lo_u32 v1, s14, v33
	v_mad_u64_u32 v[32:33], s[4:5], s14, v32, 0
	v_lshl_add_u64 v[34:35], v[6:7], 0, 16
	v_lshl_add_u64 v[160:161], s[16:17], 0, v[2:3]
	v_lshl_add_u64 v[162:163], s[18:19], 0, v[2:3]
	v_lshlrev_b64 v[2:3], 1, v[18:19]
	v_add3_u32 v33, v33, v1, v0
	v_mul_lo_u32 v0, s15, v34
	v_mul_lo_u32 v1, s14, v35
	v_mad_u64_u32 v[34:35], s[4:5], s14, v34, 0
	v_lshl_add_u64 v[36:37], v[6:7], 0, 15
	v_lshl_add_u64 v[164:165], s[16:17], 0, v[2:3]
	v_lshl_add_u64 v[166:167], s[18:19], 0, v[2:3]
	v_lshlrev_b64 v[2:3], 1, v[20:21]
	;; [unrolled: 8-line block ×11, first 2 shown]
	v_accvgpr_write_b32 a0, v206
	v_add3_u32 v53, v53, v1, v0
	v_mul_lo_u32 v0, s15, v54
	v_mul_lo_u32 v1, s14, v55
	v_mad_u64_u32 v[54:55], s[4:5], s14, v54, 0
	v_lshl_add_u64 v[56:57], v[6:7], 0, 5
	v_lshl_add_u64 v[204:205], s[16:17], 0, v[2:3]
	v_lshl_add_u64 v[206:207], s[18:19], 0, v[2:3]
	v_lshlrev_b64 v[2:3], 1, v[40:41]
	v_add3_u32 v55, v55, v1, v0
	v_mul_lo_u32 v0, s15, v56
	v_mul_lo_u32 v1, s14, v57
	v_mad_u64_u32 v[56:57], s[4:5], s14, v56, 0
	v_lshl_add_u64 v[132:133], v[6:7], 0, 4
	v_lshl_add_u64 v[208:209], s[16:17], 0, v[2:3]
	v_lshl_add_u64 v[210:211], s[18:19], 0, v[2:3]
	v_lshlrev_b64 v[2:3], 1, v[42:43]
	;; [unrolled: 8-line block ×4, first 2 shown]
	v_add3_u32 v249, v249, v1, v0
	v_mul_lo_u32 v0, s15, v132
	v_mul_lo_u32 v1, s14, v133
	v_mad_u64_u32 v[252:253], s[4:5], s14, v132, 0
	v_mov_b64_e32 v[132:133], s[14:15]
	s_load_dword s3, s[0:1], 0x44
	v_lshl_add_u64 v[220:221], s[16:17], 0, v[2:3]
	v_lshl_add_u64 v[222:223], s[18:19], 0, v[2:3]
	v_lshlrev_b64 v[2:3], 1, v[48:49]
	v_add3_u32 v253, v253, v1, v0
	v_mad_u64_u32 v[0:1], s[4:5], s14, v6, v[132:133]
	v_mul_lo_u32 v58, s15, v6
	v_mul_lo_u32 v59, s14, v7
	v_mad_u64_u32 v[6:7], s[4:5], s14, v6, 0
	v_lshl_add_u64 v[224:225], s[16:17], 0, v[2:3]
	v_lshl_add_u64 v[226:227], s[18:19], 0, v[2:3]
	v_lshlrev_b64 v[2:3], 1, v[50:51]
	v_add3_u32 v7, v7, v59, v58
	v_lshl_add_u64 v[228:229], s[16:17], 0, v[2:3]
	v_lshl_add_u64 v[230:231], s[18:19], 0, v[2:3]
	v_lshlrev_b64 v[2:3], 1, v[52:53]
	v_lshlrev_b64 v[6:7], 1, v[6:7]
	v_lshl_add_u64 v[232:233], s[16:17], 0, v[2:3]
	v_lshl_add_u64 v[234:235], s[18:19], 0, v[2:3]
	v_lshlrev_b64 v[2:3], 1, v[54:55]
	s_add_u32 s22, s0, 64
	v_lshl_add_u64 v[132:133], s[16:17], 0, v[6:7]
	v_lshl_add_u64 v[134:135], s[18:19], 0, v[6:7]
	v_lshlrev_b64 v[6:7], 1, v[136:137]
	v_lshl_add_u64 v[236:237], s[16:17], 0, v[2:3]
	v_lshl_add_u64 v[238:239], s[18:19], 0, v[2:3]
	v_lshlrev_b64 v[2:3], 1, v[56:57]
	s_addc_u32 s23, s1, 0
	s_waitcnt lgkmcnt(0)
	s_lshl_b32 s4, s3, 5
	v_lshl_add_u64 v[136:137], s[16:17], 0, v[6:7]
	v_lshl_add_u64 v[138:139], s[18:19], 0, v[6:7]
	;; [unrolled: 1-line block ×4, first 2 shown]
	v_lshlrev_b64 v[2:3], 1, v[244:245]
	v_mbcnt_lo_u32_b32 v6, -1, 0
	v_add3_u32 v1, v58, v1, v59
	s_mul_i32 s3, s15, s4
	s_mul_hi_u32 s9, s14, s4
	v_lshl_add_u64 v[244:245], s[16:17], 0, v[2:3]
	v_lshl_add_u64 v[246:247], s[18:19], 0, v[2:3]
	v_lshlrev_b64 v[2:3], 1, v[248:249]
	v_mbcnt_hi_u32_b32 v6, -1, v6
	s_add_i32 s25, s9, s3
	s_mul_i32 s24, s14, s4
	v_lshl_add_u64 v[248:249], s[16:17], 0, v[2:3]
	v_lshl_add_u64 v[250:251], s[18:19], 0, v[2:3]
	v_lshlrev_b64 v[2:3], 1, v[252:253]
	v_lshlrev_b64 v[0:1], 1, v[0:1]
	v_lshlrev_b32_e32 v6, 2, v6
	v_accvgpr_write_b32 a3, v131
	s_mov_b32 s5, 0
	s_lshl_b64 s[24:25], s[24:25], 1
	s_mov_b64 s[26:27], 31
	v_lshl_add_u64 v[252:253], s[16:17], 0, v[2:3]
	v_lshl_add_u64 v[254:255], s[18:19], 0, v[2:3]
	;; [unrolled: 1-line block ×4, first 2 shown]
	v_and_b32_e32 v30, 0x100, v6
	s_mov_b64 s[16:17], s[20:21]
	v_mov_b32_e32 v36, 0
.LBB176_149:                            ; =>This Inner Loop Header: Depth=1
	s_add_u32 s18, s20, s26
	s_addc_u32 s19, 0, s27
	v_mov_b64_e32 v[6:7], s[12:13]
	v_cmp_ge_i64_e32 vcc, s[18:19], v[6:7]
	v_lshl_add_u64 v[6:7], s[20:21], 0, v[130:131]
	s_cbranch_vccz .LBB176_219
; %bb.150:                              ;   in Loop: Header=BB176_149 Depth=1
	s_load_dword s3, s[22:23], 0xc
	v_mov_b32_e32 v8, 0
	v_accvgpr_write_b32 a72, v8             ;  Reload Reuse
	v_accvgpr_read_b32 v8, a1
	v_accvgpr_read_b32 v9, a4
	s_waitcnt lgkmcnt(0)
	s_and_b32 s3, s3, 0xffff
	v_mad_u32_u24 v8, v9, s3, v8
	v_and_b32_e32 v8, 63, v8
	v_accvgpr_read_b32 v9, a3
	v_accvgpr_write_b32 a2, v8
	v_accvgpr_write_b32 a3, v9
	v_cmp_gt_u32_e32 vcc, 32, v8
	v_mov_b32_e32 v32, 0
	s_and_saveexec_b64 s[18:19], vcc
	s_cbranch_execz .LBB176_154
; %bb.151:                              ;   in Loop: Header=BB176_149 Depth=1
	v_accvgpr_read_b32 v9, a3
	v_accvgpr_read_b32 v8, a2
	v_lshl_add_u64 v[8:9], v[6:7], 0, v[8:9]
	v_cmp_gt_i64_e32 vcc, s[12:13], v[8:9]
	v_mov_b32_e32 v32, 0
	s_and_saveexec_b64 s[28:29], vcc
	s_cbranch_execz .LBB176_153
; %bb.152:                              ;   in Loop: Header=BB176_149 Depth=1
	v_lshl_add_u64 v[8:9], v[8:9], 2, s[10:11]
	global_load_dword v32, v[8:9], off
.LBB176_153:                            ;   in Loop: Header=BB176_149 Depth=1
	s_or_b64 exec, exec, s[28:29]
.LBB176_154:                            ;   in Loop: Header=BB176_149 Depth=1
	s_or_b64 exec, exec, s[18:19]
	v_cmp_gt_i64_e32 vcc, s[12:13], v[6:7]
	v_mov_b32_e32 v34, 0
	s_and_saveexec_b64 s[18:19], vcc
	s_cbranch_execz .LBB176_156
; %bb.155:                              ;   in Loop: Header=BB176_149 Depth=1
	v_lshl_add_u64 v[8:9], v[132:133], 0, v[4:5]
	global_load_ushort v10, v[8:9], off
	v_lshl_add_u64 v[8:9], v[134:135], 0, v[4:5]
	global_load_ushort v8, v[8:9], off
	s_waitcnt vmcnt(1)
	v_cvt_f32_f16_e32 v9, v10
	s_waitcnt vmcnt(0)
	v_cvt_f32_f16_e32 v34, v8
	v_accvgpr_write_b32 a72, v9             ;  Reload Reuse
.LBB176_156:                            ;   in Loop: Header=BB176_149 Depth=1
	s_or_b64 exec, exec, s[18:19]
	v_lshl_add_u64 v[8:9], v[6:7], 0, 1
	v_cmp_gt_i64_e32 vcc, s[12:13], v[8:9]
	v_mov_b32_e32 v8, 0
	v_accvgpr_write_b32 a73, v8             ;  Reload Reuse
	v_mov_b32_e32 v8, 0
	v_accvgpr_write_b32 a74, v8             ;  Reload Reuse
	;; [unrolled: 2-line block ×3, first 2 shown]
	s_and_saveexec_b64 s[18:19], vcc
	s_cbranch_execz .LBB176_158
; %bb.157:                              ;   in Loop: Header=BB176_149 Depth=1
	v_lshl_add_u64 v[8:9], v[2:3], 0, v[4:5]
	global_load_ushort v10, v[8:9], off
	v_lshl_add_u64 v[8:9], v[0:1], 0, v[4:5]
	global_load_ushort v8, v[8:9], off
	s_waitcnt vmcnt(1)
	v_cvt_f32_f16_e32 v9, v10
	s_waitcnt vmcnt(0)
	v_cvt_f32_f16_e32 v8, v8
	v_accvgpr_write_b32 a74, v9             ;  Reload Reuse
	v_accvgpr_write_b32 a75, v8             ;  Reload Reuse
.LBB176_158:                            ;   in Loop: Header=BB176_149 Depth=1
	s_or_b64 exec, exec, s[18:19]
	v_lshl_add_u64 v[8:9], v[6:7], 0, 2
	v_cmp_gt_i64_e32 vcc, s[12:13], v[8:9]
	v_mov_b32_e32 v60, 0
	s_and_saveexec_b64 s[18:19], vcc
	s_cbranch_execz .LBB176_160
; %bb.159:                              ;   in Loop: Header=BB176_149 Depth=1
	v_lshl_add_u64 v[8:9], v[252:253], 0, v[4:5]
	global_load_ushort v10, v[8:9], off
	v_lshl_add_u64 v[8:9], v[254:255], 0, v[4:5]
	global_load_ushort v8, v[8:9], off
	s_waitcnt vmcnt(1)
	v_cvt_f32_f16_e32 v9, v10
	s_waitcnt vmcnt(0)
	v_cvt_f32_f16_e32 v60, v8
	v_accvgpr_write_b32 a73, v9             ;  Reload Reuse
.LBB176_160:                            ;   in Loop: Header=BB176_149 Depth=1
	s_or_b64 exec, exec, s[18:19]
	v_lshl_add_u64 v[8:9], v[6:7], 0, 3
	v_cmp_gt_i64_e32 vcc, s[12:13], v[8:9]
	v_mov_b32_e32 v8, 0
	v_accvgpr_write_b32 a76, v8             ;  Reload Reuse
	v_mov_b32_e32 v8, 0
	v_accvgpr_write_b32 a77, v8             ;  Reload Reuse
	;; [unrolled: 2-line block ×3, first 2 shown]
	s_and_saveexec_b64 s[18:19], vcc
	s_cbranch_execz .LBB176_162
; %bb.161:                              ;   in Loop: Header=BB176_149 Depth=1
	v_lshl_add_u64 v[8:9], v[248:249], 0, v[4:5]
	global_load_ushort v10, v[8:9], off
	v_lshl_add_u64 v[8:9], v[250:251], 0, v[4:5]
	global_load_ushort v8, v[8:9], off
	s_waitcnt vmcnt(1)
	v_cvt_f32_f16_e32 v9, v10
	s_waitcnt vmcnt(0)
	v_cvt_f32_f16_e32 v8, v8
	v_accvgpr_write_b32 a77, v9             ;  Reload Reuse
	v_accvgpr_write_b32 a78, v8             ;  Reload Reuse
.LBB176_162:                            ;   in Loop: Header=BB176_149 Depth=1
	s_or_b64 exec, exec, s[18:19]
	v_lshl_add_u64 v[8:9], v[6:7], 0, 4
	v_cmp_gt_i64_e32 vcc, s[12:13], v[8:9]
	v_mov_b32_e32 v8, 0
	v_accvgpr_write_b32 a79, v8             ;  Reload Reuse
	s_and_saveexec_b64 s[18:19], vcc
	s_cbranch_execz .LBB176_164
; %bb.163:                              ;   in Loop: Header=BB176_149 Depth=1
	v_lshl_add_u64 v[8:9], v[244:245], 0, v[4:5]
	global_load_ushort v10, v[8:9], off
	v_lshl_add_u64 v[8:9], v[246:247], 0, v[4:5]
	global_load_ushort v8, v[8:9], off
	s_waitcnt vmcnt(1)
	v_cvt_f32_f16_e32 v9, v10
	s_waitcnt vmcnt(0)
	v_cvt_f32_f16_e32 v8, v8
	v_accvgpr_write_b32 a76, v9             ;  Reload Reuse
	v_accvgpr_write_b32 a79, v8             ;  Reload Reuse
.LBB176_164:                            ;   in Loop: Header=BB176_149 Depth=1
	s_or_b64 exec, exec, s[18:19]
	v_lshl_add_u64 v[8:9], v[6:7], 0, 5
	v_cmp_gt_i64_e32 vcc, s[12:13], v[8:9]
	v_mov_b32_e32 v8, 0
	v_accvgpr_write_b32 a80, v8             ;  Reload Reuse
	v_mov_b32_e32 v8, 0
	v_mov_b32_e32 v61, 0
	v_accvgpr_write_b32 a81, v8             ;  Reload Reuse
	s_and_saveexec_b64 s[18:19], vcc
	s_cbranch_execz .LBB176_166
; %bb.165:                              ;   in Loop: Header=BB176_149 Depth=1
	v_lshl_add_u64 v[8:9], v[240:241], 0, v[4:5]
	global_load_ushort v10, v[8:9], off
	v_lshl_add_u64 v[8:9], v[242:243], 0, v[4:5]
	global_load_ushort v8, v[8:9], off
	s_waitcnt vmcnt(1)
	v_cvt_f32_f16_e32 v9, v10
	s_waitcnt vmcnt(0)
	v_cvt_f32_f16_e32 v8, v8
	v_accvgpr_write_b32 a80, v9             ;  Reload Reuse
	v_accvgpr_write_b32 a81, v8             ;  Reload Reuse
.LBB176_166:                            ;   in Loop: Header=BB176_149 Depth=1
	s_or_b64 exec, exec, s[18:19]
	v_lshl_add_u64 v[8:9], v[6:7], 0, 6
	v_cmp_gt_i64_e32 vcc, s[12:13], v[8:9]
	v_mov_b32_e32 v62, 0
	s_and_saveexec_b64 s[18:19], vcc
	s_cbranch_execz .LBB176_168
; %bb.167:                              ;   in Loop: Header=BB176_149 Depth=1
	v_lshl_add_u64 v[8:9], v[236:237], 0, v[4:5]
	global_load_ushort v10, v[8:9], off
	v_lshl_add_u64 v[8:9], v[238:239], 0, v[4:5]
	global_load_ushort v8, v[8:9], off
	s_waitcnt vmcnt(1)
	v_cvt_f32_f16_e32 v61, v10
	s_waitcnt vmcnt(0)
	v_cvt_f32_f16_e32 v62, v8
.LBB176_168:                            ;   in Loop: Header=BB176_149 Depth=1
	s_or_b64 exec, exec, s[18:19]
	v_lshl_add_u64 v[8:9], v[6:7], 0, 7
	v_cmp_gt_i64_e32 vcc, s[12:13], v[8:9]
	v_mov_b32_e32 v8, 0
	v_accvgpr_write_b32 a82, v8             ;  Reload Reuse
	v_mov_b32_e32 v63, 0
	v_mov_b32_e32 v35, 0
	s_and_saveexec_b64 s[18:19], vcc
	s_cbranch_execz .LBB176_170
; %bb.169:                              ;   in Loop: Header=BB176_149 Depth=1
	v_lshl_add_u64 v[8:9], v[232:233], 0, v[4:5]
	global_load_ushort v10, v[8:9], off
	v_lshl_add_u64 v[8:9], v[234:235], 0, v[4:5]
	global_load_ushort v8, v[8:9], off
	s_waitcnt vmcnt(1)
	v_cvt_f32_f16_e32 v63, v10
	s_waitcnt vmcnt(0)
	v_cvt_f32_f16_e32 v35, v8
.LBB176_170:                            ;   in Loop: Header=BB176_149 Depth=1
	s_or_b64 exec, exec, s[18:19]
	v_lshl_add_u64 v[8:9], v[6:7], 0, 8
	v_cmp_gt_i64_e32 vcc, s[12:13], v[8:9]
	v_mov_b32_e32 v31, 0
	s_and_saveexec_b64 s[18:19], vcc
	s_cbranch_execz .LBB176_172
; %bb.171:                              ;   in Loop: Header=BB176_149 Depth=1
	v_lshl_add_u64 v[8:9], v[228:229], 0, v[4:5]
	global_load_ushort v10, v[8:9], off
	v_lshl_add_u64 v[8:9], v[230:231], 0, v[4:5]
	global_load_ushort v8, v[8:9], off
	s_waitcnt vmcnt(1)
	v_cvt_f32_f16_e32 v9, v10
	s_waitcnt vmcnt(0)
	v_cvt_f32_f16_e32 v31, v8
	v_accvgpr_write_b32 a82, v9             ;  Reload Reuse
.LBB176_172:                            ;   in Loop: Header=BB176_149 Depth=1
	s_or_b64 exec, exec, s[18:19]
	v_lshl_add_u64 v[8:9], v[6:7], 0, 9
	v_cmp_gt_i64_e32 vcc, s[12:13], v[8:9]
	v_mov_b32_e32 v64, 0
	v_mov_b32_e32 v38, 0
	v_mov_b32_e32 v39, 0
	s_and_saveexec_b64 s[18:19], vcc
	s_cbranch_execz .LBB176_174
; %bb.173:                              ;   in Loop: Header=BB176_149 Depth=1
	v_lshl_add_u64 v[8:9], v[224:225], 0, v[4:5]
	global_load_ushort v10, v[8:9], off
	v_lshl_add_u64 v[8:9], v[226:227], 0, v[4:5]
	global_load_ushort v8, v[8:9], off
	s_waitcnt vmcnt(1)
	v_cvt_f32_f16_e32 v38, v10
	s_waitcnt vmcnt(0)
	v_cvt_f32_f16_e32 v39, v8
.LBB176_174:                            ;   in Loop: Header=BB176_149 Depth=1
	s_or_b64 exec, exec, s[18:19]
	v_lshl_add_u64 v[8:9], v[6:7], 0, 10
	v_cmp_gt_i64_e32 vcc, s[12:13], v[8:9]
	v_mov_b32_e32 v40, 0
	s_and_saveexec_b64 s[18:19], vcc
	s_cbranch_execz .LBB176_176
; %bb.175:                              ;   in Loop: Header=BB176_149 Depth=1
	v_lshl_add_u64 v[8:9], v[220:221], 0, v[4:5]
	global_load_ushort v10, v[8:9], off
	v_lshl_add_u64 v[8:9], v[222:223], 0, v[4:5]
	global_load_ushort v8, v[8:9], off
	s_waitcnt vmcnt(1)
	v_cvt_f32_f16_e32 v64, v10
	s_waitcnt vmcnt(0)
	v_cvt_f32_f16_e32 v40, v8
.LBB176_176:                            ;   in Loop: Header=BB176_149 Depth=1
	s_or_b64 exec, exec, s[18:19]
	v_lshl_add_u64 v[8:9], v[6:7], 0, 11
	v_cmp_gt_i64_e32 vcc, s[12:13], v[8:9]
	v_mov_b32_e32 v37, 0
	v_mov_b32_e32 v42, 0
	v_mov_b32_e32 v43, 0
	s_and_saveexec_b64 s[18:19], vcc
	s_cbranch_execz .LBB176_178
; %bb.177:                              ;   in Loop: Header=BB176_149 Depth=1
	v_lshl_add_u64 v[8:9], v[216:217], 0, v[4:5]
	global_load_ushort v10, v[8:9], off
	v_lshl_add_u64 v[8:9], v[218:219], 0, v[4:5]
	global_load_ushort v8, v[8:9], off
	s_waitcnt vmcnt(1)
	v_cvt_f32_f16_e32 v42, v10
	s_waitcnt vmcnt(0)
	v_cvt_f32_f16_e32 v43, v8
.LBB176_178:                            ;   in Loop: Header=BB176_149 Depth=1
	s_or_b64 exec, exec, s[18:19]
	v_lshl_add_u64 v[8:9], v[6:7], 0, 12
	v_cmp_gt_i64_e32 vcc, s[12:13], v[8:9]
	v_mov_b32_e32 v44, 0
	s_and_saveexec_b64 s[18:19], vcc
	s_cbranch_execz .LBB176_180
; %bb.179:                              ;   in Loop: Header=BB176_149 Depth=1
	v_lshl_add_u64 v[8:9], v[212:213], 0, v[4:5]
	global_load_ushort v10, v[8:9], off
	v_lshl_add_u64 v[8:9], v[214:215], 0, v[4:5]
	global_load_ushort v8, v[8:9], off
	s_waitcnt vmcnt(1)
	v_cvt_f32_f16_e32 v37, v10
	s_waitcnt vmcnt(0)
	v_cvt_f32_f16_e32 v44, v8
.LBB176_180:                            ;   in Loop: Header=BB176_149 Depth=1
	;; [unrolled: 34-line block ×11, first 2 shown]
	s_or_b64 exec, exec, s[18:19]
	v_lshl_add_u64 v[58:59], v[6:7], 0, 31
	v_accvgpr_write_b32 a2, v60
	v_cmp_gt_i64_e32 vcc, s[12:13], v[58:59]
	v_mov_b32_e32 v29, 0
	s_and_saveexec_b64 s[18:19], vcc
	s_cbranch_execz .LBB176_218
; %bb.217:                              ;   in Loop: Header=BB176_149 Depth=1
	v_lshl_add_u64 v[58:59], v[136:137], 0, v[4:5]
	global_load_ushort v29, v[58:59], off
	v_lshl_add_u64 v[58:59], v[138:139], 0, v[4:5]
	global_load_ushort v58, v[58:59], off
	s_waitcnt vmcnt(1)
	v_cvt_f32_f16_e32 v29, v29
	s_waitcnt vmcnt(0)
	v_cvt_f32_f16_e32 v58, v58
	v_mul_f32_e32 v29, v29, v58
.LBB176_218:                            ;   in Loop: Header=BB176_149 Depth=1
	s_or_b64 exec, exec, s[18:19]
	s_waitcnt vmcnt(0)
	ds_bpermute_b32 v58, v30, v32
	v_accvgpr_read_b32 v59, a72             ;  Reload Reuse
	v_mul_f32_e32 v59, v59, v34
	v_accvgpr_read_b32 v34, a74             ;  Reload Reuse
	v_accvgpr_read_b32 v60, a75             ;  Reload Reuse
	s_waitcnt lgkmcnt(0)
	v_fma_f32 v58, v59, v58, v36
	ds_bpermute_b32 v59, v30, v32 offset:4
	v_mul_f32_e32 v34, v34, v60
	v_accvgpr_read_b32 v60, a2
	v_mul_f32_e32 v35, v63, v35
	v_mul_f32_e32 v28, v28, v54
	s_waitcnt lgkmcnt(0)
	v_fmac_f32_e32 v58, v34, v59
	ds_bpermute_b32 v34, v30, v32 offset:8
	v_accvgpr_read_b32 v59, a73             ;  Reload Reuse
	v_mul_f32_e32 v59, v59, v60
	v_accvgpr_read_b32 v60, a78             ;  Reload Reuse
	v_pk_mul_f32 v[8:9], v[8:9], v[12:13]
	s_waitcnt lgkmcnt(0)
	v_fmac_f32_e32 v58, v59, v34
	ds_bpermute_b32 v34, v30, v32 offset:12
	v_accvgpr_read_b32 v59, a77             ;  Reload Reuse
	v_mul_f32_e32 v59, v59, v60
	v_accvgpr_read_b32 v60, a79             ;  Reload Reuse
	v_pk_mul_f32 v[10:11], v[10:11], v[16:17]
	s_waitcnt lgkmcnt(0)
	v_fmac_f32_e32 v58, v59, v34
	ds_bpermute_b32 v34, v30, v32 offset:16
	v_accvgpr_read_b32 v59, a76             ;  Reload Reuse
	v_mul_f32_e32 v59, v59, v60
	v_accvgpr_read_b32 v60, a81             ;  Reload Reuse
	s_waitcnt lgkmcnt(0)
	v_fmac_f32_e32 v58, v59, v34
	ds_bpermute_b32 v34, v30, v32 offset:20
	v_accvgpr_read_b32 v59, a80             ;  Reload Reuse
	v_mul_f32_e32 v59, v59, v60
	s_waitcnt lgkmcnt(0)
	v_fmac_f32_e32 v58, v59, v34
	ds_bpermute_b32 v34, v30, v32 offset:24
	v_mul_f32_e32 v59, v61, v62
	s_waitcnt lgkmcnt(0)
	v_fmac_f32_e32 v58, v59, v34
	ds_bpermute_b32 v34, v30, v32 offset:28
	s_waitcnt lgkmcnt(0)
	v_fmac_f32_e32 v58, v35, v34
	ds_bpermute_b32 v34, v30, v32 offset:32
	v_accvgpr_read_b32 v35, a82             ;  Reload Reuse
	v_mul_f32_e32 v31, v35, v31
	ds_bpermute_b32 v35, v30, v32 offset:84
	s_waitcnt lgkmcnt(1)
	v_fmac_f32_e32 v58, v31, v34
	ds_bpermute_b32 v31, v30, v32 offset:36
	v_mul_f32_e32 v34, v38, v39
	s_waitcnt lgkmcnt(0)
	v_fmac_f32_e32 v58, v34, v31
	ds_bpermute_b32 v31, v30, v32 offset:40
	v_mul_f32_e32 v34, v64, v40
	;; [unrolled: 4-line block ×9, first 2 shown]
	s_waitcnt lgkmcnt(0)
	v_fmac_f32_e32 v58, v34, v31
	ds_bpermute_b32 v31, v30, v32 offset:72
	ds_bpermute_b32 v34, v30, v32 offset:80
	s_waitcnt lgkmcnt(1)
	v_fmac_f32_e32 v58, v28, v31
	ds_bpermute_b32 v28, v30, v32 offset:76
	v_mul_f32_e32 v31, v55, v33
	s_waitcnt lgkmcnt(1)
	v_pk_mul_f32 v[8:9], v[8:9], v[34:35]
	s_waitcnt lgkmcnt(0)
	v_fmac_f32_e32 v58, v31, v28
	v_add_f32_e32 v8, v58, v8
	v_add_f32_e32 v12, v8, v9
	ds_bpermute_b32 v8, v30, v32 offset:88
	ds_bpermute_b32 v9, v30, v32 offset:92
	v_mul_f32_e32 v28, v56, v57
	s_waitcnt lgkmcnt(0)
	v_pk_mul_f32 v[8:9], v[10:11], v[8:9]
	s_nop 0
	v_add_f32_e32 v8, v12, v8
	v_add_f32_e32 v12, v8, v9
	ds_bpermute_b32 v8, v30, v32 offset:96
	ds_bpermute_b32 v9, v30, v32 offset:100
	v_pk_mul_f32 v[10:11], v[14:15], v[20:21]
	s_waitcnt lgkmcnt(0)
	v_pk_mul_f32 v[8:9], v[10:11], v[8:9]
	s_nop 0
	v_add_f32_e32 v8, v12, v8
	v_add_f32_e32 v12, v8, v9
	ds_bpermute_b32 v8, v30, v32 offset:104
	ds_bpermute_b32 v9, v30, v32 offset:108
	v_pk_mul_f32 v[10:11], v[18:19], v[24:25]
	;; [unrolled: 8-line block ×3, first 2 shown]
	s_waitcnt lgkmcnt(0)
	v_pk_mul_f32 v[8:9], v[10:11], v[8:9]
	s_nop 0
	v_add_f32_e32 v8, v12, v8
	v_add_f32_e32 v10, v8, v9
	ds_bpermute_b32 v8, v30, v32 offset:120
	ds_bpermute_b32 v9, v30, v32 offset:124
	s_waitcnt lgkmcnt(0)
	v_pk_mul_f32 v[8:9], v[28:29], v[8:9]
	s_nop 0
	v_add_f32_e32 v8, v10, v8
	v_add_f32_e32 v31, v8, v9
	s_branch .LBB176_225
.LBB176_219:                            ;   in Loop: Header=BB176_149 Depth=1
                                        ; implicit-def: $vgpr31
	s_cbranch_execz .LBB176_225
; %bb.220:                              ;   in Loop: Header=BB176_149 Depth=1
	s_load_dword s3, s[22:23], 0x0
	v_accvgpr_read_b32 v11, a3
	v_accvgpr_read_b32 v9, a1
	;; [unrolled: 1-line block ×3, first 2 shown]
	s_waitcnt lgkmcnt(0)
	s_cmp_lt_u32 s2, s3
	s_cselect_b32 s3, 12, 18
	s_add_u32 s18, s22, s3
	s_addc_u32 s19, s23, 0
	global_load_ushort v8, v11, s[18:19]
	s_waitcnt vmcnt(0)
	v_mad_u32_u24 v8, v10, v8, v9
	v_and_b32_e32 v10, 63, v8
	v_accvgpr_write_b32 a2, v10
	v_accvgpr_write_b32 a3, v11
	v_cmp_gt_u32_e32 vcc, 32, v10
	v_mov_b32_e32 v8, 0
	s_and_saveexec_b64 s[18:19], vcc
	s_cbranch_execz .LBB176_224
; %bb.221:                              ;   in Loop: Header=BB176_149 Depth=1
	v_accvgpr_read_b32 v9, a3
	v_accvgpr_read_b32 v8, a2
	v_lshl_add_u64 v[6:7], v[6:7], 0, v[8:9]
	v_cmp_gt_i64_e32 vcc, s[12:13], v[6:7]
	v_mov_b32_e32 v8, 0
	s_and_saveexec_b64 s[28:29], vcc
	s_cbranch_execz .LBB176_223
; %bb.222:                              ;   in Loop: Header=BB176_149 Depth=1
	v_lshl_add_u64 v[6:7], v[6:7], 2, s[10:11]
	global_load_dword v8, v[6:7], off
.LBB176_223:                            ;   in Loop: Header=BB176_149 Depth=1
	s_or_b64 exec, exec, s[28:29]
.LBB176_224:                            ;   in Loop: Header=BB176_149 Depth=1
	s_or_b64 exec, exec, s[18:19]
	v_lshl_add_u64 v[6:7], v[132:133], 0, v[4:5]
	global_load_ushort v6, v[6:7], off
	v_accvgpr_read_b32 v11, a7
	v_accvgpr_read_b32 v10, a6
	v_lshl_add_u64 v[10:11], v[10:11], 0, v[4:5]
	v_accvgpr_read_b32 v12, a22
	v_accvgpr_read_b32 v13, a23
	v_lshl_add_u64 v[12:13], v[12:13], 0, v[4:5]
	;; [unrolled: 3-line block ×8, first 2 shown]
	v_lshl_add_u64 v[56:57], v[92:93], 0, v[4:5]
	s_waitcnt vmcnt(0)
	v_cvt_f32_f16_e32 v9, v6
	v_lshl_add_u64 v[6:7], v[134:135], 0, v[4:5]
	global_load_ushort v6, v[6:7], off
	s_waitcnt vmcnt(0)
	v_cvt_f32_f16_e32 v6, v6
	global_load_ushort v7, v[10:11], off
	v_mul_f32_e32 v6, v9, v6
	s_waitcnt vmcnt(0)
	v_cvt_f32_f16_e32 v11, v7
	global_load_ushort v7, v[12:13], off
	v_accvgpr_read_b32 v13, a9
	v_accvgpr_read_b32 v12, a8
	v_lshl_add_u64 v[12:13], v[12:13], 0, v[4:5]
	global_load_ushort v10, v[12:13], off
	s_waitcnt vmcnt(1)
	v_cvt_f32_f16_e32 v7, v7
	s_waitcnt vmcnt(0)
	v_cvt_f32_f16_e32 v13, v10
	global_load_ushort v10, v[14:15], off
	v_accvgpr_read_b32 v15, a11
	v_accvgpr_read_b32 v14, a10
	v_lshl_add_u64 v[14:15], v[14:15], 0, v[4:5]
	global_load_ushort v12, v[14:15], off
	v_mul_f32_e32 v7, v11, v7
	s_waitcnt vmcnt(1)
	v_cvt_f32_f16_e32 v10, v10
	s_waitcnt vmcnt(0)
	v_cvt_f32_f16_e32 v15, v12
	global_load_ushort v12, v[16:17], off
	v_accvgpr_read_b32 v17, a13
	v_accvgpr_read_b32 v16, a12
	v_lshl_add_u64 v[16:17], v[16:17], 0, v[4:5]
	global_load_ushort v14, v[16:17], off
	s_waitcnt vmcnt(1)
	v_cvt_f32_f16_e32 v12, v12
	s_waitcnt vmcnt(0)
	v_cvt_f32_f16_e32 v17, v14
	global_load_ushort v14, v[18:19], off
	v_accvgpr_read_b32 v19, a15
	v_accvgpr_read_b32 v18, a14
	v_lshl_add_u64 v[18:19], v[18:19], 0, v[4:5]
	global_load_ushort v16, v[18:19], off
	;; [unrolled: 9-line block ×4, first 2 shown]
	v_accvgpr_read_b32 v22, a38
	v_accvgpr_read_b32 v23, a39
	v_lshl_add_u64 v[22:23], v[22:23], 0, v[4:5]
	s_waitcnt vmcnt(1)
	v_cvt_f32_f16_e32 v18, v18
	s_waitcnt vmcnt(0)
	v_cvt_f32_f16_e32 v54, v20
	global_load_ushort v20, v[22:23], off
	v_accvgpr_read_b32 v23, a21
	v_accvgpr_read_b32 v22, a20
	v_lshl_add_u64 v[22:23], v[22:23], 0, v[4:5]
	global_load_ushort v22, v[22:23], off
	s_waitcnt vmcnt(1)
	v_cvt_f32_f16_e32 v20, v20
	s_waitcnt vmcnt(0)
	v_cvt_f32_f16_e32 v52, v22
	v_accvgpr_read_b32 v22, a40
	v_accvgpr_read_b32 v23, a41
	v_lshl_add_u64 v[22:23], v[22:23], 0, v[4:5]
	global_load_ushort v22, v[22:23], off
	s_waitcnt vmcnt(0)
	v_cvt_f32_f16_e32 v55, v22
	v_accvgpr_read_b32 v22, a28
	v_accvgpr_read_b32 v23, a29
	v_lshl_add_u64 v[22:23], v[22:23], 0, v[4:5]
	global_load_ushort v22, v[22:23], off
	s_waitcnt vmcnt(0)
	v_cvt_f32_f16_e32 v23, v22
	global_load_ushort v22, v[24:25], off
	v_accvgpr_read_b32 v24, a36
	v_accvgpr_read_b32 v25, a37
	v_lshl_add_u64 v[24:25], v[24:25], 0, v[4:5]
	s_waitcnt vmcnt(0)
	v_cvt_f32_f16_e32 v53, v22
	global_load_ushort v22, v[24:25], off
	v_accvgpr_read_b32 v24, a46
	v_accvgpr_read_b32 v25, a47
	v_lshl_add_u64 v[24:25], v[24:25], 0, v[4:5]
	;; [unrolled: 6-line block ×3, first 2 shown]
	global_load_ushort v24, v[24:25], off
	s_waitcnt vmcnt(1)
	v_cvt_f32_f16_e32 v22, v22
	s_waitcnt vmcnt(0)
	v_cvt_f32_f16_e32 v48, v24
	v_accvgpr_read_b32 v24, a48
	v_accvgpr_read_b32 v25, a49
	v_lshl_add_u64 v[24:25], v[24:25], 0, v[4:5]
	global_load_ushort v24, v[24:25], off
	s_waitcnt vmcnt(0)
	v_cvt_f32_f16_e32 v51, v24
	v_accvgpr_read_b32 v24, a50
	v_accvgpr_read_b32 v25, a51
	v_lshl_add_u64 v[24:25], v[24:25], 0, v[4:5]
	global_load_ushort v24, v[24:25], off
	;; [unrolled: 6-line block ×9, first 2 shown]
	s_waitcnt vmcnt(0)
	v_cvt_f32_f16_e32 v43, v24
	v_lshl_add_u64 v[24:25], v[66:67], 0, v[4:5]
	global_load_ushort v24, v[24:25], off
	s_waitcnt vmcnt(0)
	v_cvt_f32_f16_e32 v38, v24
	v_lshl_add_u64 v[24:25], v[68:69], 0, v[4:5]
	global_load_ushort v24, v[24:25], off
	;; [unrolled: 4-line block ×13, first 2 shown]
	s_waitcnt vmcnt(0)
	v_cvt_f32_f16_e32 v24, v24
	global_load_ushort v25, v[56:57], off
	v_lshl_add_u64 v[56:57], v[94:95], 0, v[4:5]
	s_waitcnt vmcnt(0)
	v_cvt_f32_f16_e32 v27, v25
	global_load_ushort v25, v[56:57], off
	v_lshl_add_u64 v[56:57], v[96:97], 0, v[4:5]
	s_waitcnt vmcnt(0)
	v_cvt_f32_f16_e32 v25, v25
	v_accvgpr_write_b32 a70, v25
	global_load_ushort v25, v[56:57], off
	v_lshl_add_u64 v[56:57], v[98:99], 0, v[4:5]
	global_load_ushort v56, v[56:57], off
	s_waitcnt vmcnt(1)
	v_cvt_f32_f16_e32 v25, v25
	s_waitcnt vmcnt(0)
	v_cvt_f32_f16_e32 v56, v56
	v_accvgpr_write_b32 a68, v56
	v_lshl_add_u64 v[56:57], v[100:101], 0, v[4:5]
	global_load_ushort v56, v[56:57], off
	s_waitcnt vmcnt(0)
	v_cvt_f32_f16_e32 v56, v56
	v_accvgpr_write_b32 a71, v56
	v_lshl_add_u64 v[56:57], v[102:103], 0, v[4:5]
	global_load_ushort v56, v[56:57], off
	v_accvgpr_read_b32 v9, a71
	s_waitcnt vmcnt(0)
	v_cvt_f32_f16_e32 v56, v56
	v_accvgpr_write_b32 a66, v56
	v_lshl_add_u64 v[56:57], v[104:105], 0, v[4:5]
	global_load_ushort v56, v[56:57], off
	s_waitcnt vmcnt(0)
	v_cvt_f32_f16_e32 v56, v56
	v_accvgpr_write_b32 a69, v56
	v_lshl_add_u64 v[56:57], v[106:107], 0, v[4:5]
	global_load_ushort v56, v[56:57], off
	s_waitcnt vmcnt(0)
	v_cvt_f32_f16_e32 v65, v56
	v_lshl_add_u64 v[56:57], v[108:109], 0, v[4:5]
	global_load_ushort v56, v[56:57], off
	s_waitcnt vmcnt(0)
	v_cvt_f32_f16_e32 v56, v56
	v_accvgpr_write_b32 a67, v56
	v_lshl_add_u64 v[56:57], v[110:111], 0, v[4:5]
	global_load_ushort v56, v[56:57], off
	s_waitcnt vmcnt(0)
	v_cvt_f32_f16_e32 v63, v56
	;; [unrolled: 9-line block ×3, first 2 shown]
	v_lshl_add_u64 v[56:57], v[116:117], 0, v[4:5]
	global_load_ushort v56, v[56:57], off
	s_waitcnt vmcnt(0)
	v_cvt_f32_f16_e32 v62, v56
	v_lshl_add_u64 v[56:57], v[118:119], 0, v[4:5]
	global_load_ushort v56, v[56:57], off
	s_waitcnt vmcnt(0)
	v_cvt_f32_f16_e32 v61, v56
	;; [unrolled: 4-line block ×5, first 2 shown]
	v_accvgpr_write_b32 a2, v56
	v_lshl_add_u64 v[56:57], v[126:127], 0, v[4:5]
	global_load_ushort v56, v[56:57], off
	s_waitcnt vmcnt(0)
	v_cvt_f32_f16_e32 v58, v56
	v_lshl_add_u64 v[56:57], v[128:129], 0, v[4:5]
	global_load_ushort v56, v[56:57], off
	s_waitcnt vmcnt(0)
	v_cvt_f32_f16_e32 v57, v56
	ds_bpermute_b32 v56, v30, v8
	s_waitcnt lgkmcnt(0)
	v_fmac_f32_e32 v36, v6, v56
	ds_bpermute_b32 v6, v30, v8 offset:4
	s_waitcnt lgkmcnt(0)
	v_fmac_f32_e32 v36, v7, v6
	ds_bpermute_b32 v6, v30, v8 offset:8
	v_mul_f32_e32 v7, v13, v10
	s_waitcnt lgkmcnt(0)
	v_fmac_f32_e32 v36, v7, v6
	ds_bpermute_b32 v6, v30, v8 offset:12
	v_mul_f32_e32 v7, v15, v12
	;; [unrolled: 4-line block ×21, first 2 shown]
	s_waitcnt lgkmcnt(0)
	v_fmac_f32_e32 v36, v7, v6
	ds_bpermute_b32 v6, v30, v8 offset:92
	v_accvgpr_read_b32 v7, a70
	v_mul_f32_e32 v7, v7, v25
	s_waitcnt lgkmcnt(0)
	v_fmac_f32_e32 v36, v7, v6
	ds_bpermute_b32 v6, v30, v8 offset:96
	v_accvgpr_read_b32 v7, a68
	v_mul_f32_e32 v7, v7, v9
	v_accvgpr_read_b32 v9, a69
	s_waitcnt lgkmcnt(0)
	v_fmac_f32_e32 v36, v7, v6
	ds_bpermute_b32 v6, v30, v8 offset:100
	v_accvgpr_read_b32 v7, a66
	v_mul_f32_e32 v7, v7, v9
	s_waitcnt lgkmcnt(0)
	v_fmac_f32_e32 v36, v7, v6
	ds_bpermute_b32 v6, v30, v8 offset:104
	v_accvgpr_read_b32 v7, a67
	v_mul_f32_e32 v7, v65, v7
	;; [unrolled: 5-line block ×3, first 2 shown]
	s_waitcnt lgkmcnt(0)
	v_fmac_f32_e32 v36, v7, v6
	ds_bpermute_b32 v6, v30, v8 offset:112
	v_mul_f32_e32 v7, v59, v62
	s_waitcnt lgkmcnt(0)
	v_fmac_f32_e32 v36, v7, v6
	ds_bpermute_b32 v6, v30, v8 offset:116
	v_mul_f32_e32 v7, v61, v64
	s_waitcnt lgkmcnt(0)
	v_fmac_f32_e32 v36, v7, v6
	ds_bpermute_b32 v6, v30, v8 offset:120
	v_accvgpr_read_b32 v7, a2
	v_mul_f32_e32 v7, v60, v7
	s_waitcnt lgkmcnt(0)
	v_fmac_f32_e32 v36, v7, v6
	ds_bpermute_b32 v6, v30, v8 offset:124
	v_mul_f32_e32 v7, v58, v57
	s_waitcnt lgkmcnt(0)
	v_fmac_f32_e32 v36, v7, v6
	v_mov_b32_e32 v31, v36
.LBB176_225:                            ;   in Loop: Header=BB176_149 Depth=1
	s_add_u32 s16, s16, s4
	s_addc_u32 s17, s17, 0
	v_mov_b64_e32 v[6:7], s[12:13]
	v_cmp_ge_i64_e32 vcc, s[16:17], v[6:7]
	v_accvgpr_read_b32 v6, a6
	v_accvgpr_read_b32 v7, a7
	v_lshl_add_u64 v[6:7], v[6:7], 0, s[24:25]
	v_accvgpr_write_b32 a6, v6
	v_accvgpr_write_b32 a7, v7
	v_accvgpr_read_b32 v6, a8
	v_accvgpr_read_b32 v7, a9
	v_lshl_add_u64 v[6:7], v[6:7], 0, s[24:25]
	v_accvgpr_write_b32 a9, v7
	v_accvgpr_write_b32 a8, v6
	;; [unrolled: 5-line block ×29, first 2 shown]
	v_accvgpr_read_b32 v6, a64
	v_accvgpr_read_b32 v7, a65
	s_add_u32 s26, s26, s4
	v_lshl_add_u64 v[130:131], v[130:131], 0, s[4:5]
	v_lshl_add_u64 v[66:67], v[66:67], 0, s[24:25]
	;; [unrolled: 1-line block ×98, first 2 shown]
	s_addc_u32 s27, s27, 0
	s_cbranch_vccnz .LBB176_227
; %bb.226:                              ;   in Loop: Header=BB176_149 Depth=1
	v_accvgpr_write_b32 a65, v7
	v_accvgpr_write_b32 a64, v6
	v_mov_b32_e32 v36, v31
	s_branch .LBB176_149
.LBB176_227:
	v_accvgpr_read_b32 v206, a0
.LBB176_228:
	s_mov_b32 s3, 0
	s_lshl_b64 s[2:3], s[2:3], 5
	v_and_b32_e32 v0, 0x3ff, v206
	v_or_b32_e32 v0, s2, v0
	v_mov_b32_e32 v1, s3
	s_waitcnt lgkmcnt(0)
	s_cmp_lg_u64 s[6:7], 0
	v_cmp_gt_i64_e32 vcc, s[14:15], v[0:1]
	s_cselect_b64 s[2:3], -1, 0
	s_and_b64 s[2:3], vcc, s[2:3]
	s_and_saveexec_b64 s[4:5], s[2:3]
	s_cbranch_execz .LBB176_230
; %bb.229:
	s_load_dword s0, s[0:1], 0x4c
	v_bfe_u32 v2, v206, 10, 10
	v_mov_b32_e32 v3, 0
	v_mov_b32_e32 v4, s8
	s_waitcnt lgkmcnt(0)
	s_lshr_b32 s0, s0, 16
	v_mad_u64_u32 v[2:3], s[0:1], s0, v4, v[2:3]
	v_cvt_f16_f32_e32 v4, v31
	v_mul_lo_u32 v5, v3, s14
	v_mul_lo_u32 v6, v2, s15
	v_mad_u64_u32 v[2:3], s[0:1], v2, s14, 0
	v_add3_u32 v3, v3, v6, v5
	v_lshl_add_u64 v[2:3], v[2:3], 1, s[6:7]
	v_lshl_add_u64 v[0:1], v[0:1], 1, v[2:3]
	global_store_short v[0:1], v4, off
.LBB176_230:
	s_endpgm
	.section	.rodata,"a",@progbits
	.p2align	6, 0x0
	.amdhsa_kernel _ZN2at6native12_GLOBAL__N_135GammaBetaBackwardCUDAKernelTemplateIN3c104HalfEfLj32ELj1ELj32ELb1ELb0ELb1EEEvllPKT_S7_PKT0_SA_PS5_SB_
		.amdhsa_group_segment_fixed_size 0
		.amdhsa_private_segment_fixed_size 0
		.amdhsa_kernarg_size 320
		.amdhsa_user_sgpr_count 2
		.amdhsa_user_sgpr_dispatch_ptr 0
		.amdhsa_user_sgpr_queue_ptr 0
		.amdhsa_user_sgpr_kernarg_segment_ptr 1
		.amdhsa_user_sgpr_dispatch_id 0
		.amdhsa_user_sgpr_kernarg_preload_length 0
		.amdhsa_user_sgpr_kernarg_preload_offset 0
		.amdhsa_user_sgpr_private_segment_size 0
		.amdhsa_uses_dynamic_stack 0
		.amdhsa_enable_private_segment 0
		.amdhsa_system_sgpr_workgroup_id_x 1
		.amdhsa_system_sgpr_workgroup_id_y 1
		.amdhsa_system_sgpr_workgroup_id_z 0
		.amdhsa_system_sgpr_workgroup_info 0
		.amdhsa_system_vgpr_workitem_id 1
		.amdhsa_next_free_vgpr 339
		.amdhsa_next_free_sgpr 38
		.amdhsa_accum_offset 256
		.amdhsa_reserve_vcc 1
		.amdhsa_float_round_mode_32 0
		.amdhsa_float_round_mode_16_64 0
		.amdhsa_float_denorm_mode_32 3
		.amdhsa_float_denorm_mode_16_64 3
		.amdhsa_dx10_clamp 1
		.amdhsa_ieee_mode 1
		.amdhsa_fp16_overflow 0
		.amdhsa_tg_split 0
		.amdhsa_exception_fp_ieee_invalid_op 0
		.amdhsa_exception_fp_denorm_src 0
		.amdhsa_exception_fp_ieee_div_zero 0
		.amdhsa_exception_fp_ieee_overflow 0
		.amdhsa_exception_fp_ieee_underflow 0
		.amdhsa_exception_fp_ieee_inexact 0
		.amdhsa_exception_int_div_zero 0
	.end_amdhsa_kernel
	.section	.text._ZN2at6native12_GLOBAL__N_135GammaBetaBackwardCUDAKernelTemplateIN3c104HalfEfLj32ELj1ELj32ELb1ELb0ELb1EEEvllPKT_S7_PKT0_SA_PS5_SB_,"axG",@progbits,_ZN2at6native12_GLOBAL__N_135GammaBetaBackwardCUDAKernelTemplateIN3c104HalfEfLj32ELj1ELj32ELb1ELb0ELb1EEEvllPKT_S7_PKT0_SA_PS5_SB_,comdat
.Lfunc_end176:
	.size	_ZN2at6native12_GLOBAL__N_135GammaBetaBackwardCUDAKernelTemplateIN3c104HalfEfLj32ELj1ELj32ELb1ELb0ELb1EEEvllPKT_S7_PKT0_SA_PS5_SB_, .Lfunc_end176-_ZN2at6native12_GLOBAL__N_135GammaBetaBackwardCUDAKernelTemplateIN3c104HalfEfLj32ELj1ELj32ELb1ELb0ELb1EEEvllPKT_S7_PKT0_SA_PS5_SB_
                                        ; -- End function
	.section	.AMDGPU.csdata,"",@progbits
; Kernel info:
; codeLenInByte = 22600
; NumSgprs: 44
; NumVgprs: 256
; NumAgprs: 83
; TotalNumVgprs: 339
; ScratchSize: 0
; MemoryBound: 0
; FloatMode: 240
; IeeeMode: 1
; LDSByteSize: 0 bytes/workgroup (compile time only)
; SGPRBlocks: 5
; VGPRBlocks: 42
; NumSGPRsForWavesPerEU: 44
; NumVGPRsForWavesPerEU: 339
; AccumOffset: 256
; Occupancy: 1
; WaveLimiterHint : 0
; COMPUTE_PGM_RSRC2:SCRATCH_EN: 0
; COMPUTE_PGM_RSRC2:USER_SGPR: 2
; COMPUTE_PGM_RSRC2:TRAP_HANDLER: 0
; COMPUTE_PGM_RSRC2:TGID_X_EN: 1
; COMPUTE_PGM_RSRC2:TGID_Y_EN: 1
; COMPUTE_PGM_RSRC2:TGID_Z_EN: 0
; COMPUTE_PGM_RSRC2:TIDIG_COMP_CNT: 1
; COMPUTE_PGM_RSRC3_GFX90A:ACCUM_OFFSET: 63
; COMPUTE_PGM_RSRC3_GFX90A:TG_SPLIT: 0
	.section	.text._ZN2at6native12_GLOBAL__N_135GammaBetaBackwardCUDAKernelTemplateIN3c104HalfEfLj32ELj1ELj8ELb1ELb1ELb1EEEvllPKT_S7_PKT0_SA_PS5_SB_,"axG",@progbits,_ZN2at6native12_GLOBAL__N_135GammaBetaBackwardCUDAKernelTemplateIN3c104HalfEfLj32ELj1ELj8ELb1ELb1ELb1EEEvllPKT_S7_PKT0_SA_PS5_SB_,comdat
	.globl	_ZN2at6native12_GLOBAL__N_135GammaBetaBackwardCUDAKernelTemplateIN3c104HalfEfLj32ELj1ELj8ELb1ELb1ELb1EEEvllPKT_S7_PKT0_SA_PS5_SB_ ; -- Begin function _ZN2at6native12_GLOBAL__N_135GammaBetaBackwardCUDAKernelTemplateIN3c104HalfEfLj32ELj1ELj8ELb1ELb1ELb1EEEvllPKT_S7_PKT0_SA_PS5_SB_
	.p2align	8
	.type	_ZN2at6native12_GLOBAL__N_135GammaBetaBackwardCUDAKernelTemplateIN3c104HalfEfLj32ELj1ELj8ELb1ELb1ELb1EEEvllPKT_S7_PKT0_SA_PS5_SB_,@function
_ZN2at6native12_GLOBAL__N_135GammaBetaBackwardCUDAKernelTemplateIN3c104HalfEfLj32ELj1ELj8ELb1ELb1ELb1EEEvllPKT_S7_PKT0_SA_PS5_SB_: ; @_ZN2at6native12_GLOBAL__N_135GammaBetaBackwardCUDAKernelTemplateIN3c104HalfEfLj32ELj1ELj8ELb1ELb1ELb1EEEvllPKT_S7_PKT0_SA_PS5_SB_
; %bb.0:
	s_load_dwordx4 s[8:11], s[0:1], 0x0
	s_load_dwordx2 s[16:17], s[0:1], 0x30
	s_lshl_b32 s18, s3, 3
	s_mov_b32 s19, 0
	s_mov_b32 s6, s3
	s_waitcnt lgkmcnt(0)
	v_mov_b64_e32 v[2:3], s[8:9]
	v_cmp_ge_i64_e32 vcc, s[18:19], v[2:3]
	v_mov_b32_e32 v1, 0
	v_bfe_u32 v2, v0, 10, 10
	s_cbranch_vccnz .LBB177_8
; %bb.1:
	s_load_dword s3, s[0:1], 0x4c
	s_load_dword s7, s[0:1], 0x44
	s_load_dwordx4 s[12:15], s[0:1], 0x10
	s_load_dwordx2 s[22:23], s[0:1], 0x28
	v_and_b32_e32 v1, 0x3ff, v0
	s_waitcnt lgkmcnt(0)
	s_and_b32 s3, s3, 0xffff
	v_mad_u32_u24 v3, v2, s3, v1
	v_lshlrev_b32_e32 v4, 3, v2
	v_mov_b32_e32 v5, 0
	v_lshl_or_b32 v10, s2, 5, v1
	v_mbcnt_lo_u32_b32 v1, -1, 0
	v_and_b32_e32 v6, 63, v3
	v_mov_b32_e32 v7, v5
	v_mbcnt_hi_u32_b32 v1, -1, v1
	s_lshl_b32 s20, s7, 3
	v_lshl_add_u64 v[12:13], v[4:5], 0, s[18:19]
	v_cmp_gt_u32_e64 s[4:5], 8, v6
	v_mov_b32_e32 v11, v5
	v_lshlrev_b32_e32 v1, 2, v1
	v_lshl_add_u64 v[6:7], v[12:13], 0, v[6:7]
	v_mul_lo_u32 v4, s11, v12
	v_mul_lo_u32 v20, s10, v13
	v_mad_u64_u32 v[12:13], s[24:25], s10, v12, 0
	s_mul_i32 s3, s11, s20
	s_mul_hi_u32 s7, s10, s20
	v_and_b32_e32 v1, 0x100, v1
	s_mov_b32 s21, s19
	v_add3_u32 v13, v13, v20, v4
	v_lshlrev_b64 v[10:11], 1, v[10:11]
	s_add_i32 s25, s7, s3
	s_mul_i32 s24, s10, s20
	v_or_b32_e32 v3, 4, v1
	v_or_b32_e32 v14, 8, v1
	;; [unrolled: 1-line block ×7, first 2 shown]
	v_lshl_add_u64 v[8:9], v[6:7], 2, s[22:23]
	s_lshl_b64 s[22:23], s[20:21], 2
	v_lshl_add_u64 v[10:11], v[12:13], 1, v[10:11]
	s_lshl_b64 s[24:25], s[24:25], 1
	s_lshl_b64 s[26:27], s[10:11], 1
	v_mov_b64_e32 v[12:13], s[8:9]
	s_branch .LBB177_4
.LBB177_2:                              ;   in Loop: Header=BB177_4 Depth=1
	s_or_b64 exec, exec, s[30:31]
.LBB177_3:                              ;   in Loop: Header=BB177_4 Depth=1
	s_or_b64 exec, exec, s[28:29]
	v_lshl_add_u64 v[20:21], s[12:13], 0, v[10:11]
	global_load_ushort v24, v[20:21], off
	v_lshl_add_u64 v[22:23], s[14:15], 0, v[10:11]
	v_lshl_add_u64 v[20:21], v[20:21], 0, s[26:27]
	global_load_ushort v25, v[22:23], off
	global_load_ushort v26, v[20:21], off
	v_lshl_add_u64 v[22:23], v[22:23], 0, s[26:27]
	v_lshl_add_u64 v[20:21], v[20:21], 0, s[26:27]
	global_load_ushort v27, v[22:23], off
	;; [unrolled: 4-line block ×7, first 2 shown]
	global_load_ushort v38, v[20:21], off
	v_lshl_add_u64 v[20:21], v[22:23], 0, s[26:27]
	global_load_ushort v20, v[20:21], off
	s_waitcnt vmcnt(16)
	ds_bpermute_b32 v21, v1, v4
	ds_bpermute_b32 v22, v3, v4
	;; [unrolled: 1-line block ×8, first 2 shown]
	s_add_u32 s18, s18, s20
	s_addc_u32 s19, s19, 0
	v_cmp_lt_i64_e32 vcc, s[18:19], v[12:13]
	v_lshl_add_u64 v[8:9], v[8:9], 0, s[22:23]
	v_lshl_add_u64 v[6:7], v[6:7], 0, s[20:21]
	;; [unrolled: 1-line block ×3, first 2 shown]
	s_and_b64 vcc, exec, vcc
	s_waitcnt vmcnt(15)
	v_cvt_f32_f16_e32 v24, v24
	s_waitcnt vmcnt(14)
	v_cvt_f32_f16_e32 v25, v25
	;; [unrolled: 2-line block ×5, first 2 shown]
	v_mul_f32_e32 v24, v24, v25
	s_waitcnt lgkmcnt(7)
	v_fmac_f32_e32 v5, v24, v21
	s_waitcnt vmcnt(10)
	v_cvt_f32_f16_e32 v29, v29
	s_waitcnt vmcnt(9)
	v_cvt_f32_f16_e32 v30, v30
	v_mul_f32_e32 v21, v26, v27
	s_waitcnt lgkmcnt(6)
	v_fmac_f32_e32 v5, v21, v22
	s_waitcnt vmcnt(8)
	v_cvt_f32_f16_e32 v31, v31
	s_waitcnt vmcnt(7)
	v_cvt_f32_f16_e32 v32, v32
	;; [unrolled: 7-line block ×5, first 2 shown]
	v_mul_f32_e32 v21, v25, v34
	s_waitcnt vmcnt(0)
	v_cvt_f32_f16_e32 v20, v20
	s_waitcnt lgkmcnt(2)
	v_fmac_f32_e32 v5, v21, v41
	v_mul_f32_e32 v21, v24, v26
	s_waitcnt lgkmcnt(1)
	v_fmac_f32_e32 v5, v21, v42
	v_mul_f32_e32 v20, v22, v20
	s_waitcnt lgkmcnt(0)
	v_fmac_f32_e32 v5, v20, v4
	s_cbranch_vccz .LBB177_7
.LBB177_4:                              ; =>This Inner Loop Header: Depth=1
	v_mov_b32_e32 v4, 0
	s_and_saveexec_b64 s[28:29], s[4:5]
	s_cbranch_execz .LBB177_3
; %bb.5:                                ;   in Loop: Header=BB177_4 Depth=1
	v_cmp_gt_i64_e32 vcc, s[8:9], v[6:7]
	v_mov_b32_e32 v4, 0
	s_and_saveexec_b64 s[30:31], vcc
	s_cbranch_execz .LBB177_2
; %bb.6:                                ;   in Loop: Header=BB177_4 Depth=1
	global_load_dword v4, v[8:9], off
	s_branch .LBB177_2
.LBB177_7:
	v_cvt_f16_f32_e32 v1, v5
.LBB177_8:
	s_cmp_eq_u64 s[16:17], 0
	s_cbranch_scc1 .LBB177_10
; %bb.9:
	s_load_dword s0, s[0:1], 0x4c
	v_mov_b32_e32 v3, 0
	v_mov_b32_e32 v4, s6
	s_mov_b32 s3, 0
	v_and_b32_e32 v0, 0x3ff, v0
	s_waitcnt lgkmcnt(0)
	s_lshr_b32 s0, s0, 16
	v_mad_u64_u32 v[4:5], s[0:1], s0, v4, v[2:3]
	v_mul_lo_u32 v2, v5, s10
	v_mul_lo_u32 v6, v4, s11
	v_mad_u64_u32 v[4:5], s[0:1], v4, s10, 0
	s_lshl_b64 s[0:1], s[2:3], 6
	s_add_u32 s0, s0, s16
	v_add3_u32 v5, v5, v6, v2
	s_addc_u32 s1, s1, s17
	v_lshl_add_u64 v[4:5], v[4:5], 1, s[0:1]
	v_lshlrev_b32_e32 v2, 1, v0
	v_lshl_add_u64 v[2:3], v[4:5], 0, v[2:3]
	global_store_short v[2:3], v1, off
.LBB177_10:
	s_endpgm
	.section	.rodata,"a",@progbits
	.p2align	6, 0x0
	.amdhsa_kernel _ZN2at6native12_GLOBAL__N_135GammaBetaBackwardCUDAKernelTemplateIN3c104HalfEfLj32ELj1ELj8ELb1ELb1ELb1EEEvllPKT_S7_PKT0_SA_PS5_SB_
		.amdhsa_group_segment_fixed_size 0
		.amdhsa_private_segment_fixed_size 0
		.amdhsa_kernarg_size 320
		.amdhsa_user_sgpr_count 2
		.amdhsa_user_sgpr_dispatch_ptr 0
		.amdhsa_user_sgpr_queue_ptr 0
		.amdhsa_user_sgpr_kernarg_segment_ptr 1
		.amdhsa_user_sgpr_dispatch_id 0
		.amdhsa_user_sgpr_kernarg_preload_length 0
		.amdhsa_user_sgpr_kernarg_preload_offset 0
		.amdhsa_user_sgpr_private_segment_size 0
		.amdhsa_uses_dynamic_stack 0
		.amdhsa_enable_private_segment 0
		.amdhsa_system_sgpr_workgroup_id_x 1
		.amdhsa_system_sgpr_workgroup_id_y 1
		.amdhsa_system_sgpr_workgroup_id_z 0
		.amdhsa_system_sgpr_workgroup_info 0
		.amdhsa_system_vgpr_workitem_id 1
		.amdhsa_next_free_vgpr 43
		.amdhsa_next_free_sgpr 32
		.amdhsa_accum_offset 44
		.amdhsa_reserve_vcc 1
		.amdhsa_float_round_mode_32 0
		.amdhsa_float_round_mode_16_64 0
		.amdhsa_float_denorm_mode_32 3
		.amdhsa_float_denorm_mode_16_64 3
		.amdhsa_dx10_clamp 1
		.amdhsa_ieee_mode 1
		.amdhsa_fp16_overflow 0
		.amdhsa_tg_split 0
		.amdhsa_exception_fp_ieee_invalid_op 0
		.amdhsa_exception_fp_denorm_src 0
		.amdhsa_exception_fp_ieee_div_zero 0
		.amdhsa_exception_fp_ieee_overflow 0
		.amdhsa_exception_fp_ieee_underflow 0
		.amdhsa_exception_fp_ieee_inexact 0
		.amdhsa_exception_int_div_zero 0
	.end_amdhsa_kernel
	.section	.text._ZN2at6native12_GLOBAL__N_135GammaBetaBackwardCUDAKernelTemplateIN3c104HalfEfLj32ELj1ELj8ELb1ELb1ELb1EEEvllPKT_S7_PKT0_SA_PS5_SB_,"axG",@progbits,_ZN2at6native12_GLOBAL__N_135GammaBetaBackwardCUDAKernelTemplateIN3c104HalfEfLj32ELj1ELj8ELb1ELb1ELb1EEEvllPKT_S7_PKT0_SA_PS5_SB_,comdat
.Lfunc_end177:
	.size	_ZN2at6native12_GLOBAL__N_135GammaBetaBackwardCUDAKernelTemplateIN3c104HalfEfLj32ELj1ELj8ELb1ELb1ELb1EEEvllPKT_S7_PKT0_SA_PS5_SB_, .Lfunc_end177-_ZN2at6native12_GLOBAL__N_135GammaBetaBackwardCUDAKernelTemplateIN3c104HalfEfLj32ELj1ELj8ELb1ELb1ELb1EEEvllPKT_S7_PKT0_SA_PS5_SB_
                                        ; -- End function
	.section	.AMDGPU.csdata,"",@progbits
; Kernel info:
; codeLenInByte = 1096
; NumSgprs: 38
; NumVgprs: 43
; NumAgprs: 0
; TotalNumVgprs: 43
; ScratchSize: 0
; MemoryBound: 0
; FloatMode: 240
; IeeeMode: 1
; LDSByteSize: 0 bytes/workgroup (compile time only)
; SGPRBlocks: 4
; VGPRBlocks: 5
; NumSGPRsForWavesPerEU: 38
; NumVGPRsForWavesPerEU: 43
; AccumOffset: 44
; Occupancy: 8
; WaveLimiterHint : 0
; COMPUTE_PGM_RSRC2:SCRATCH_EN: 0
; COMPUTE_PGM_RSRC2:USER_SGPR: 2
; COMPUTE_PGM_RSRC2:TRAP_HANDLER: 0
; COMPUTE_PGM_RSRC2:TGID_X_EN: 1
; COMPUTE_PGM_RSRC2:TGID_Y_EN: 1
; COMPUTE_PGM_RSRC2:TGID_Z_EN: 0
; COMPUTE_PGM_RSRC2:TIDIG_COMP_CNT: 1
; COMPUTE_PGM_RSRC3_GFX90A:ACCUM_OFFSET: 10
; COMPUTE_PGM_RSRC3_GFX90A:TG_SPLIT: 0
	.section	.text._ZN2at6native12_GLOBAL__N_135GammaBetaBackwardCUDAKernelTemplateIN3c104HalfEfLj32ELj1ELj8ELb1ELb0ELb1EEEvllPKT_S7_PKT0_SA_PS5_SB_,"axG",@progbits,_ZN2at6native12_GLOBAL__N_135GammaBetaBackwardCUDAKernelTemplateIN3c104HalfEfLj32ELj1ELj8ELb1ELb0ELb1EEEvllPKT_S7_PKT0_SA_PS5_SB_,comdat
	.globl	_ZN2at6native12_GLOBAL__N_135GammaBetaBackwardCUDAKernelTemplateIN3c104HalfEfLj32ELj1ELj8ELb1ELb0ELb1EEEvllPKT_S7_PKT0_SA_PS5_SB_ ; -- Begin function _ZN2at6native12_GLOBAL__N_135GammaBetaBackwardCUDAKernelTemplateIN3c104HalfEfLj32ELj1ELj8ELb1ELb0ELb1EEEvllPKT_S7_PKT0_SA_PS5_SB_
	.p2align	8
	.type	_ZN2at6native12_GLOBAL__N_135GammaBetaBackwardCUDAKernelTemplateIN3c104HalfEfLj32ELj1ELj8ELb1ELb0ELb1EEEvllPKT_S7_PKT0_SA_PS5_SB_,@function
_ZN2at6native12_GLOBAL__N_135GammaBetaBackwardCUDAKernelTemplateIN3c104HalfEfLj32ELj1ELj8ELb1ELb0ELb1EEEvllPKT_S7_PKT0_SA_PS5_SB_: ; @_ZN2at6native12_GLOBAL__N_135GammaBetaBackwardCUDAKernelTemplateIN3c104HalfEfLj32ELj1ELj8ELb1ELb0ELb1EEEvllPKT_S7_PKT0_SA_PS5_SB_
; %bb.0:
	s_load_dwordx8 s[12:19], s[0:1], 0x0
	s_load_dwordx2 s[10:11], s[0:1], 0x28
	s_mov_b32 s8, s3
	s_lshl_b32 s3, s2, 5
	s_or_b32 s28, s3, 31
	s_mov_b32 s29, 0
	s_waitcnt lgkmcnt(0)
	v_mov_b64_e32 v[2:3], s[14:15]
	v_cmp_ge_i64_e32 vcc, s[28:29], v[2:3]
	s_lshl_b32 s28, s8, 3
	v_mov_b64_e32 v[2:3], s[12:13]
	v_cmp_lt_i64_e64 s[4:5], s[28:29], v[2:3]
	s_nop 1
	v_cndmask_b32_e64 v1, 0, 1, s[4:5]
	v_cmp_ne_u32_e64 s[4:5], 1, v1
	s_cbranch_vccz .LBB178_49
; %bb.1:
	s_and_b64 vcc, exec, s[4:5]
	v_mov_b32_e32 v4, 0
	s_cbranch_vccnz .LBB178_50
; %bb.2:
	v_mov_b32_e32 v3, 0
	v_bfe_u32 v64, v0, 10, 10
	s_load_dword s9, s[0:1], 0x44
	v_lshlrev_b32_e32 v26, 3, v64
	v_mov_b32_e32 v27, v3
	v_and_b32_e32 v1, 0x3ff, v0
	v_lshl_add_u64 v[4:5], v[26:27], 0, s[28:29]
	v_add_u32_e32 v2, s3, v1
	v_lshl_add_u64 v[6:7], v[4:5], 0, 7
	s_add_u32 s30, s0, 64
	v_cmp_gt_i64_e64 s[6:7], s[14:15], v[2:3]
	v_lshlrev_b64 v[28:29], 1, v[2:3]
	v_mul_lo_u32 v2, s15, v6
	v_mul_lo_u32 v8, s14, v7
	v_mad_u64_u32 v[6:7], s[22:23], s14, v6, 0
	s_addc_u32 s31, s1, 0
	s_waitcnt lgkmcnt(0)
	s_lshl_b32 s34, s9, 3
	v_add3_u32 v7, v7, v8, v2
	v_lshlrev_b64 v[6:7], 1, v[6:7]
	s_mul_i32 s9, s15, s34
	s_mul_hi_u32 s21, s14, s34
	v_lshl_add_u64 v[30:31], s[16:17], 0, v[6:7]
	s_add_i32 s23, s21, s9
	s_mul_i32 s22, s14, s34
	v_lshl_add_u64 v[32:33], s[18:19], 0, v[6:7]
	v_lshl_add_u64 v[6:7], v[4:5], 0, 6
	s_lshl_b64 s[38:39], s[22:23], 1
	v_mul_lo_u32 v2, s15, v6
	v_mul_lo_u32 v8, s14, v7
	v_mad_u64_u32 v[6:7], s[22:23], s14, v6, 0
	v_add3_u32 v7, v7, v8, v2
	v_lshlrev_b64 v[6:7], 1, v[6:7]
	v_lshl_add_u64 v[34:35], s[16:17], 0, v[6:7]
	v_lshl_add_u64 v[36:37], s[18:19], 0, v[6:7]
	v_lshl_add_u64 v[6:7], v[4:5], 0, 5
	v_mul_lo_u32 v2, s15, v6
	v_mul_lo_u32 v8, s14, v7
	v_mad_u64_u32 v[6:7], s[22:23], s14, v6, 0
	v_add3_u32 v7, v7, v8, v2
	v_lshlrev_b64 v[6:7], 1, v[6:7]
	v_lshl_add_u64 v[38:39], s[16:17], 0, v[6:7]
	v_lshl_add_u64 v[40:41], s[18:19], 0, v[6:7]
	v_lshl_add_u64 v[6:7], v[4:5], 0, 4
	;; [unrolled: 8-line block ×4, first 2 shown]
	v_mul_lo_u32 v2, s15, v6
	v_mul_lo_u32 v8, s14, v7
	v_mad_u64_u32 v[6:7], s[22:23], s14, v6, 0
	v_add3_u32 v7, v7, v8, v2
	v_lshlrev_b64 v[6:7], 1, v[6:7]
	v_lshl_add_u64 v[50:51], s[16:17], 0, v[6:7]
	v_lshl_add_u64 v[52:53], s[18:19], 0, v[6:7]
	v_mov_b64_e32 v[6:7], s[14:15]
	v_mad_u64_u32 v[6:7], s[22:23], s14, v4, v[6:7]
	v_mul_lo_u32 v2, s14, v5
	v_mul_lo_u32 v8, s15, v4
	v_mad_u64_u32 v[4:5], s[22:23], s14, v4, 0
	v_add3_u32 v7, v8, v7, v2
	v_add3_u32 v5, v5, v2, v8
	v_mbcnt_lo_u32_b32 v2, -1, 0
	v_mbcnt_hi_u32_b32 v2, -1, v2
	s_mov_b32 s20, 0
	v_lshlrev_b64 v[6:7], 1, v[6:7]
	v_lshlrev_b64 v[4:5], 1, v[4:5]
	v_lshlrev_b32_e32 v2, 2, v2
	s_mov_b32 s35, s20
	s_mov_b64 s[36:37], 7
	v_lshl_add_u64 v[54:55], s[16:17], 0, v[6:7]
	v_lshl_add_u64 v[56:57], s[18:19], 0, v[6:7]
	v_lshl_add_u64 v[58:59], s[16:17], 0, v[4:5]
	v_lshl_add_u64 v[60:61], s[18:19], 0, v[4:5]
	v_and_b32_e32 v65, 0x100, v2
	s_mov_b64 s[40:41], s[28:29]
	v_mov_b32_e32 v66, 0
.LBB178_3:                              ; =>This Inner Loop Header: Depth=1
	s_add_u32 s22, s28, s36
	s_addc_u32 s23, 0, s37
	v_mov_b64_e32 v[4:5], s[12:13]
	v_cmp_ge_i64_e32 vcc, s[22:23], v[4:5]
	v_lshl_add_u64 v[62:63], s[28:29], 0, v[26:27]
	s_cbranch_vccz .LBB178_25
; %bb.4:                                ;   in Loop: Header=BB178_3 Depth=1
	s_load_dword s9, s[30:31], 0xc
	v_mov_b32_e32 v67, 0
	s_waitcnt lgkmcnt(0)
	s_and_b32 s9, s9, 0xffff
	v_mad_u32_u24 v2, v64, s9, v1
	v_and_b32_e32 v2, 63, v2
	v_cmp_gt_u32_e32 vcc, 8, v2
	s_and_saveexec_b64 s[22:23], vcc
	s_cbranch_execz .LBB178_8
; %bb.5:                                ;   in Loop: Header=BB178_3 Depth=1
	v_lshl_add_u64 v[4:5], v[62:63], 0, v[2:3]
	v_cmp_gt_i64_e32 vcc, s[12:13], v[4:5]
	v_mov_b32_e32 v67, 0
	s_and_saveexec_b64 s[24:25], vcc
	s_cbranch_execz .LBB178_7
; %bb.6:                                ;   in Loop: Header=BB178_3 Depth=1
	v_lshl_add_u64 v[4:5], v[4:5], 2, s[10:11]
	global_load_dword v67, v[4:5], off
.LBB178_7:                              ;   in Loop: Header=BB178_3 Depth=1
	s_or_b64 exec, exec, s[24:25]
.LBB178_8:                              ;   in Loop: Header=BB178_3 Depth=1
	s_or_b64 exec, exec, s[22:23]
	s_mov_b32 s21, s20
	s_mov_b32 s22, s20
	;; [unrolled: 1-line block ×7, first 2 shown]
	v_mov_b64_e32 v[10:11], s[20:21]
	v_mov_b64_e32 v[16:17], s[26:27]
	v_cmp_gt_i64_e32 vcc, s[12:13], v[62:63]
	v_mov_b64_e32 v[12:13], s[22:23]
	v_mov_b64_e32 v[14:15], s[24:25]
	;; [unrolled: 1-line block ×3, first 2 shown]
	s_and_b64 s[42:43], s[6:7], vcc
	v_mov_b64_e32 v[22:23], v[14:15]
	v_mov_b64_e32 v[20:21], v[12:13]
	;; [unrolled: 1-line block ×3, first 2 shown]
	s_and_saveexec_b64 s[22:23], s[42:43]
	s_cbranch_execz .LBB178_10
; %bb.9:                                ;   in Loop: Header=BB178_3 Depth=1
	v_lshl_add_u64 v[4:5], v[58:59], 0, v[28:29]
	global_load_ushort v2, v[4:5], off
	v_lshl_add_u64 v[4:5], v[60:61], 0, v[28:29]
	global_load_ushort v10, v[4:5], off
	v_mov_b32_e32 v8, v3
	v_mov_b32_e32 v9, v3
	;; [unrolled: 1-line block ×13, first 2 shown]
	s_waitcnt vmcnt(1)
	v_cvt_f32_f16_e32 v2, v2
	v_mov_b64_e32 v[24:25], v[8:9]
	s_waitcnt vmcnt(0)
	v_cvt_f32_f16_e32 v10, v10
	v_mov_b64_e32 v[22:23], v[6:7]
	v_mov_b64_e32 v[20:21], v[4:5]
	;; [unrolled: 1-line block ×3, first 2 shown]
.LBB178_10:                             ;   in Loop: Header=BB178_3 Depth=1
	s_or_b64 exec, exec, s[22:23]
	v_lshl_add_u64 v[4:5], v[62:63], 0, 1
	v_cmp_gt_i64_e32 vcc, s[12:13], v[4:5]
	s_and_b64 s[24:25], s[6:7], vcc
	s_and_saveexec_b64 s[22:23], s[24:25]
	s_cbranch_execz .LBB178_12
; %bb.11:                               ;   in Loop: Header=BB178_3 Depth=1
	v_lshl_add_u64 v[4:5], v[54:55], 0, v[28:29]
	global_load_ushort v2, v[4:5], off
	v_lshl_add_u64 v[4:5], v[56:57], 0, v[28:29]
	global_load_ushort v4, v[4:5], off
	s_waitcnt vmcnt(1)
	v_cvt_f32_f16_e32 v19, v2
	s_waitcnt vmcnt(0)
	v_cvt_f32_f16_e32 v11, v4
.LBB178_12:                             ;   in Loop: Header=BB178_3 Depth=1
	s_or_b64 exec, exec, s[22:23]
	v_lshl_add_u64 v[4:5], v[62:63], 0, 2
	v_cmp_gt_i64_e32 vcc, s[12:13], v[4:5]
	s_and_b64 s[24:25], s[6:7], vcc
	s_and_saveexec_b64 s[22:23], s[24:25]
	s_cbranch_execz .LBB178_14
; %bb.13:                               ;   in Loop: Header=BB178_3 Depth=1
	v_lshl_add_u64 v[4:5], v[50:51], 0, v[28:29]
	global_load_ushort v2, v[4:5], off
	v_lshl_add_u64 v[4:5], v[52:53], 0, v[28:29]
	global_load_ushort v4, v[4:5], off
	s_waitcnt vmcnt(1)
	v_cvt_f32_f16_e32 v20, v2
	s_waitcnt vmcnt(0)
	v_cvt_f32_f16_e32 v12, v4
.LBB178_14:                             ;   in Loop: Header=BB178_3 Depth=1
	;; [unrolled: 16-line block ×7, first 2 shown]
	s_or_b64 exec, exec, s[22:23]
	s_waitcnt vmcnt(0)
	ds_bpermute_b32 v4, v65, v67 offset:4
	ds_bpermute_b32 v5, v65, v67 offset:8
	ds_bpermute_b32 v2, v65, v67
	v_mul_f32_e32 v8, v10, v18
	v_pk_mul_f32 v[10:11], v[10:11], v[18:19]
	v_pk_mul_f32 v[12:13], v[12:13], v[20:21]
	v_mov_b32_e32 v10, v11
	v_mov_b32_e32 v11, v12
	s_waitcnt lgkmcnt(1)
	v_pk_mul_f32 v[4:5], v[10:11], v[4:5]
	ds_bpermute_b32 v10, v65, v67 offset:12
	ds_bpermute_b32 v11, v65, v67 offset:16
	s_waitcnt lgkmcnt(2)
	v_fma_f32 v2, v8, v2, v66
	v_pk_mul_f32 v[8:9], v[14:15], v[22:23]
	v_add_f32_e32 v2, v2, v4
	v_add_f32_e32 v2, v2, v5
	v_mov_b32_e32 v4, v13
	v_mov_b32_e32 v5, v8
	s_waitcnt lgkmcnt(0)
	v_pk_mul_f32 v[4:5], v[4:5], v[10:11]
	ds_bpermute_b32 v10, v65, v67 offset:20
	ds_bpermute_b32 v11, v65, v67 offset:24
	v_pk_mul_f32 v[6:7], v[16:17], v[24:25]
	v_add_f32_e32 v2, v2, v4
	v_add_f32_e32 v7, v2, v5
	ds_bpermute_b32 v2, v65, v67 offset:28
	v_mov_b32_e32 v4, v9
	v_mov_b32_e32 v5, v6
	s_waitcnt lgkmcnt(1)
	v_pk_mul_f32 v[4:5], v[4:5], v[10:11]
	s_nop 0
	v_add_f32_e32 v4, v7, v4
	v_add_f32_e32 v4, v4, v5
	s_branch .LBB178_40
.LBB178_25:                             ;   in Loop: Header=BB178_3 Depth=1
                                        ; implicit-def: $vgpr4
                                        ; implicit-def: $vgpr10_vgpr11_vgpr12_vgpr13_vgpr14_vgpr15_vgpr16_vgpr17
                                        ; implicit-def: $vgpr18_vgpr19_vgpr20_vgpr21_vgpr22_vgpr23_vgpr24_vgpr25
                                        ; implicit-def: $vgpr2
	s_cbranch_execz .LBB178_40
; %bb.26:                               ;   in Loop: Header=BB178_3 Depth=1
	s_load_dword s9, s[30:31], 0x0
	v_mov_b32_e32 v67, 0
	s_waitcnt lgkmcnt(0)
	s_cmp_lt_u32 s2, s9
	s_cselect_b32 s9, 12, 18
	s_add_u32 s22, s30, s9
	s_addc_u32 s23, s31, 0
	global_load_ushort v2, v3, s[22:23]
	s_waitcnt vmcnt(0)
	v_mad_u32_u24 v2, v64, v2, v1
	v_and_b32_e32 v2, 63, v2
	v_cmp_gt_u32_e32 vcc, 8, v2
	s_and_saveexec_b64 s[22:23], vcc
	s_cbranch_execz .LBB178_30
; %bb.27:                               ;   in Loop: Header=BB178_3 Depth=1
	v_lshl_add_u64 v[4:5], v[62:63], 0, v[2:3]
	v_cmp_gt_i64_e32 vcc, s[12:13], v[4:5]
	v_mov_b32_e32 v67, 0
	s_and_saveexec_b64 s[24:25], vcc
	s_cbranch_execz .LBB178_29
; %bb.28:                               ;   in Loop: Header=BB178_3 Depth=1
	v_lshl_add_u64 v[4:5], v[4:5], 2, s[10:11]
	global_load_dword v67, v[4:5], off
.LBB178_29:                             ;   in Loop: Header=BB178_3 Depth=1
	s_or_b64 exec, exec, s[24:25]
.LBB178_30:                             ;   in Loop: Header=BB178_3 Depth=1
	s_or_b64 exec, exec, s[22:23]
	s_mov_b32 s21, s20
	s_mov_b32 s22, s20
	;; [unrolled: 1-line block ×7, first 2 shown]
	v_mov_b64_e32 v[10:11], s[20:21]
	v_mov_b64_e32 v[16:17], s[26:27]
	;; [unrolled: 1-line block ×8, first 2 shown]
	s_and_saveexec_b64 s[22:23], s[6:7]
	s_cbranch_execnz .LBB178_42
; %bb.31:                               ;   in Loop: Header=BB178_3 Depth=1
	s_or_b64 exec, exec, s[22:23]
	s_and_saveexec_b64 s[22:23], s[6:7]
	s_cbranch_execnz .LBB178_43
.LBB178_32:                             ;   in Loop: Header=BB178_3 Depth=1
	s_or_b64 exec, exec, s[22:23]
	s_and_saveexec_b64 s[22:23], s[6:7]
	s_cbranch_execnz .LBB178_44
.LBB178_33:                             ;   in Loop: Header=BB178_3 Depth=1
	s_or_b64 exec, exec, s[22:23]
	s_and_saveexec_b64 s[22:23], s[6:7]
	s_cbranch_execnz .LBB178_45
.LBB178_34:                             ;   in Loop: Header=BB178_3 Depth=1
	s_or_b64 exec, exec, s[22:23]
	s_and_saveexec_b64 s[22:23], s[6:7]
	s_cbranch_execnz .LBB178_46
.LBB178_35:                             ;   in Loop: Header=BB178_3 Depth=1
	s_or_b64 exec, exec, s[22:23]
	s_and_saveexec_b64 s[22:23], s[6:7]
	s_cbranch_execnz .LBB178_47
.LBB178_36:                             ;   in Loop: Header=BB178_3 Depth=1
	s_or_b64 exec, exec, s[22:23]
	s_and_saveexec_b64 s[22:23], s[6:7]
	s_cbranch_execnz .LBB178_48
.LBB178_37:                             ;   in Loop: Header=BB178_3 Depth=1
	s_or_b64 exec, exec, s[22:23]
	s_and_saveexec_b64 s[22:23], s[6:7]
	s_cbranch_execz .LBB178_39
.LBB178_38:                             ;   in Loop: Header=BB178_3 Depth=1
	v_lshl_add_u64 v[4:5], v[30:31], 0, v[28:29]
	global_load_ushort v2, v[4:5], off
	v_lshl_add_u64 v[4:5], v[32:33], 0, v[28:29]
	global_load_ushort v4, v[4:5], off
	s_waitcnt vmcnt(1)
	v_cvt_f32_f16_e32 v25, v2
	s_waitcnt vmcnt(0)
	v_cvt_f32_f16_e32 v17, v4
.LBB178_39:                             ;   in Loop: Header=BB178_3 Depth=1
	s_or_b64 exec, exec, s[22:23]
	s_waitcnt vmcnt(0)
	ds_bpermute_b32 v4, v65, v67 offset:4
	ds_bpermute_b32 v5, v65, v67 offset:8
	ds_bpermute_b32 v2, v65, v67
	v_mul_f32_e32 v8, v10, v18
	v_pk_mul_f32 v[10:11], v[10:11], v[18:19]
	v_pk_mul_f32 v[12:13], v[12:13], v[20:21]
	v_mov_b32_e32 v10, v11
	v_mov_b32_e32 v11, v12
	s_waitcnt lgkmcnt(1)
	v_pk_mul_f32 v[4:5], v[10:11], v[4:5]
	ds_bpermute_b32 v10, v65, v67 offset:12
	ds_bpermute_b32 v11, v65, v67 offset:16
	s_waitcnt lgkmcnt(2)
	v_fmac_f32_e32 v66, v8, v2
	v_pk_mul_f32 v[8:9], v[14:15], v[22:23]
	v_add_f32_e32 v2, v66, v4
	v_add_f32_e32 v2, v2, v5
	v_mov_b32_e32 v4, v13
	v_mov_b32_e32 v5, v8
	s_waitcnt lgkmcnt(0)
	v_pk_mul_f32 v[4:5], v[4:5], v[10:11]
	ds_bpermute_b32 v10, v65, v67 offset:20
	ds_bpermute_b32 v11, v65, v67 offset:24
	v_pk_mul_f32 v[6:7], v[16:17], v[24:25]
	v_add_f32_e32 v2, v2, v4
	v_add_f32_e32 v7, v2, v5
	v_mov_b32_e32 v4, v9
	v_mov_b32_e32 v5, v6
	s_waitcnt lgkmcnt(0)
	v_pk_mul_f32 v[4:5], v[4:5], v[10:11]
	ds_bpermute_b32 v2, v65, v67 offset:28
	v_add_f32_e32 v4, v7, v4
	v_add_f32_e32 v4, v4, v5
.LBB178_40:                             ;   in Loop: Header=BB178_3 Depth=1
	s_add_u32 s40, s40, s34
	s_addc_u32 s41, s41, 0
	v_mov_b64_e32 v[6:7], s[12:13]
	v_mul_f32_e32 v5, v25, v17
	s_add_u32 s36, s36, s34
	v_cmp_lt_i64_e32 vcc, s[40:41], v[6:7]
	s_waitcnt lgkmcnt(0)
	v_fmac_f32_e32 v4, v5, v2
	v_lshl_add_u64 v[30:31], v[30:31], 0, s[38:39]
	v_lshl_add_u64 v[32:33], v[32:33], 0, s[38:39]
	;; [unrolled: 1-line block ×17, first 2 shown]
	s_addc_u32 s37, s37, 0
	s_cbranch_vccz .LBB178_50
; %bb.41:                               ;   in Loop: Header=BB178_3 Depth=1
	v_mov_b32_e32 v66, v4
	s_branch .LBB178_3
.LBB178_42:                             ;   in Loop: Header=BB178_3 Depth=1
	v_lshl_add_u64 v[4:5], v[58:59], 0, v[28:29]
	global_load_ushort v2, v[4:5], off
	v_lshl_add_u64 v[4:5], v[60:61], 0, v[28:29]
	global_load_ushort v10, v[4:5], off
	v_mov_b32_e32 v8, v3
	v_mov_b32_e32 v9, v3
	;; [unrolled: 1-line block ×13, first 2 shown]
	s_waitcnt vmcnt(1)
	v_cvt_f32_f16_e32 v2, v2
	v_mov_b64_e32 v[24:25], v[8:9]
	s_waitcnt vmcnt(0)
	v_cvt_f32_f16_e32 v10, v10
	v_mov_b64_e32 v[22:23], v[6:7]
	v_mov_b64_e32 v[20:21], v[4:5]
	v_mov_b64_e32 v[18:19], v[2:3]
	s_or_b64 exec, exec, s[22:23]
	s_and_saveexec_b64 s[22:23], s[6:7]
	s_cbranch_execz .LBB178_32
.LBB178_43:                             ;   in Loop: Header=BB178_3 Depth=1
	v_lshl_add_u64 v[4:5], v[54:55], 0, v[28:29]
	global_load_ushort v2, v[4:5], off
	v_lshl_add_u64 v[4:5], v[56:57], 0, v[28:29]
	global_load_ushort v4, v[4:5], off
	s_waitcnt vmcnt(1)
	v_cvt_f32_f16_e32 v19, v2
	s_waitcnt vmcnt(0)
	v_cvt_f32_f16_e32 v11, v4
	s_or_b64 exec, exec, s[22:23]
	s_and_saveexec_b64 s[22:23], s[6:7]
	s_cbranch_execz .LBB178_33
.LBB178_44:                             ;   in Loop: Header=BB178_3 Depth=1
	v_lshl_add_u64 v[4:5], v[50:51], 0, v[28:29]
	global_load_ushort v2, v[4:5], off
	v_lshl_add_u64 v[4:5], v[52:53], 0, v[28:29]
	global_load_ushort v4, v[4:5], off
	s_waitcnt vmcnt(1)
	v_cvt_f32_f16_e32 v20, v2
	s_waitcnt vmcnt(0)
	v_cvt_f32_f16_e32 v12, v4
	s_or_b64 exec, exec, s[22:23]
	s_and_saveexec_b64 s[22:23], s[6:7]
	s_cbranch_execz .LBB178_34
.LBB178_45:                             ;   in Loop: Header=BB178_3 Depth=1
	v_lshl_add_u64 v[4:5], v[46:47], 0, v[28:29]
	global_load_ushort v2, v[4:5], off
	v_lshl_add_u64 v[4:5], v[48:49], 0, v[28:29]
	global_load_ushort v4, v[4:5], off
	s_waitcnt vmcnt(1)
	v_cvt_f32_f16_e32 v21, v2
	s_waitcnt vmcnt(0)
	v_cvt_f32_f16_e32 v13, v4
	s_or_b64 exec, exec, s[22:23]
	s_and_saveexec_b64 s[22:23], s[6:7]
	s_cbranch_execz .LBB178_35
.LBB178_46:                             ;   in Loop: Header=BB178_3 Depth=1
	v_lshl_add_u64 v[4:5], v[42:43], 0, v[28:29]
	global_load_ushort v2, v[4:5], off
	v_lshl_add_u64 v[4:5], v[44:45], 0, v[28:29]
	global_load_ushort v4, v[4:5], off
	s_waitcnt vmcnt(1)
	v_cvt_f32_f16_e32 v22, v2
	s_waitcnt vmcnt(0)
	v_cvt_f32_f16_e32 v14, v4
	s_or_b64 exec, exec, s[22:23]
	s_and_saveexec_b64 s[22:23], s[6:7]
	s_cbranch_execz .LBB178_36
.LBB178_47:                             ;   in Loop: Header=BB178_3 Depth=1
	v_lshl_add_u64 v[4:5], v[38:39], 0, v[28:29]
	global_load_ushort v2, v[4:5], off
	v_lshl_add_u64 v[4:5], v[40:41], 0, v[28:29]
	global_load_ushort v4, v[4:5], off
	s_waitcnt vmcnt(1)
	v_cvt_f32_f16_e32 v23, v2
	s_waitcnt vmcnt(0)
	v_cvt_f32_f16_e32 v15, v4
	s_or_b64 exec, exec, s[22:23]
	s_and_saveexec_b64 s[22:23], s[6:7]
	s_cbranch_execz .LBB178_37
.LBB178_48:                             ;   in Loop: Header=BB178_3 Depth=1
	v_lshl_add_u64 v[4:5], v[34:35], 0, v[28:29]
	global_load_ushort v2, v[4:5], off
	v_lshl_add_u64 v[4:5], v[36:37], 0, v[28:29]
	global_load_ushort v4, v[4:5], off
	s_waitcnt vmcnt(1)
	v_cvt_f32_f16_e32 v24, v2
	s_waitcnt vmcnt(0)
	v_cvt_f32_f16_e32 v16, v4
	s_or_b64 exec, exec, s[22:23]
	s_and_saveexec_b64 s[22:23], s[6:7]
	s_cbranch_execnz .LBB178_38
	s_branch .LBB178_39
.LBB178_49:
                                        ; implicit-def: $vgpr4
	s_load_dwordx2 s[6:7], s[0:1], 0x30
	s_branch .LBB178_51
.LBB178_50:
	s_load_dwordx2 s[6:7], s[0:1], 0x30
	s_cbranch_execnz .LBB178_83
.LBB178_51:
	s_and_b64 vcc, exec, s[4:5]
	v_mov_b32_e32 v4, 0
	s_cbranch_vccnz .LBB178_83
; %bb.52:
	v_and_b32_e32 v1, 0x3ff, v0
	v_add_u32_e32 v2, s3, v1
	v_mov_b32_e32 v3, 0
	v_bfe_u32 v92, v0, 10, 10
	v_lshlrev_b64 v[28:29], 1, v[2:3]
	v_lshlrev_b32_e32 v2, 4, v92
	v_lshl_add_u64 v[4:5], s[28:29], 1, v[2:3]
	v_lshl_add_u64 v[6:7], v[4:5], 0, 2
	v_mov_b64_e32 v[8:9], s[16:17]
	v_lshl_add_u64 v[10:11], v[4:5], 0, 4
	v_lshl_add_u64 v[12:13], v[4:5], 0, 6
	;; [unrolled: 1-line block ×6, first 2 shown]
	v_mad_u64_u32 v[30:31], s[4:5], s14, v6, v[8:9]
	v_mad_u64_u32 v[32:33], s[4:5], s14, v10, v[8:9]
	;; [unrolled: 1-line block ×7, first 2 shown]
	v_mov_b64_e32 v[8:9], s[18:19]
	v_lshlrev_b32_e32 v26, 3, v92
	v_mov_b32_e32 v27, v3
	v_mul_lo_u32 v2, s14, v7
	v_mul_lo_u32 v7, s15, v6
	v_mad_u64_u32 v[44:45], s[4:5], s14, v6, v[8:9]
	v_add3_u32 v31, v7, v31, v2
	v_mul_lo_u32 v5, s14, v5
	v_mul_lo_u32 v25, s15, v4
	v_add3_u32 v45, v7, v45, v2
	v_lshl_add_u64 v[6:7], v[26:27], 0, s[28:29]
	v_mad_u64_u32 v[56:57], s[4:5], s14, v4, v[8:9]
	v_add3_u32 v43, v25, v43, v5
	v_add3_u32 v57, v25, v57, v5
	v_lshl_add_u64 v[4:5], v[6:7], 0, 7
	v_mad_u64_u32 v[46:47], s[4:5], s14, v10, v[8:9]
	v_mad_u64_u32 v[48:49], s[4:5], s14, v12, v[8:9]
	;; [unrolled: 1-line block ×5, first 2 shown]
	v_mul_lo_u32 v8, s15, v4
	v_mul_lo_u32 v9, s14, v5
	v_mad_u64_u32 v[4:5], s[4:5], s14, v4, 0
	v_mul_lo_u32 v11, s14, v11
	v_mul_lo_u32 v20, s15, v10
	v_add3_u32 v5, v5, v9, v8
	v_lshl_add_u64 v[8:9], v[6:7], 0, 6
	v_add3_u32 v33, v20, v33, v11
	v_add3_u32 v47, v20, v47, v11
	v_mul_lo_u32 v10, s15, v8
	v_mul_lo_u32 v11, s14, v9
	v_mad_u64_u32 v[8:9], s[4:5], s14, v8, 0
	v_mul_lo_u32 v13, s14, v13
	v_mul_lo_u32 v21, s15, v12
	v_add3_u32 v9, v9, v11, v10
	v_lshl_add_u64 v[10:11], v[6:7], 0, 5
	v_add3_u32 v35, v21, v35, v13
	v_add3_u32 v49, v21, v49, v13
	;; [unrolled: 9-line block ×4, first 2 shown]
	v_mul_lo_u32 v16, s15, v14
	v_mul_lo_u32 v17, s14, v15
	v_mad_u64_u32 v[14:15], s[4:5], s14, v14, 0
	v_mul_lo_u32 v19, s14, v19
	v_mul_lo_u32 v24, s15, v18
	v_add3_u32 v15, v15, v17, v16
	v_lshl_add_u64 v[16:17], v[6:7], 0, 2
	s_load_dword s3, s[0:1], 0x44
	v_add3_u32 v41, v24, v41, v19
	v_add3_u32 v55, v24, v55, v19
	v_mul_lo_u32 v18, s15, v16
	v_mul_lo_u32 v19, s14, v17
	v_mad_u64_u32 v[16:17], s[4:5], s14, v16, 0
	v_lshlrev_b64 v[4:5], 1, v[4:5]
	v_add3_u32 v17, v17, v19, v18
	v_mov_b64_e32 v[18:19], s[14:15]
	v_lshl_add_u64 v[62:63], s[16:17], 0, v[4:5]
	v_lshl_add_u64 v[64:65], s[18:19], 0, v[4:5]
	v_lshlrev_b64 v[4:5], 1, v[8:9]
	v_mul_lo_u32 v2, s15, v6
	v_mad_u64_u32 v[18:19], s[4:5], s14, v6, v[18:19]
	v_mul_lo_u32 v20, s14, v7
	v_mad_u64_u32 v[6:7], s[4:5], s14, v6, 0
	v_lshl_add_u64 v[66:67], s[16:17], 0, v[4:5]
	v_lshl_add_u64 v[68:69], s[18:19], 0, v[4:5]
	v_lshlrev_b64 v[4:5], 1, v[10:11]
	s_add_u32 s4, s0, 64
	v_lshl_add_u64 v[70:71], s[16:17], 0, v[4:5]
	v_lshl_add_u64 v[72:73], s[18:19], 0, v[4:5]
	v_lshlrev_b64 v[4:5], 1, v[12:13]
	v_add3_u32 v7, v7, v20, v2
	v_add3_u32 v19, v2, v19, v20
	s_addc_u32 s5, s1, 0
	s_waitcnt lgkmcnt(0)
	s_lshl_b32 s30, s3, 3
	v_lshl_add_u64 v[74:75], s[16:17], 0, v[4:5]
	v_lshl_add_u64 v[76:77], s[18:19], 0, v[4:5]
	v_lshlrev_b64 v[4:5], 1, v[14:15]
	v_mbcnt_lo_u32_b32 v2, -1, 0
	s_mul_i32 s3, s15, s30
	s_mul_hi_u32 s9, s14, s30
	v_lshl_add_u64 v[78:79], s[16:17], 0, v[4:5]
	v_lshl_add_u64 v[80:81], s[18:19], 0, v[4:5]
	v_lshlrev_b64 v[4:5], 1, v[16:17]
	v_mbcnt_hi_u32_b32 v2, -1, v2
	s_mov_b32 s20, 0
	s_add_i32 s23, s9, s3
	s_mul_i32 s22, s14, s30
	v_lshlrev_b64 v[6:7], 1, v[6:7]
	v_lshl_add_u64 v[82:83], s[16:17], 0, v[4:5]
	v_lshl_add_u64 v[84:85], s[18:19], 0, v[4:5]
	v_lshlrev_b64 v[4:5], 1, v[18:19]
	v_lshlrev_b32_e32 v2, 2, v2
	s_mov_b32 s31, s20
	s_lshl_b64 s[34:35], s[22:23], 1
	v_lshl_add_u64 v[58:59], s[16:17], 0, v[6:7]
	v_lshl_add_u64 v[60:61], s[18:19], 0, v[6:7]
	s_mov_b64 s[36:37], 7
	v_lshl_add_u64 v[86:87], s[16:17], 0, v[4:5]
	v_lshl_add_u64 v[88:89], s[18:19], 0, v[4:5]
	v_and_b32_e32 v93, 0x100, v2
	s_mov_b64 s[16:17], s[28:29]
	v_mov_b32_e32 v94, 0
.LBB178_53:                             ; =>This Inner Loop Header: Depth=1
	s_add_u32 s18, s28, s36
	s_addc_u32 s19, 0, s37
	v_mov_b64_e32 v[4:5], s[12:13]
	v_cmp_ge_i64_e32 vcc, s[18:19], v[4:5]
	v_lshl_add_u64 v[90:91], s[28:29], 0, v[26:27]
	s_cbranch_vccz .LBB178_75
; %bb.54:                               ;   in Loop: Header=BB178_53 Depth=1
	s_load_dword s3, s[4:5], 0xc
	v_mov_b32_e32 v95, 0
	s_waitcnt lgkmcnt(0)
	s_and_b32 s3, s3, 0xffff
	v_mad_u32_u24 v2, v92, s3, v1
	v_and_b32_e32 v2, 63, v2
	v_cmp_gt_u32_e32 vcc, 8, v2
	s_and_saveexec_b64 s[18:19], vcc
	s_cbranch_execz .LBB178_58
; %bb.55:                               ;   in Loop: Header=BB178_53 Depth=1
	v_lshl_add_u64 v[4:5], v[90:91], 0, v[2:3]
	v_cmp_gt_i64_e32 vcc, s[12:13], v[4:5]
	v_mov_b32_e32 v95, 0
	s_and_saveexec_b64 s[22:23], vcc
	s_cbranch_execz .LBB178_57
; %bb.56:                               ;   in Loop: Header=BB178_53 Depth=1
	v_lshl_add_u64 v[4:5], v[4:5], 2, s[10:11]
	global_load_dword v95, v[4:5], off
.LBB178_57:                             ;   in Loop: Header=BB178_53 Depth=1
	s_or_b64 exec, exec, s[22:23]
.LBB178_58:                             ;   in Loop: Header=BB178_53 Depth=1
	s_or_b64 exec, exec, s[18:19]
	s_mov_b32 s21, s20
	s_mov_b32 s22, s20
	;; [unrolled: 1-line block ×7, first 2 shown]
	v_mov_b64_e32 v[10:11], s[20:21]
	v_mov_b64_e32 v[16:17], s[26:27]
	;; [unrolled: 1-line block ×5, first 2 shown]
	v_cmp_gt_i64_e32 vcc, s[12:13], v[90:91]
	v_mov_b64_e32 v[22:23], v[14:15]
	v_mov_b64_e32 v[20:21], v[12:13]
	;; [unrolled: 1-line block ×3, first 2 shown]
	s_and_saveexec_b64 s[18:19], vcc
	s_cbranch_execz .LBB178_60
; %bb.59:                               ;   in Loop: Header=BB178_53 Depth=1
	v_lshl_add_u64 v[4:5], v[58:59], 0, v[28:29]
	global_load_ushort v2, v[4:5], off
	v_lshl_add_u64 v[4:5], v[60:61], 0, v[28:29]
	global_load_ushort v10, v[4:5], off
	v_mov_b32_e32 v8, v3
	v_mov_b32_e32 v9, v3
	;; [unrolled: 1-line block ×13, first 2 shown]
	s_waitcnt vmcnt(1)
	v_cvt_f32_f16_e32 v2, v2
	v_mov_b64_e32 v[24:25], v[8:9]
	s_waitcnt vmcnt(0)
	v_cvt_f32_f16_e32 v10, v10
	v_mov_b64_e32 v[22:23], v[6:7]
	v_mov_b64_e32 v[20:21], v[4:5]
	;; [unrolled: 1-line block ×3, first 2 shown]
.LBB178_60:                             ;   in Loop: Header=BB178_53 Depth=1
	s_or_b64 exec, exec, s[18:19]
	v_lshl_add_u64 v[4:5], v[90:91], 0, 1
	v_cmp_gt_i64_e32 vcc, s[12:13], v[4:5]
	s_and_saveexec_b64 s[18:19], vcc
	s_cbranch_execz .LBB178_62
; %bb.61:                               ;   in Loop: Header=BB178_53 Depth=1
	v_lshl_add_u64 v[4:5], v[86:87], 0, v[28:29]
	global_load_ushort v2, v[4:5], off
	v_lshl_add_u64 v[4:5], v[88:89], 0, v[28:29]
	global_load_ushort v4, v[4:5], off
	s_waitcnt vmcnt(1)
	v_cvt_f32_f16_e32 v19, v2
	s_waitcnt vmcnt(0)
	v_cvt_f32_f16_e32 v11, v4
.LBB178_62:                             ;   in Loop: Header=BB178_53 Depth=1
	s_or_b64 exec, exec, s[18:19]
	v_lshl_add_u64 v[4:5], v[90:91], 0, 2
	v_cmp_gt_i64_e32 vcc, s[12:13], v[4:5]
	s_and_saveexec_b64 s[18:19], vcc
	s_cbranch_execz .LBB178_64
; %bb.63:                               ;   in Loop: Header=BB178_53 Depth=1
	v_lshl_add_u64 v[4:5], v[82:83], 0, v[28:29]
	global_load_ushort v2, v[4:5], off
	v_lshl_add_u64 v[4:5], v[84:85], 0, v[28:29]
	global_load_ushort v4, v[4:5], off
	s_waitcnt vmcnt(1)
	v_cvt_f32_f16_e32 v20, v2
	s_waitcnt vmcnt(0)
	v_cvt_f32_f16_e32 v12, v4
.LBB178_64:                             ;   in Loop: Header=BB178_53 Depth=1
	;; [unrolled: 15-line block ×7, first 2 shown]
	s_or_b64 exec, exec, s[18:19]
	s_waitcnt vmcnt(0)
	ds_bpermute_b32 v4, v93, v95
	ds_bpermute_b32 v5, v93, v95 offset:4
	v_pk_mul_f32 v[8:9], v[14:15], v[22:23]
	ds_bpermute_b32 v14, v93, v95 offset:8
	ds_bpermute_b32 v15, v93, v95 offset:12
	v_pk_mul_f32 v[10:11], v[10:11], v[18:19]
	v_pk_mul_f32 v[12:13], v[12:13], v[20:21]
	s_waitcnt lgkmcnt(2)
	v_pk_mul_f32 v[4:5], v[10:11], v[4:5]
	ds_bpermute_b32 v10, v93, v95 offset:16
	ds_bpermute_b32 v11, v93, v95 offset:20
	v_add_f32_e32 v2, v94, v4
	v_add_f32_e32 v2, v2, v5
	s_waitcnt lgkmcnt(2)
	v_pk_mul_f32 v[4:5], v[12:13], v[14:15]
	ds_bpermute_b32 v12, v93, v95 offset:24
	ds_bpermute_b32 v13, v93, v95 offset:28
	v_add_f32_e32 v2, v2, v4
	v_add_f32_e32 v2, v2, v5
	s_waitcnt lgkmcnt(2)
	v_pk_mul_f32 v[4:5], v[8:9], v[10:11]
	v_pk_mul_f32 v[6:7], v[16:17], v[24:25]
	v_add_f32_e32 v2, v2, v4
	v_add_f32_e32 v2, v2, v5
	s_waitcnt lgkmcnt(0)
	v_pk_mul_f32 v[4:5], v[6:7], v[12:13]
	s_nop 0
	v_add_f32_e32 v2, v2, v4
	v_add_f32_e32 v4, v2, v5
	s_branch .LBB178_81
.LBB178_75:                             ;   in Loop: Header=BB178_53 Depth=1
                                        ; implicit-def: $vgpr4
	s_cbranch_execz .LBB178_81
; %bb.76:                               ;   in Loop: Header=BB178_53 Depth=1
	s_load_dword s3, s[4:5], 0x0
	v_mov_b32_e32 v6, 0
	s_waitcnt lgkmcnt(0)
	s_cmp_lt_u32 s2, s3
	s_cselect_b32 s3, 12, 18
	s_add_u32 s18, s4, s3
	s_addc_u32 s19, s5, 0
	global_load_ushort v2, v3, s[18:19]
	s_waitcnt vmcnt(0)
	v_mad_u32_u24 v2, v92, v2, v1
	v_and_b32_e32 v2, 63, v2
	v_cmp_gt_u32_e32 vcc, 8, v2
	s_and_saveexec_b64 s[18:19], vcc
	s_cbranch_execz .LBB178_80
; %bb.77:                               ;   in Loop: Header=BB178_53 Depth=1
	v_lshl_add_u64 v[4:5], v[90:91], 0, v[2:3]
	v_cmp_gt_i64_e32 vcc, s[12:13], v[4:5]
	v_mov_b32_e32 v6, 0
	s_and_saveexec_b64 s[22:23], vcc
	s_cbranch_execz .LBB178_79
; %bb.78:                               ;   in Loop: Header=BB178_53 Depth=1
	v_lshl_add_u64 v[4:5], v[4:5], 2, s[10:11]
	global_load_dword v6, v[4:5], off
.LBB178_79:                             ;   in Loop: Header=BB178_53 Depth=1
	s_or_b64 exec, exec, s[22:23]
.LBB178_80:                             ;   in Loop: Header=BB178_53 Depth=1
	s_or_b64 exec, exec, s[18:19]
	v_lshl_add_u64 v[4:5], v[58:59], 0, v[28:29]
	global_load_ushort v2, v[4:5], off
	v_lshl_add_u64 v[4:5], v[60:61], 0, v[28:29]
	global_load_ushort v7, v[4:5], off
	v_lshl_add_u64 v[4:5], v[30:31], 0, v[28:29]
	global_load_ushort v8, v[4:5], off
	v_lshl_add_u64 v[4:5], v[44:45], 0, v[28:29]
	global_load_ushort v9, v[4:5], off
	v_lshl_add_u64 v[4:5], v[32:33], 0, v[28:29]
	global_load_ushort v10, v[4:5], off
	v_lshl_add_u64 v[4:5], v[46:47], 0, v[28:29]
	global_load_ushort v11, v[4:5], off
	v_lshl_add_u64 v[4:5], v[34:35], 0, v[28:29]
	global_load_ushort v12, v[4:5], off
	v_lshl_add_u64 v[4:5], v[48:49], 0, v[28:29]
	global_load_ushort v13, v[4:5], off
	v_lshl_add_u64 v[4:5], v[36:37], 0, v[28:29]
	global_load_ushort v14, v[4:5], off
	v_lshl_add_u64 v[4:5], v[50:51], 0, v[28:29]
	global_load_ushort v15, v[4:5], off
	v_lshl_add_u64 v[4:5], v[38:39], 0, v[28:29]
	global_load_ushort v16, v[4:5], off
	v_lshl_add_u64 v[4:5], v[52:53], 0, v[28:29]
	global_load_ushort v17, v[4:5], off
	v_lshl_add_u64 v[4:5], v[40:41], 0, v[28:29]
	global_load_ushort v18, v[4:5], off
	v_lshl_add_u64 v[4:5], v[54:55], 0, v[28:29]
	global_load_ushort v19, v[4:5], off
	v_lshl_add_u64 v[4:5], v[42:43], 0, v[28:29]
	global_load_ushort v20, v[4:5], off
	v_lshl_add_u64 v[4:5], v[56:57], 0, v[28:29]
	global_load_ushort v4, v[4:5], off
	s_waitcnt vmcnt(16)
	ds_bpermute_b32 v5, v93, v6
	ds_bpermute_b32 v21, v93, v6 offset:4
	ds_bpermute_b32 v22, v93, v6 offset:8
	ds_bpermute_b32 v23, v93, v6 offset:12
	ds_bpermute_b32 v24, v93, v6 offset:16
	ds_bpermute_b32 v25, v93, v6 offset:20
	ds_bpermute_b32 v90, v93, v6 offset:24
	ds_bpermute_b32 v6, v93, v6 offset:28
	s_waitcnt vmcnt(15)
	v_cvt_f32_f16_e32 v2, v2
	s_waitcnt vmcnt(14)
	v_cvt_f32_f16_e32 v7, v7
	;; [unrolled: 2-line block ×4, first 2 shown]
	v_mul_f32_e32 v2, v2, v7
	s_waitcnt vmcnt(11)
	v_cvt_f32_f16_e32 v10, v10
	s_waitcnt lgkmcnt(7)
	v_fmac_f32_e32 v94, v2, v5
	s_waitcnt vmcnt(10)
	v_cvt_f32_f16_e32 v11, v11
	v_mul_f32_e32 v7, v8, v9
	s_waitcnt vmcnt(9)
	v_cvt_f32_f16_e32 v12, v12
	s_waitcnt lgkmcnt(6)
	v_fmac_f32_e32 v94, v7, v21
	s_waitcnt vmcnt(8)
	v_cvt_f32_f16_e32 v13, v13
	;; [unrolled: 7-line block ×6, first 2 shown]
	v_mul_f32_e32 v12, v18, v19
	s_waitcnt lgkmcnt(1)
	v_fmac_f32_e32 v94, v12, v90
	v_mul_f32_e32 v2, v20, v4
	s_waitcnt lgkmcnt(0)
	v_fmac_f32_e32 v94, v2, v6
	v_mov_b32_e32 v4, v94
.LBB178_81:                             ;   in Loop: Header=BB178_53 Depth=1
	s_add_u32 s16, s16, s30
	s_addc_u32 s17, s17, 0
	v_mov_b64_e32 v[6:7], s[12:13]
	s_add_u32 s36, s36, s30
	v_cmp_ge_i64_e32 vcc, s[16:17], v[6:7]
	v_lshl_add_u64 v[26:27], v[26:27], 0, s[30:31]
	v_lshl_add_u64 v[30:31], v[30:31], 0, s[34:35]
	;; [unrolled: 1-line block ×31, first 2 shown]
	s_addc_u32 s37, s37, 0
	s_cbranch_vccnz .LBB178_83
; %bb.82:                               ;   in Loop: Header=BB178_53 Depth=1
	v_mov_b32_e32 v94, v4
	s_branch .LBB178_53
.LBB178_83:
	s_mov_b32 s3, 0
	s_lshl_b64 s[2:3], s[2:3], 5
	v_and_b32_e32 v1, 0x3ff, v0
	v_or_b32_e32 v2, s2, v1
	v_mov_b32_e32 v3, s3
	s_waitcnt lgkmcnt(0)
	s_cmp_lg_u64 s[6:7], 0
	v_cmp_gt_i64_e32 vcc, s[14:15], v[2:3]
	s_cselect_b64 s[2:3], -1, 0
	s_and_b64 s[2:3], vcc, s[2:3]
	s_and_saveexec_b64 s[4:5], s[2:3]
	s_cbranch_execz .LBB178_85
; %bb.84:
	s_load_dword s0, s[0:1], 0x4c
	v_bfe_u32 v0, v0, 10, 10
	v_mov_b32_e32 v1, 0
	v_mov_b32_e32 v5, s8
	v_cvt_f16_f32_e32 v4, v4
	s_waitcnt lgkmcnt(0)
	s_lshr_b32 s0, s0, 16
	v_mad_u64_u32 v[0:1], s[0:1], s0, v5, v[0:1]
	v_mul_lo_u32 v5, v1, s14
	v_mul_lo_u32 v6, v0, s15
	v_mad_u64_u32 v[0:1], s[0:1], v0, s14, 0
	v_add3_u32 v1, v1, v6, v5
	v_lshl_add_u64 v[0:1], v[0:1], 1, s[6:7]
	v_lshl_add_u64 v[0:1], v[2:3], 1, v[0:1]
	global_store_short v[0:1], v4, off
.LBB178_85:
	s_endpgm
	.section	.rodata,"a",@progbits
	.p2align	6, 0x0
	.amdhsa_kernel _ZN2at6native12_GLOBAL__N_135GammaBetaBackwardCUDAKernelTemplateIN3c104HalfEfLj32ELj1ELj8ELb1ELb0ELb1EEEvllPKT_S7_PKT0_SA_PS5_SB_
		.amdhsa_group_segment_fixed_size 0
		.amdhsa_private_segment_fixed_size 0
		.amdhsa_kernarg_size 320
		.amdhsa_user_sgpr_count 2
		.amdhsa_user_sgpr_dispatch_ptr 0
		.amdhsa_user_sgpr_queue_ptr 0
		.amdhsa_user_sgpr_kernarg_segment_ptr 1
		.amdhsa_user_sgpr_dispatch_id 0
		.amdhsa_user_sgpr_kernarg_preload_length 0
		.amdhsa_user_sgpr_kernarg_preload_offset 0
		.amdhsa_user_sgpr_private_segment_size 0
		.amdhsa_uses_dynamic_stack 0
		.amdhsa_enable_private_segment 0
		.amdhsa_system_sgpr_workgroup_id_x 1
		.amdhsa_system_sgpr_workgroup_id_y 1
		.amdhsa_system_sgpr_workgroup_id_z 0
		.amdhsa_system_sgpr_workgroup_info 0
		.amdhsa_system_vgpr_workitem_id 1
		.amdhsa_next_free_vgpr 96
		.amdhsa_next_free_sgpr 44
		.amdhsa_accum_offset 96
		.amdhsa_reserve_vcc 1
		.amdhsa_float_round_mode_32 0
		.amdhsa_float_round_mode_16_64 0
		.amdhsa_float_denorm_mode_32 3
		.amdhsa_float_denorm_mode_16_64 3
		.amdhsa_dx10_clamp 1
		.amdhsa_ieee_mode 1
		.amdhsa_fp16_overflow 0
		.amdhsa_tg_split 0
		.amdhsa_exception_fp_ieee_invalid_op 0
		.amdhsa_exception_fp_denorm_src 0
		.amdhsa_exception_fp_ieee_div_zero 0
		.amdhsa_exception_fp_ieee_overflow 0
		.amdhsa_exception_fp_ieee_underflow 0
		.amdhsa_exception_fp_ieee_inexact 0
		.amdhsa_exception_int_div_zero 0
	.end_amdhsa_kernel
	.section	.text._ZN2at6native12_GLOBAL__N_135GammaBetaBackwardCUDAKernelTemplateIN3c104HalfEfLj32ELj1ELj8ELb1ELb0ELb1EEEvllPKT_S7_PKT0_SA_PS5_SB_,"axG",@progbits,_ZN2at6native12_GLOBAL__N_135GammaBetaBackwardCUDAKernelTemplateIN3c104HalfEfLj32ELj1ELj8ELb1ELb0ELb1EEEvllPKT_S7_PKT0_SA_PS5_SB_,comdat
.Lfunc_end178:
	.size	_ZN2at6native12_GLOBAL__N_135GammaBetaBackwardCUDAKernelTemplateIN3c104HalfEfLj32ELj1ELj8ELb1ELb0ELb1EEEvllPKT_S7_PKT0_SA_PS5_SB_, .Lfunc_end178-_ZN2at6native12_GLOBAL__N_135GammaBetaBackwardCUDAKernelTemplateIN3c104HalfEfLj32ELj1ELj8ELb1ELb0ELb1EEEvllPKT_S7_PKT0_SA_PS5_SB_
                                        ; -- End function
	.section	.AMDGPU.csdata,"",@progbits
; Kernel info:
; codeLenInByte = 6176
; NumSgprs: 50
; NumVgprs: 96
; NumAgprs: 0
; TotalNumVgprs: 96
; ScratchSize: 0
; MemoryBound: 0
; FloatMode: 240
; IeeeMode: 1
; LDSByteSize: 0 bytes/workgroup (compile time only)
; SGPRBlocks: 6
; VGPRBlocks: 11
; NumSGPRsForWavesPerEU: 50
; NumVGPRsForWavesPerEU: 96
; AccumOffset: 96
; Occupancy: 5
; WaveLimiterHint : 0
; COMPUTE_PGM_RSRC2:SCRATCH_EN: 0
; COMPUTE_PGM_RSRC2:USER_SGPR: 2
; COMPUTE_PGM_RSRC2:TRAP_HANDLER: 0
; COMPUTE_PGM_RSRC2:TGID_X_EN: 1
; COMPUTE_PGM_RSRC2:TGID_Y_EN: 1
; COMPUTE_PGM_RSRC2:TGID_Z_EN: 0
; COMPUTE_PGM_RSRC2:TIDIG_COMP_CNT: 1
; COMPUTE_PGM_RSRC3_GFX90A:ACCUM_OFFSET: 23
; COMPUTE_PGM_RSRC3_GFX90A:TG_SPLIT: 0
	.section	.text._ZN2at6native12_GLOBAL__N_135GammaBetaBackwardCUDAKernelTemplateIN3c104HalfEfLj32ELj8ELj64ELb0ELb1ELb1EEEvllPKT_S7_PKT0_SA_PS5_SB_,"axG",@progbits,_ZN2at6native12_GLOBAL__N_135GammaBetaBackwardCUDAKernelTemplateIN3c104HalfEfLj32ELj8ELj64ELb0ELb1ELb1EEEvllPKT_S7_PKT0_SA_PS5_SB_,comdat
	.globl	_ZN2at6native12_GLOBAL__N_135GammaBetaBackwardCUDAKernelTemplateIN3c104HalfEfLj32ELj8ELj64ELb0ELb1ELb1EEEvllPKT_S7_PKT0_SA_PS5_SB_ ; -- Begin function _ZN2at6native12_GLOBAL__N_135GammaBetaBackwardCUDAKernelTemplateIN3c104HalfEfLj32ELj8ELj64ELb0ELb1ELb1EEEvllPKT_S7_PKT0_SA_PS5_SB_
	.p2align	8
	.type	_ZN2at6native12_GLOBAL__N_135GammaBetaBackwardCUDAKernelTemplateIN3c104HalfEfLj32ELj8ELj64ELb0ELb1ELb1EEEvllPKT_S7_PKT0_SA_PS5_SB_,@function
_ZN2at6native12_GLOBAL__N_135GammaBetaBackwardCUDAKernelTemplateIN3c104HalfEfLj32ELj8ELj64ELb0ELb1ELb1EEEvllPKT_S7_PKT0_SA_PS5_SB_: ; @_ZN2at6native12_GLOBAL__N_135GammaBetaBackwardCUDAKernelTemplateIN3c104HalfEfLj32ELj8ELj64ELb0ELb1ELb1EEEvllPKT_S7_PKT0_SA_PS5_SB_
; %bb.0:
	s_load_dwordx4 s[4:7], s[0:1], 0x0
	s_lshl_b32 s14, s3, 6
	s_mov_b32 s15, 0
	v_bfe_u32 v12, v0, 10, 10
	s_waitcnt lgkmcnt(0)
	v_mov_b64_e32 v[2:3], s[4:5]
	v_cmp_lt_i64_e32 vcc, s[14:15], v[2:3]
	s_cbranch_vccnz .LBB179_2
; %bb.1:
	s_mov_b64 s[8:9], 0
	v_bfe_u32 v2, v0, 10, 10
	s_branch .LBB179_3
.LBB179_2:
	s_mov_b64 s[8:9], -1
                                        ; implicit-def: $vgpr2
.LBB179_3:
	s_load_dwordx2 s[12:13], s[0:1], 0x30
	v_and_b32_e32 v10, 0x3ff, v0
	s_andn2_b64 vcc, exec, s[8:9]
	v_mov_b32_e32 v1, s15
	v_mbcnt_lo_u32_b32 v11, -1, 0
	s_cbranch_vccnz .LBB179_11
; %bb.4:
	s_load_dword s3, s[0:1], 0x4c
	s_load_dword s16, s[0:1], 0x44
	s_load_dwordx2 s[18:19], s[0:1], 0x28
	s_load_dwordx4 s[8:11], s[0:1], 0x10
	v_lshlrev_b32_e32 v0, 3, v12
	s_waitcnt lgkmcnt(0)
	s_and_b32 s0, s3, 0xffff
	v_mad_u32_u24 v1, v12, s0, v10
	v_and_b32_e32 v2, 63, v1
	v_mov_b32_e32 v1, 0
	v_mov_b32_e32 v3, v1
	v_lshl_add_u64 v[8:9], v[0:1], 0, s[14:15]
	v_cmp_gt_u32_e64 s[0:1], 8, v2
	v_mbcnt_hi_u32_b32 v4, -1, v11
	s_lshl_b32 s16, s16, 6
	v_lshl_add_u64 v[2:3], v[8:9], 0, v[2:3]
	v_mul_lo_u32 v0, s7, v8
	v_mul_lo_u32 v21, s6, v9
	v_mad_u64_u32 v[8:9], s[20:21], s6, v8, 0
	v_lshl_add_u32 v6, s2, 5, v10
	v_mov_b32_e32 v7, v1
	v_lshlrev_b32_e32 v4, 2, v4
	s_mul_i32 s3, s7, s16
	s_mul_hi_u32 s20, s6, s16
	s_mov_b32 s17, 0
	v_and_b32_e32 v13, 0x100, v4
	v_add3_u32 v9, v9, v21, v0
	v_lshlrev_b64 v[6:7], 1, v[6:7]
	s_add_i32 s21, s20, s3
	s_mul_i32 s20, s6, s16
	v_or_b32_e32 v14, 4, v13
	v_or_b32_e32 v15, 8, v13
	;; [unrolled: 1-line block ×7, first 2 shown]
	v_lshl_add_u64 v[4:5], v[2:3], 2, s[18:19]
	s_lshl_b64 s[18:19], s[16:17], 2
	v_lshl_add_u64 v[6:7], v[8:9], 1, v[6:7]
	s_lshl_b64 s[20:21], s[20:21], 1
	s_lshl_b64 s[6:7], s[6:7], 1
	v_mov_b64_e32 v[8:9], s[4:5]
	s_branch .LBB179_7
.LBB179_5:                              ;   in Loop: Header=BB179_7 Depth=1
	s_or_b64 exec, exec, s[24:25]
.LBB179_6:                              ;   in Loop: Header=BB179_7 Depth=1
	s_or_b64 exec, exec, s[22:23]
	v_lshl_add_u64 v[22:23], s[8:9], 0, v[6:7]
	global_load_ushort v21, v[22:23], off
	v_lshl_add_u64 v[24:25], s[10:11], 0, v[6:7]
	v_lshl_add_u64 v[22:23], v[22:23], 0, s[6:7]
	global_load_ushort v26, v[24:25], off
	global_load_ushort v27, v[22:23], off
	v_lshl_add_u64 v[24:25], v[24:25], 0, s[6:7]
	v_lshl_add_u64 v[22:23], v[22:23], 0, s[6:7]
	global_load_ushort v28, v[24:25], off
	;; [unrolled: 4-line block ×7, first 2 shown]
	global_load_ushort v39, v[22:23], off
	v_lshl_add_u64 v[22:23], v[24:25], 0, s[6:7]
	global_load_ushort v22, v[22:23], off
	s_waitcnt vmcnt(16)
	ds_bpermute_b32 v23, v13, v0
	ds_bpermute_b32 v24, v14, v0
	;; [unrolled: 1-line block ×8, first 2 shown]
	s_add_u32 s14, s14, s16
	s_addc_u32 s15, s15, 0
	v_cmp_lt_i64_e32 vcc, s[14:15], v[8:9]
	v_lshl_add_u64 v[4:5], v[4:5], 0, s[18:19]
	v_lshl_add_u64 v[2:3], v[2:3], 0, s[16:17]
	;; [unrolled: 1-line block ×3, first 2 shown]
	s_and_b64 vcc, exec, vcc
	s_waitcnt vmcnt(15)
	v_cvt_f32_f16_e32 v21, v21
	s_waitcnt vmcnt(14)
	v_cvt_f32_f16_e32 v26, v26
	;; [unrolled: 2-line block ×5, first 2 shown]
	v_mul_f32_e32 v21, v21, v26
	s_waitcnt lgkmcnt(7)
	v_fmac_f32_e32 v1, v21, v23
	s_waitcnt vmcnt(10)
	v_cvt_f32_f16_e32 v30, v30
	s_waitcnt vmcnt(9)
	v_cvt_f32_f16_e32 v31, v31
	v_mul_f32_e32 v21, v27, v28
	s_waitcnt lgkmcnt(6)
	v_fmac_f32_e32 v1, v21, v24
	s_waitcnt vmcnt(8)
	v_cvt_f32_f16_e32 v32, v32
	s_waitcnt vmcnt(7)
	v_cvt_f32_f16_e32 v33, v33
	;; [unrolled: 7-line block ×5, first 2 shown]
	v_mul_f32_e32 v21, v26, v35
	s_waitcnt vmcnt(0)
	v_cvt_f32_f16_e32 v22, v22
	s_waitcnt lgkmcnt(2)
	v_fmac_f32_e32 v1, v21, v42
	v_mul_f32_e32 v21, v23, v27
	s_waitcnt lgkmcnt(1)
	v_fmac_f32_e32 v1, v21, v43
	v_mul_f32_e32 v21, v24, v22
	s_waitcnt lgkmcnt(0)
	v_fmac_f32_e32 v1, v21, v0
	s_cbranch_vccz .LBB179_10
.LBB179_7:                              ; =>This Inner Loop Header: Depth=1
	v_mov_b32_e32 v0, 0
	s_and_saveexec_b64 s[22:23], s[0:1]
	s_cbranch_execz .LBB179_6
; %bb.8:                                ;   in Loop: Header=BB179_7 Depth=1
	v_cmp_gt_i64_e32 vcc, s[4:5], v[2:3]
	v_mov_b32_e32 v0, 0
	s_and_saveexec_b64 s[24:25], vcc
	s_cbranch_execz .LBB179_5
; %bb.9:                                ;   in Loop: Header=BB179_7 Depth=1
	global_load_dword v0, v[4:5], off
	s_branch .LBB179_5
.LBB179_10:
	v_mov_b32_e32 v2, v12
.LBB179_11:
	v_mad_u32_u24 v0, v2, 33, v10
	v_lshl_add_u32 v3, v0, 2, 0
	v_sub_u32_e32 v0, v0, v2
	s_movk_i32 s0, 0x800
	s_mov_b32 s3, 0
	ds_write_b32 v3, v1
	v_mov_b32_e32 v1, 0
	v_cmp_gt_u32_e32 vcc, s0, v0
	ds_write_b32 v3, v1 offset:1056
	s_waitcnt lgkmcnt(0)
	s_barrier
	s_and_saveexec_b64 s[0:1], vcc
	s_cbranch_execz .LBB179_18
; %bb.12:
	v_mbcnt_hi_u32_b32 v4, -1, v11
	v_and_b32_e32 v2, 64, v4
	s_cmp_lg_u64 s[12:13], 0
	v_add_u32_e32 v5, 64, v2
	v_cmp_eq_u32_e64 s[0:1], 0, v10
	s_cselect_b64 s[6:7], -1, 0
	v_xor_b32_e32 v2, 4, v4
	s_and_b64 s[6:7], s[0:1], s[6:7]
	v_cmp_lt_i32_e64 s[0:1], v2, v5
	v_xor_b32_e32 v3, 2, v4
	v_xor_b32_e32 v6, 1, v4
	v_cndmask_b32_e64 v2, v4, v2, s[0:1]
	v_cmp_lt_i32_e64 s[0:1], v3, v5
	v_lshrrev_b32_e32 v7, 6, v0
	v_and_b32_e32 v0, 63, v0
	v_cndmask_b32_e64 v3, v4, v3, s[0:1]
	v_cmp_lt_i32_e64 s[0:1], v6, v5
	v_cmp_gt_u32_e32 vcc, 8, v0
	v_mul_u32_u24_e32 v0, 0x84, v0
	v_cndmask_b32_e64 v4, v4, v6, s[0:1]
	s_lshl_b64 s[0:1], s[2:3], 6
	v_lshlrev_b32_e32 v5, 2, v7
	s_add_u32 s0, s12, s0
	v_add3_u32 v5, v0, v5, 0
	v_lshlrev_b32_e32 v0, 1, v7
	s_addc_u32 s1, s13, s1
	s_mov_b64 s[4:5], 0
	v_lshlrev_b32_e32 v2, 2, v2
	v_lshlrev_b32_e32 v3, 2, v3
	;; [unrolled: 1-line block ×3, first 2 shown]
	v_add_u32_e32 v6, -4, v7
	v_lshl_add_u64 v[0:1], s[0:1], 0, v[0:1]
                                        ; implicit-def: $vgpr7
	s_branch .LBB179_14
.LBB179_13:                             ;   in Loop: Header=BB179_14 Depth=1
	s_or_b64 exec, exec, s[0:1]
	v_add_u32_e32 v6, 4, v6
	v_cmp_lt_u32_e64 s[0:1], 27, v6
	v_add_u32_e32 v5, 16, v5
	s_or_b64 s[4:5], s[0:1], s[4:5]
	v_lshl_add_u64 v[0:1], v[0:1], 0, 8
	s_andn2_b64 exec, exec, s[4:5]
	s_cbranch_execz .LBB179_18
.LBB179_14:                             ; =>This Inner Loop Header: Depth=1
	s_and_saveexec_b64 s[0:1], vcc
	s_cbranch_execz .LBB179_16
; %bb.15:                               ;   in Loop: Header=BB179_14 Depth=1
	ds_read_b32 v7, v5
.LBB179_16:                             ;   in Loop: Header=BB179_14 Depth=1
	s_or_b64 exec, exec, s[0:1]
	s_waitcnt lgkmcnt(0)
	ds_bpermute_b32 v8, v2, v7
	s_waitcnt lgkmcnt(0)
	v_add_f32_e32 v7, v7, v8
	ds_bpermute_b32 v8, v3, v7
	s_waitcnt lgkmcnt(0)
	v_add_f32_e32 v7, v7, v8
	;; [unrolled: 3-line block ×3, first 2 shown]
	s_and_saveexec_b64 s[0:1], s[6:7]
	s_cbranch_execz .LBB179_13
; %bb.17:                               ;   in Loop: Header=BB179_14 Depth=1
	v_cvt_f16_f32_e32 v8, v7
	global_store_short v[0:1], v8, off
	s_branch .LBB179_13
.LBB179_18:
	s_endpgm
	.section	.rodata,"a",@progbits
	.p2align	6, 0x0
	.amdhsa_kernel _ZN2at6native12_GLOBAL__N_135GammaBetaBackwardCUDAKernelTemplateIN3c104HalfEfLj32ELj8ELj64ELb0ELb1ELb1EEEvllPKT_S7_PKT0_SA_PS5_SB_
		.amdhsa_group_segment_fixed_size 0
		.amdhsa_private_segment_fixed_size 0
		.amdhsa_kernarg_size 320
		.amdhsa_user_sgpr_count 2
		.amdhsa_user_sgpr_dispatch_ptr 0
		.amdhsa_user_sgpr_queue_ptr 0
		.amdhsa_user_sgpr_kernarg_segment_ptr 1
		.amdhsa_user_sgpr_dispatch_id 0
		.amdhsa_user_sgpr_kernarg_preload_length 0
		.amdhsa_user_sgpr_kernarg_preload_offset 0
		.amdhsa_user_sgpr_private_segment_size 0
		.amdhsa_uses_dynamic_stack 0
		.amdhsa_enable_private_segment 0
		.amdhsa_system_sgpr_workgroup_id_x 1
		.amdhsa_system_sgpr_workgroup_id_y 1
		.amdhsa_system_sgpr_workgroup_id_z 0
		.amdhsa_system_sgpr_workgroup_info 0
		.amdhsa_system_vgpr_workitem_id 1
		.amdhsa_next_free_vgpr 44
		.amdhsa_next_free_sgpr 26
		.amdhsa_accum_offset 44
		.amdhsa_reserve_vcc 1
		.amdhsa_float_round_mode_32 0
		.amdhsa_float_round_mode_16_64 0
		.amdhsa_float_denorm_mode_32 3
		.amdhsa_float_denorm_mode_16_64 3
		.amdhsa_dx10_clamp 1
		.amdhsa_ieee_mode 1
		.amdhsa_fp16_overflow 0
		.amdhsa_tg_split 0
		.amdhsa_exception_fp_ieee_invalid_op 0
		.amdhsa_exception_fp_denorm_src 0
		.amdhsa_exception_fp_ieee_div_zero 0
		.amdhsa_exception_fp_ieee_overflow 0
		.amdhsa_exception_fp_ieee_underflow 0
		.amdhsa_exception_fp_ieee_inexact 0
		.amdhsa_exception_int_div_zero 0
	.end_amdhsa_kernel
	.section	.text._ZN2at6native12_GLOBAL__N_135GammaBetaBackwardCUDAKernelTemplateIN3c104HalfEfLj32ELj8ELj64ELb0ELb1ELb1EEEvllPKT_S7_PKT0_SA_PS5_SB_,"axG",@progbits,_ZN2at6native12_GLOBAL__N_135GammaBetaBackwardCUDAKernelTemplateIN3c104HalfEfLj32ELj8ELj64ELb0ELb1ELb1EEEvllPKT_S7_PKT0_SA_PS5_SB_,comdat
.Lfunc_end179:
	.size	_ZN2at6native12_GLOBAL__N_135GammaBetaBackwardCUDAKernelTemplateIN3c104HalfEfLj32ELj8ELj64ELb0ELb1ELb1EEEvllPKT_S7_PKT0_SA_PS5_SB_, .Lfunc_end179-_ZN2at6native12_GLOBAL__N_135GammaBetaBackwardCUDAKernelTemplateIN3c104HalfEfLj32ELj8ELj64ELb0ELb1ELb1EEEvllPKT_S7_PKT0_SA_PS5_SB_
                                        ; -- End function
	.section	.AMDGPU.csdata,"",@progbits
; Kernel info:
; codeLenInByte = 1376
; NumSgprs: 32
; NumVgprs: 44
; NumAgprs: 0
; TotalNumVgprs: 44
; ScratchSize: 0
; MemoryBound: 0
; FloatMode: 240
; IeeeMode: 1
; LDSByteSize: 0 bytes/workgroup (compile time only)
; SGPRBlocks: 3
; VGPRBlocks: 5
; NumSGPRsForWavesPerEU: 32
; NumVGPRsForWavesPerEU: 44
; AccumOffset: 44
; Occupancy: 8
; WaveLimiterHint : 0
; COMPUTE_PGM_RSRC2:SCRATCH_EN: 0
; COMPUTE_PGM_RSRC2:USER_SGPR: 2
; COMPUTE_PGM_RSRC2:TRAP_HANDLER: 0
; COMPUTE_PGM_RSRC2:TGID_X_EN: 1
; COMPUTE_PGM_RSRC2:TGID_Y_EN: 1
; COMPUTE_PGM_RSRC2:TGID_Z_EN: 0
; COMPUTE_PGM_RSRC2:TIDIG_COMP_CNT: 1
; COMPUTE_PGM_RSRC3_GFX90A:ACCUM_OFFSET: 10
; COMPUTE_PGM_RSRC3_GFX90A:TG_SPLIT: 0
	.section	.text._ZN2at6native12_GLOBAL__N_135GammaBetaBackwardCUDAKernelTemplateIN3c104HalfEfLj32ELj8ELj64ELb0ELb0ELb1EEEvllPKT_S7_PKT0_SA_PS5_SB_,"axG",@progbits,_ZN2at6native12_GLOBAL__N_135GammaBetaBackwardCUDAKernelTemplateIN3c104HalfEfLj32ELj8ELj64ELb0ELb0ELb1EEEvllPKT_S7_PKT0_SA_PS5_SB_,comdat
	.globl	_ZN2at6native12_GLOBAL__N_135GammaBetaBackwardCUDAKernelTemplateIN3c104HalfEfLj32ELj8ELj64ELb0ELb0ELb1EEEvllPKT_S7_PKT0_SA_PS5_SB_ ; -- Begin function _ZN2at6native12_GLOBAL__N_135GammaBetaBackwardCUDAKernelTemplateIN3c104HalfEfLj32ELj8ELj64ELb0ELb0ELb1EEEvllPKT_S7_PKT0_SA_PS5_SB_
	.p2align	8
	.type	_ZN2at6native12_GLOBAL__N_135GammaBetaBackwardCUDAKernelTemplateIN3c104HalfEfLj32ELj8ELj64ELb0ELb0ELb1EEEvllPKT_S7_PKT0_SA_PS5_SB_,@function
_ZN2at6native12_GLOBAL__N_135GammaBetaBackwardCUDAKernelTemplateIN3c104HalfEfLj32ELj8ELj64ELb0ELb0ELb1EEEvllPKT_S7_PKT0_SA_PS5_SB_: ; @_ZN2at6native12_GLOBAL__N_135GammaBetaBackwardCUDAKernelTemplateIN3c104HalfEfLj32ELj8ELj64ELb0ELb0ELb1EEEvllPKT_S7_PKT0_SA_PS5_SB_
; %bb.0:
	s_load_dwordx8 s[8:15], s[0:1], 0x0
	s_load_dwordx2 s[24:25], s[0:1], 0x28
	s_lshl_b32 s33, s2, 5
	s_or_b32 s26, s33, 31
	s_mov_b32 s27, 0
	s_waitcnt lgkmcnt(0)
	v_mov_b64_e32 v[2:3], s[10:11]
	v_cmp_ge_i64_e32 vcc, s[26:27], v[2:3]
	s_lshl_b32 s26, s3, 6
	v_mov_b64_e32 v[2:3], s[8:9]
	v_cmp_lt_i64_e64 s[4:5], s[26:27], v[2:3]
	s_nop 1
	v_cndmask_b32_e64 v1, 0, 1, s[4:5]
	v_cmp_ne_u32_e64 s[4:5], 1, v1
	s_cbranch_vccz .LBB180_49
; %bb.1:
	s_and_b64 vcc, exec, s[4:5]
	v_mov_b32_e32 v2, 0
	s_cbranch_vccnz .LBB180_50
; %bb.2:
	v_mov_b32_e32 v3, 0
	v_bfe_u32 v64, v0, 10, 10
	s_load_dword s3, s[0:1], 0x44
	v_lshlrev_b32_e32 v26, 3, v64
	v_mov_b32_e32 v27, v3
	v_and_b32_e32 v1, 0x3ff, v0
	v_lshl_add_u64 v[4:5], v[26:27], 0, s[26:27]
	v_add_u32_e32 v2, s33, v1
	v_lshl_add_u64 v[6:7], v[4:5], 0, 7
	s_add_u32 s28, s0, 64
	v_cmp_gt_i64_e64 s[6:7], s[10:11], v[2:3]
	v_lshlrev_b64 v[28:29], 1, v[2:3]
	v_mul_lo_u32 v2, s11, v6
	v_mul_lo_u32 v8, s10, v7
	v_mad_u64_u32 v[6:7], s[18:19], s10, v6, 0
	s_addc_u32 s29, s1, 0
	s_waitcnt lgkmcnt(0)
	s_lshl_b32 s3, s3, 6
	v_add3_u32 v7, v7, v8, v2
	v_lshlrev_b64 v[6:7], 1, v[6:7]
	s_mul_i32 s17, s11, s3
	s_mul_hi_u32 s18, s10, s3
	v_lshl_add_u64 v[30:31], s[12:13], 0, v[6:7]
	s_add_i32 s19, s18, s17
	s_mul_i32 s18, s10, s3
	v_lshl_add_u64 v[32:33], s[14:15], 0, v[6:7]
	v_lshl_add_u64 v[6:7], v[4:5], 0, 6
	s_lshl_b64 s[30:31], s[18:19], 1
	v_mul_lo_u32 v2, s11, v6
	v_mul_lo_u32 v8, s10, v7
	v_mad_u64_u32 v[6:7], s[18:19], s10, v6, 0
	v_add3_u32 v7, v7, v8, v2
	v_lshlrev_b64 v[6:7], 1, v[6:7]
	v_lshl_add_u64 v[34:35], s[12:13], 0, v[6:7]
	v_lshl_add_u64 v[36:37], s[14:15], 0, v[6:7]
	v_lshl_add_u64 v[6:7], v[4:5], 0, 5
	v_mul_lo_u32 v2, s11, v6
	v_mul_lo_u32 v8, s10, v7
	v_mad_u64_u32 v[6:7], s[18:19], s10, v6, 0
	v_add3_u32 v7, v7, v8, v2
	v_lshlrev_b64 v[6:7], 1, v[6:7]
	v_lshl_add_u64 v[38:39], s[12:13], 0, v[6:7]
	v_lshl_add_u64 v[40:41], s[14:15], 0, v[6:7]
	v_lshl_add_u64 v[6:7], v[4:5], 0, 4
	;; [unrolled: 8-line block ×4, first 2 shown]
	v_mul_lo_u32 v2, s11, v6
	v_mul_lo_u32 v8, s10, v7
	v_mad_u64_u32 v[6:7], s[18:19], s10, v6, 0
	v_add3_u32 v7, v7, v8, v2
	v_lshlrev_b64 v[6:7], 1, v[6:7]
	v_lshl_add_u64 v[50:51], s[12:13], 0, v[6:7]
	v_lshl_add_u64 v[52:53], s[14:15], 0, v[6:7]
	v_mov_b64_e32 v[6:7], s[10:11]
	v_mad_u64_u32 v[6:7], s[18:19], s10, v4, v[6:7]
	v_mul_lo_u32 v2, s10, v5
	v_mul_lo_u32 v8, s11, v4
	v_mad_u64_u32 v[4:5], s[18:19], s10, v4, 0
	v_add3_u32 v7, v8, v7, v2
	v_add3_u32 v5, v5, v2, v8
	v_mbcnt_lo_u32_b32 v2, -1, 0
	v_mbcnt_hi_u32_b32 v2, -1, v2
	v_lshlrev_b64 v[6:7], 1, v[6:7]
	s_add_u32 s34, s26, 63
	v_lshlrev_b64 v[4:5], 1, v[4:5]
	s_movk_i32 s36, 0xffc1
	s_movk_i32 s38, 0xffc2
	s_movk_i32 s40, 0xffc3
	s_movk_i32 s42, 0xffc4
	s_movk_i32 s44, 0xffc5
	s_movk_i32 s46, 0xffc6
	s_movk_i32 s48, 0xffc7
	s_movk_i32 s50, 0xffc8
	v_lshlrev_b32_e32 v2, 2, v2
	s_mov_b32 s16, 0
	v_lshl_add_u64 v[54:55], s[12:13], 0, v[6:7]
	v_lshl_add_u64 v[56:57], s[14:15], 0, v[6:7]
	s_addc_u32 s35, 0, 0
	v_lshl_add_u64 v[58:59], s[12:13], 0, v[4:5]
	v_lshl_add_u64 v[60:61], s[14:15], 0, v[4:5]
	s_mov_b32 s37, -1
	s_mov_b32 s39, -1
	;; [unrolled: 1-line block ×8, first 2 shown]
	v_and_b32_e32 v65, 0x100, v2
	s_mov_b64 s[52:53], s[26:27]
	v_mov_b32_e32 v66, 0
.LBB180_3:                              ; =>This Inner Loop Header: Depth=1
	v_mov_b64_e32 v[4:5], s[8:9]
	v_cmp_ge_i64_e32 vcc, s[34:35], v[4:5]
	v_lshl_add_u64 v[62:63], v[26:27], 0, s[34:35]
	s_cbranch_vccz .LBB180_25
; %bb.4:                                ;   in Loop: Header=BB180_3 Depth=1
	s_load_dword s17, s[28:29], 0xc
	v_mov_b32_e32 v67, 0
	s_waitcnt lgkmcnt(0)
	s_and_b32 s17, s17, 0xffff
	v_mad_u32_u24 v2, v64, s17, v1
	v_and_b32_e32 v2, 63, v2
	v_cmp_gt_u32_e32 vcc, 8, v2
	s_and_saveexec_b64 s[18:19], vcc
	s_cbranch_execz .LBB180_8
; %bb.5:                                ;   in Loop: Header=BB180_3 Depth=1
	v_lshl_add_u64 v[4:5], v[62:63], 0, v[2:3]
	v_lshl_add_u64 v[4:5], v[4:5], 0, s[36:37]
	v_cmp_gt_i64_e32 vcc, s[8:9], v[4:5]
	v_mov_b32_e32 v67, 0
	s_and_saveexec_b64 s[20:21], vcc
	s_cbranch_execz .LBB180_7
; %bb.6:                                ;   in Loop: Header=BB180_3 Depth=1
	v_lshl_add_u64 v[4:5], v[4:5], 2, s[24:25]
	global_load_dword v67, v[4:5], off
.LBB180_7:                              ;   in Loop: Header=BB180_3 Depth=1
	s_or_b64 exec, exec, s[20:21]
.LBB180_8:                              ;   in Loop: Header=BB180_3 Depth=1
	s_or_b64 exec, exec, s[18:19]
	s_mov_b32 s17, s16
	s_mov_b32 s18, s16
	s_mov_b32 s19, s16
	s_mov_b32 s20, s16
	s_mov_b32 s21, s16
	s_mov_b32 s22, s16
	s_mov_b32 s23, s16
	v_mov_b64_e32 v[10:11], s[16:17]
	v_lshl_add_u64 v[4:5], v[62:63], 0, s[36:37]
	v_mov_b64_e32 v[16:17], s[22:23]
	v_cmp_gt_i64_e32 vcc, s[8:9], v[4:5]
	v_mov_b64_e32 v[12:13], s[18:19]
	v_mov_b64_e32 v[14:15], s[20:21]
	;; [unrolled: 1-line block ×3, first 2 shown]
	s_and_b64 s[54:55], s[6:7], vcc
	v_mov_b64_e32 v[22:23], v[14:15]
	v_mov_b64_e32 v[20:21], v[12:13]
	;; [unrolled: 1-line block ×3, first 2 shown]
	s_and_saveexec_b64 s[18:19], s[54:55]
	s_cbranch_execz .LBB180_10
; %bb.9:                                ;   in Loop: Header=BB180_3 Depth=1
	v_lshl_add_u64 v[4:5], v[58:59], 0, v[28:29]
	global_load_ushort v2, v[4:5], off
	v_lshl_add_u64 v[4:5], v[60:61], 0, v[28:29]
	global_load_ushort v10, v[4:5], off
	v_mov_b32_e32 v8, v3
	v_mov_b32_e32 v9, v3
	;; [unrolled: 1-line block ×13, first 2 shown]
	s_waitcnt vmcnt(1)
	v_cvt_f32_f16_e32 v2, v2
	v_mov_b64_e32 v[24:25], v[8:9]
	s_waitcnt vmcnt(0)
	v_cvt_f32_f16_e32 v10, v10
	v_mov_b64_e32 v[22:23], v[6:7]
	v_mov_b64_e32 v[20:21], v[4:5]
	;; [unrolled: 1-line block ×3, first 2 shown]
.LBB180_10:                             ;   in Loop: Header=BB180_3 Depth=1
	s_or_b64 exec, exec, s[18:19]
	v_lshl_add_u64 v[4:5], v[62:63], 0, s[38:39]
	v_cmp_gt_i64_e32 vcc, s[8:9], v[4:5]
	s_and_b64 s[20:21], s[6:7], vcc
	s_and_saveexec_b64 s[18:19], s[20:21]
	s_cbranch_execz .LBB180_12
; %bb.11:                               ;   in Loop: Header=BB180_3 Depth=1
	v_lshl_add_u64 v[4:5], v[54:55], 0, v[28:29]
	global_load_ushort v2, v[4:5], off
	v_lshl_add_u64 v[4:5], v[56:57], 0, v[28:29]
	global_load_ushort v4, v[4:5], off
	s_waitcnt vmcnt(1)
	v_cvt_f32_f16_e32 v19, v2
	s_waitcnt vmcnt(0)
	v_cvt_f32_f16_e32 v11, v4
.LBB180_12:                             ;   in Loop: Header=BB180_3 Depth=1
	s_or_b64 exec, exec, s[18:19]
	v_lshl_add_u64 v[4:5], v[62:63], 0, s[40:41]
	v_cmp_gt_i64_e32 vcc, s[8:9], v[4:5]
	s_and_b64 s[20:21], s[6:7], vcc
	s_and_saveexec_b64 s[18:19], s[20:21]
	s_cbranch_execz .LBB180_14
; %bb.13:                               ;   in Loop: Header=BB180_3 Depth=1
	v_lshl_add_u64 v[4:5], v[50:51], 0, v[28:29]
	global_load_ushort v2, v[4:5], off
	v_lshl_add_u64 v[4:5], v[52:53], 0, v[28:29]
	global_load_ushort v4, v[4:5], off
	s_waitcnt vmcnt(1)
	v_cvt_f32_f16_e32 v20, v2
	s_waitcnt vmcnt(0)
	v_cvt_f32_f16_e32 v12, v4
.LBB180_14:                             ;   in Loop: Header=BB180_3 Depth=1
	;; [unrolled: 16-line block ×7, first 2 shown]
	s_or_b64 exec, exec, s[18:19]
	s_waitcnt vmcnt(0)
	ds_bpermute_b32 v4, v65, v67 offset:4
	ds_bpermute_b32 v5, v65, v67 offset:8
	ds_bpermute_b32 v2, v65, v67
	v_mul_f32_e32 v8, v10, v18
	v_pk_mul_f32 v[10:11], v[10:11], v[18:19]
	v_pk_mul_f32 v[12:13], v[12:13], v[20:21]
	v_mov_b32_e32 v10, v11
	v_mov_b32_e32 v11, v12
	s_waitcnt lgkmcnt(1)
	v_pk_mul_f32 v[4:5], v[10:11], v[4:5]
	ds_bpermute_b32 v10, v65, v67 offset:12
	ds_bpermute_b32 v11, v65, v67 offset:16
	s_waitcnt lgkmcnt(2)
	v_fma_f32 v2, v8, v2, v66
	v_pk_mul_f32 v[8:9], v[14:15], v[22:23]
	v_add_f32_e32 v2, v2, v4
	v_add_f32_e32 v2, v2, v5
	v_mov_b32_e32 v4, v13
	v_mov_b32_e32 v5, v8
	s_waitcnt lgkmcnt(0)
	v_pk_mul_f32 v[4:5], v[4:5], v[10:11]
	ds_bpermute_b32 v10, v65, v67 offset:20
	ds_bpermute_b32 v11, v65, v67 offset:24
	v_pk_mul_f32 v[6:7], v[16:17], v[24:25]
	v_add_f32_e32 v2, v2, v4
	ds_bpermute_b32 v4, v65, v67 offset:28
	v_mov_b32_e32 v8, v9
	v_mov_b32_e32 v9, v6
	v_add_f32_e32 v2, v2, v5
	s_waitcnt lgkmcnt(1)
	v_pk_mul_f32 v[6:7], v[8:9], v[10:11]
	s_nop 0
	v_add_f32_e32 v2, v2, v6
	v_add_f32_e32 v2, v2, v7
	s_branch .LBB180_40
.LBB180_25:                             ;   in Loop: Header=BB180_3 Depth=1
                                        ; implicit-def: $vgpr2
                                        ; implicit-def: $vgpr10_vgpr11_vgpr12_vgpr13_vgpr14_vgpr15_vgpr16_vgpr17
                                        ; implicit-def: $vgpr18_vgpr19_vgpr20_vgpr21_vgpr22_vgpr23_vgpr24_vgpr25
                                        ; implicit-def: $vgpr4
	s_cbranch_execz .LBB180_40
; %bb.26:                               ;   in Loop: Header=BB180_3 Depth=1
	s_load_dword s17, s[28:29], 0x0
	v_mov_b32_e32 v67, 0
	s_waitcnt lgkmcnt(0)
	s_cmp_lt_u32 s2, s17
	s_cselect_b32 s17, 12, 18
	s_add_u32 s18, s28, s17
	s_addc_u32 s19, s29, 0
	global_load_ushort v2, v3, s[18:19]
	s_waitcnt vmcnt(0)
	v_mad_u32_u24 v2, v64, v2, v1
	v_and_b32_e32 v2, 63, v2
	v_cmp_gt_u32_e32 vcc, 8, v2
	s_and_saveexec_b64 s[18:19], vcc
	s_cbranch_execz .LBB180_30
; %bb.27:                               ;   in Loop: Header=BB180_3 Depth=1
	v_lshl_add_u64 v[4:5], v[62:63], 0, v[2:3]
	v_lshl_add_u64 v[4:5], v[4:5], 0, s[36:37]
	v_cmp_gt_i64_e32 vcc, s[8:9], v[4:5]
	v_mov_b32_e32 v67, 0
	s_and_saveexec_b64 s[20:21], vcc
	s_cbranch_execz .LBB180_29
; %bb.28:                               ;   in Loop: Header=BB180_3 Depth=1
	v_lshl_add_u64 v[4:5], v[4:5], 2, s[24:25]
	global_load_dword v67, v[4:5], off
.LBB180_29:                             ;   in Loop: Header=BB180_3 Depth=1
	s_or_b64 exec, exec, s[20:21]
.LBB180_30:                             ;   in Loop: Header=BB180_3 Depth=1
	s_or_b64 exec, exec, s[18:19]
	s_mov_b32 s17, s16
	s_mov_b32 s18, s16
	;; [unrolled: 1-line block ×7, first 2 shown]
	v_mov_b64_e32 v[10:11], s[16:17]
	v_mov_b64_e32 v[16:17], s[22:23]
	;; [unrolled: 1-line block ×8, first 2 shown]
	s_and_saveexec_b64 s[18:19], s[6:7]
	s_cbranch_execnz .LBB180_42
; %bb.31:                               ;   in Loop: Header=BB180_3 Depth=1
	s_or_b64 exec, exec, s[18:19]
	s_and_saveexec_b64 s[18:19], s[6:7]
	s_cbranch_execnz .LBB180_43
.LBB180_32:                             ;   in Loop: Header=BB180_3 Depth=1
	s_or_b64 exec, exec, s[18:19]
	s_and_saveexec_b64 s[18:19], s[6:7]
	s_cbranch_execnz .LBB180_44
.LBB180_33:                             ;   in Loop: Header=BB180_3 Depth=1
	s_or_b64 exec, exec, s[18:19]
	s_and_saveexec_b64 s[18:19], s[6:7]
	s_cbranch_execnz .LBB180_45
.LBB180_34:                             ;   in Loop: Header=BB180_3 Depth=1
	s_or_b64 exec, exec, s[18:19]
	s_and_saveexec_b64 s[18:19], s[6:7]
	s_cbranch_execnz .LBB180_46
.LBB180_35:                             ;   in Loop: Header=BB180_3 Depth=1
	s_or_b64 exec, exec, s[18:19]
	s_and_saveexec_b64 s[18:19], s[6:7]
	s_cbranch_execnz .LBB180_47
.LBB180_36:                             ;   in Loop: Header=BB180_3 Depth=1
	s_or_b64 exec, exec, s[18:19]
	s_and_saveexec_b64 s[18:19], s[6:7]
	s_cbranch_execnz .LBB180_48
.LBB180_37:                             ;   in Loop: Header=BB180_3 Depth=1
	s_or_b64 exec, exec, s[18:19]
	s_and_saveexec_b64 s[18:19], s[6:7]
	s_cbranch_execz .LBB180_39
.LBB180_38:                             ;   in Loop: Header=BB180_3 Depth=1
	v_lshl_add_u64 v[4:5], v[30:31], 0, v[28:29]
	global_load_ushort v2, v[4:5], off
	v_lshl_add_u64 v[4:5], v[32:33], 0, v[28:29]
	global_load_ushort v4, v[4:5], off
	s_waitcnt vmcnt(1)
	v_cvt_f32_f16_e32 v25, v2
	s_waitcnt vmcnt(0)
	v_cvt_f32_f16_e32 v17, v4
.LBB180_39:                             ;   in Loop: Header=BB180_3 Depth=1
	s_or_b64 exec, exec, s[18:19]
	s_waitcnt vmcnt(0)
	ds_bpermute_b32 v4, v65, v67 offset:4
	ds_bpermute_b32 v5, v65, v67 offset:8
	ds_bpermute_b32 v2, v65, v67
	v_mul_f32_e32 v8, v10, v18
	v_pk_mul_f32 v[10:11], v[10:11], v[18:19]
	v_pk_mul_f32 v[12:13], v[12:13], v[20:21]
	v_mov_b32_e32 v10, v11
	v_mov_b32_e32 v11, v12
	s_waitcnt lgkmcnt(1)
	v_pk_mul_f32 v[4:5], v[10:11], v[4:5]
	ds_bpermute_b32 v10, v65, v67 offset:12
	ds_bpermute_b32 v11, v65, v67 offset:16
	s_waitcnt lgkmcnt(2)
	v_fmac_f32_e32 v66, v8, v2
	v_pk_mul_f32 v[8:9], v[14:15], v[22:23]
	v_add_f32_e32 v2, v66, v4
	v_add_f32_e32 v2, v2, v5
	v_mov_b32_e32 v4, v13
	v_mov_b32_e32 v5, v8
	s_waitcnt lgkmcnt(0)
	v_pk_mul_f32 v[4:5], v[4:5], v[10:11]
	ds_bpermute_b32 v10, v65, v67 offset:20
	ds_bpermute_b32 v11, v65, v67 offset:24
	v_pk_mul_f32 v[6:7], v[16:17], v[24:25]
	v_add_f32_e32 v2, v2, v4
	v_mov_b32_e32 v8, v9
	v_mov_b32_e32 v9, v6
	v_add_f32_e32 v2, v2, v5
	s_waitcnt lgkmcnt(0)
	v_pk_mul_f32 v[6:7], v[8:9], v[10:11]
	ds_bpermute_b32 v4, v65, v67 offset:28
	v_add_f32_e32 v2, v2, v6
	v_add_f32_e32 v2, v2, v7
.LBB180_40:                             ;   in Loop: Header=BB180_3 Depth=1
	v_mul_f32_e32 v5, v25, v17
	s_add_u32 s52, s52, s3
	s_waitcnt lgkmcnt(0)
	v_fmac_f32_e32 v2, v5, v4
	s_addc_u32 s53, s53, 0
	v_mov_b64_e32 v[4:5], s[8:9]
	s_add_u32 s34, s34, s3
	v_cmp_lt_i64_e32 vcc, s[52:53], v[4:5]
	v_lshl_add_u64 v[30:31], v[30:31], 0, s[30:31]
	v_lshl_add_u64 v[32:33], v[32:33], 0, s[30:31]
	;; [unrolled: 1-line block ×14, first 2 shown]
	s_addc_u32 s35, s35, 0
	v_lshl_add_u64 v[58:59], v[58:59], 0, s[30:31]
	v_lshl_add_u64 v[60:61], v[60:61], 0, s[30:31]
	s_cbranch_vccz .LBB180_50
; %bb.41:                               ;   in Loop: Header=BB180_3 Depth=1
	v_mov_b32_e32 v66, v2
	s_branch .LBB180_3
.LBB180_42:                             ;   in Loop: Header=BB180_3 Depth=1
	v_lshl_add_u64 v[4:5], v[58:59], 0, v[28:29]
	global_load_ushort v2, v[4:5], off
	v_lshl_add_u64 v[4:5], v[60:61], 0, v[28:29]
	global_load_ushort v10, v[4:5], off
	v_mov_b32_e32 v8, v3
	v_mov_b32_e32 v9, v3
	;; [unrolled: 1-line block ×13, first 2 shown]
	s_waitcnt vmcnt(1)
	v_cvt_f32_f16_e32 v2, v2
	v_mov_b64_e32 v[24:25], v[8:9]
	s_waitcnt vmcnt(0)
	v_cvt_f32_f16_e32 v10, v10
	v_mov_b64_e32 v[22:23], v[6:7]
	v_mov_b64_e32 v[20:21], v[4:5]
	v_mov_b64_e32 v[18:19], v[2:3]
	s_or_b64 exec, exec, s[18:19]
	s_and_saveexec_b64 s[18:19], s[6:7]
	s_cbranch_execz .LBB180_32
.LBB180_43:                             ;   in Loop: Header=BB180_3 Depth=1
	v_lshl_add_u64 v[4:5], v[54:55], 0, v[28:29]
	global_load_ushort v2, v[4:5], off
	v_lshl_add_u64 v[4:5], v[56:57], 0, v[28:29]
	global_load_ushort v4, v[4:5], off
	s_waitcnt vmcnt(1)
	v_cvt_f32_f16_e32 v19, v2
	s_waitcnt vmcnt(0)
	v_cvt_f32_f16_e32 v11, v4
	s_or_b64 exec, exec, s[18:19]
	s_and_saveexec_b64 s[18:19], s[6:7]
	s_cbranch_execz .LBB180_33
.LBB180_44:                             ;   in Loop: Header=BB180_3 Depth=1
	v_lshl_add_u64 v[4:5], v[50:51], 0, v[28:29]
	global_load_ushort v2, v[4:5], off
	v_lshl_add_u64 v[4:5], v[52:53], 0, v[28:29]
	global_load_ushort v4, v[4:5], off
	s_waitcnt vmcnt(1)
	v_cvt_f32_f16_e32 v20, v2
	s_waitcnt vmcnt(0)
	v_cvt_f32_f16_e32 v12, v4
	s_or_b64 exec, exec, s[18:19]
	s_and_saveexec_b64 s[18:19], s[6:7]
	s_cbranch_execz .LBB180_34
.LBB180_45:                             ;   in Loop: Header=BB180_3 Depth=1
	v_lshl_add_u64 v[4:5], v[46:47], 0, v[28:29]
	global_load_ushort v2, v[4:5], off
	v_lshl_add_u64 v[4:5], v[48:49], 0, v[28:29]
	global_load_ushort v4, v[4:5], off
	s_waitcnt vmcnt(1)
	v_cvt_f32_f16_e32 v21, v2
	s_waitcnt vmcnt(0)
	v_cvt_f32_f16_e32 v13, v4
	s_or_b64 exec, exec, s[18:19]
	s_and_saveexec_b64 s[18:19], s[6:7]
	s_cbranch_execz .LBB180_35
.LBB180_46:                             ;   in Loop: Header=BB180_3 Depth=1
	v_lshl_add_u64 v[4:5], v[42:43], 0, v[28:29]
	global_load_ushort v2, v[4:5], off
	v_lshl_add_u64 v[4:5], v[44:45], 0, v[28:29]
	global_load_ushort v4, v[4:5], off
	s_waitcnt vmcnt(1)
	v_cvt_f32_f16_e32 v22, v2
	s_waitcnt vmcnt(0)
	v_cvt_f32_f16_e32 v14, v4
	s_or_b64 exec, exec, s[18:19]
	s_and_saveexec_b64 s[18:19], s[6:7]
	s_cbranch_execz .LBB180_36
.LBB180_47:                             ;   in Loop: Header=BB180_3 Depth=1
	v_lshl_add_u64 v[4:5], v[38:39], 0, v[28:29]
	global_load_ushort v2, v[4:5], off
	v_lshl_add_u64 v[4:5], v[40:41], 0, v[28:29]
	global_load_ushort v4, v[4:5], off
	s_waitcnt vmcnt(1)
	v_cvt_f32_f16_e32 v23, v2
	s_waitcnt vmcnt(0)
	v_cvt_f32_f16_e32 v15, v4
	s_or_b64 exec, exec, s[18:19]
	s_and_saveexec_b64 s[18:19], s[6:7]
	s_cbranch_execz .LBB180_37
.LBB180_48:                             ;   in Loop: Header=BB180_3 Depth=1
	v_lshl_add_u64 v[4:5], v[34:35], 0, v[28:29]
	global_load_ushort v2, v[4:5], off
	v_lshl_add_u64 v[4:5], v[36:37], 0, v[28:29]
	global_load_ushort v4, v[4:5], off
	s_waitcnt vmcnt(1)
	v_cvt_f32_f16_e32 v24, v2
	s_waitcnt vmcnt(0)
	v_cvt_f32_f16_e32 v16, v4
	s_or_b64 exec, exec, s[18:19]
	s_and_saveexec_b64 s[18:19], s[6:7]
	s_cbranch_execnz .LBB180_38
	s_branch .LBB180_39
.LBB180_49:
                                        ; implicit-def: $vgpr2
	s_branch .LBB180_51
.LBB180_50:
	s_cbranch_execnz .LBB180_83
.LBB180_51:
	s_and_b64 vcc, exec, s[4:5]
	v_mov_b32_e32 v2, 0
	s_cbranch_vccnz .LBB180_83
; %bb.52:
	v_and_b32_e32 v1, 0x3ff, v0
	v_add_u32_e32 v2, s33, v1
	v_mov_b32_e32 v3, 0
	v_bfe_u32 v92, v0, 10, 10
	v_lshlrev_b64 v[28:29], 1, v[2:3]
	v_lshlrev_b32_e32 v2, 4, v92
	v_lshl_add_u64 v[4:5], s[26:27], 1, v[2:3]
	v_lshl_add_u64 v[6:7], v[4:5], 0, 2
	v_mov_b64_e32 v[8:9], s[12:13]
	v_lshl_add_u64 v[10:11], v[4:5], 0, 4
	v_lshl_add_u64 v[12:13], v[4:5], 0, 6
	;; [unrolled: 1-line block ×6, first 2 shown]
	v_mad_u64_u32 v[30:31], s[4:5], s10, v6, v[8:9]
	v_mad_u64_u32 v[32:33], s[4:5], s10, v10, v[8:9]
	;; [unrolled: 1-line block ×7, first 2 shown]
	v_mov_b64_e32 v[8:9], s[14:15]
	v_lshlrev_b32_e32 v26, 3, v92
	v_mov_b32_e32 v27, v3
	v_mul_lo_u32 v2, s10, v7
	v_mul_lo_u32 v7, s11, v6
	v_mad_u64_u32 v[44:45], s[4:5], s10, v6, v[8:9]
	v_add3_u32 v31, v7, v31, v2
	v_mul_lo_u32 v5, s10, v5
	v_mul_lo_u32 v25, s11, v4
	v_add3_u32 v45, v7, v45, v2
	v_lshl_add_u64 v[6:7], v[26:27], 0, s[26:27]
	v_mad_u64_u32 v[56:57], s[4:5], s10, v4, v[8:9]
	v_add3_u32 v43, v25, v43, v5
	v_add3_u32 v57, v25, v57, v5
	v_lshl_add_u64 v[4:5], v[6:7], 0, 7
	v_mad_u64_u32 v[46:47], s[4:5], s10, v10, v[8:9]
	v_mad_u64_u32 v[48:49], s[4:5], s10, v12, v[8:9]
	;; [unrolled: 1-line block ×5, first 2 shown]
	v_mul_lo_u32 v8, s11, v4
	v_mul_lo_u32 v9, s10, v5
	v_mad_u64_u32 v[4:5], s[4:5], s10, v4, 0
	v_mul_lo_u32 v11, s10, v11
	v_mul_lo_u32 v20, s11, v10
	v_add3_u32 v5, v5, v9, v8
	v_lshl_add_u64 v[8:9], v[6:7], 0, 6
	v_add3_u32 v33, v20, v33, v11
	v_add3_u32 v47, v20, v47, v11
	v_mul_lo_u32 v10, s11, v8
	v_mul_lo_u32 v11, s10, v9
	v_mad_u64_u32 v[8:9], s[4:5], s10, v8, 0
	v_mul_lo_u32 v13, s10, v13
	v_mul_lo_u32 v21, s11, v12
	v_add3_u32 v9, v9, v11, v10
	v_lshl_add_u64 v[10:11], v[6:7], 0, 5
	v_add3_u32 v35, v21, v35, v13
	v_add3_u32 v49, v21, v49, v13
	;; [unrolled: 9-line block ×4, first 2 shown]
	v_mul_lo_u32 v16, s11, v14
	v_mul_lo_u32 v17, s10, v15
	v_mad_u64_u32 v[14:15], s[4:5], s10, v14, 0
	v_mul_lo_u32 v19, s10, v19
	v_mul_lo_u32 v24, s11, v18
	v_add3_u32 v15, v15, v17, v16
	v_lshl_add_u64 v[16:17], v[6:7], 0, 2
	s_load_dword s3, s[0:1], 0x44
	v_lshlrev_b64 v[4:5], 1, v[4:5]
	v_add3_u32 v41, v24, v41, v19
	v_add3_u32 v55, v24, v55, v19
	v_mul_lo_u32 v18, s11, v16
	v_mul_lo_u32 v19, s10, v17
	v_mad_u64_u32 v[16:17], s[4:5], s10, v16, 0
	v_lshl_add_u64 v[62:63], s[12:13], 0, v[4:5]
	v_lshl_add_u64 v[64:65], s[14:15], 0, v[4:5]
	v_lshlrev_b64 v[4:5], 1, v[8:9]
	v_add3_u32 v17, v17, v19, v18
	v_mov_b64_e32 v[18:19], s[10:11]
	v_lshl_add_u64 v[66:67], s[12:13], 0, v[4:5]
	v_lshl_add_u64 v[68:69], s[14:15], 0, v[4:5]
	v_lshlrev_b64 v[4:5], 1, v[10:11]
	v_mul_lo_u32 v2, s11, v6
	v_mad_u64_u32 v[18:19], s[4:5], s10, v6, v[18:19]
	v_mul_lo_u32 v20, s10, v7
	v_mad_u64_u32 v[6:7], s[4:5], s10, v6, 0
	v_lshl_add_u64 v[70:71], s[12:13], 0, v[4:5]
	v_lshl_add_u64 v[72:73], s[14:15], 0, v[4:5]
	v_lshlrev_b64 v[4:5], 1, v[12:13]
	s_add_u32 s4, s0, 64
	v_lshl_add_u64 v[74:75], s[12:13], 0, v[4:5]
	v_lshl_add_u64 v[76:77], s[14:15], 0, v[4:5]
	v_lshlrev_b64 v[4:5], 1, v[14:15]
	v_add3_u32 v7, v7, v20, v2
	v_add3_u32 v19, v2, v19, v20
	s_addc_u32 s5, s1, 0
	s_waitcnt lgkmcnt(0)
	s_lshl_b32 s3, s3, 6
	v_lshl_add_u64 v[78:79], s[12:13], 0, v[4:5]
	v_lshl_add_u64 v[80:81], s[14:15], 0, v[4:5]
	v_lshlrev_b64 v[4:5], 1, v[16:17]
	v_mbcnt_lo_u32_b32 v2, -1, 0
	s_add_u32 s6, s26, 63
	s_mul_i32 s17, s11, s3
	s_mul_hi_u32 s18, s10, s3
	v_lshlrev_b64 v[6:7], 1, v[6:7]
	v_lshl_add_u64 v[82:83], s[12:13], 0, v[4:5]
	v_lshl_add_u64 v[84:85], s[14:15], 0, v[4:5]
	v_lshlrev_b64 v[4:5], 1, v[18:19]
	v_mbcnt_hi_u32_b32 v2, -1, v2
	s_addc_u32 s7, 0, 0
	s_add_i32 s19, s18, s17
	s_mul_i32 s18, s10, s3
	v_lshl_add_u64 v[58:59], s[12:13], 0, v[6:7]
	v_lshl_add_u64 v[60:61], s[14:15], 0, v[6:7]
	;; [unrolled: 1-line block ×4, first 2 shown]
	s_movk_i32 s12, 0xffc1
	s_movk_i32 s14, 0xffc2
	;; [unrolled: 1-line block ×8, first 2 shown]
	v_lshlrev_b32_e32 v2, 2, v2
	s_mov_b32 s16, 0
	s_lshl_b64 s[28:29], s[18:19], 1
	s_mov_b32 s13, -1
	s_mov_b32 s15, -1
	;; [unrolled: 1-line block ×8, first 2 shown]
	v_and_b32_e32 v93, 0x100, v2
	v_mov_b32_e32 v94, 0
.LBB180_53:                             ; =>This Inner Loop Header: Depth=1
	v_mov_b64_e32 v[4:5], s[8:9]
	v_cmp_ge_i64_e32 vcc, s[6:7], v[4:5]
	v_lshl_add_u64 v[90:91], v[26:27], 0, s[6:7]
	s_cbranch_vccz .LBB180_75
; %bb.54:                               ;   in Loop: Header=BB180_53 Depth=1
	s_load_dword s17, s[4:5], 0xc
	v_mov_b32_e32 v95, 0
	s_waitcnt lgkmcnt(0)
	s_and_b32 s17, s17, 0xffff
	v_mad_u32_u24 v2, v92, s17, v1
	v_and_b32_e32 v2, 63, v2
	v_cmp_gt_u32_e32 vcc, 8, v2
	s_and_saveexec_b64 s[18:19], vcc
	s_cbranch_execz .LBB180_58
; %bb.55:                               ;   in Loop: Header=BB180_53 Depth=1
	v_lshl_add_u64 v[4:5], v[90:91], 0, v[2:3]
	v_lshl_add_u64 v[4:5], v[4:5], 0, s[12:13]
	v_cmp_gt_i64_e32 vcc, s[8:9], v[4:5]
	v_mov_b32_e32 v95, 0
	s_and_saveexec_b64 s[20:21], vcc
	s_cbranch_execz .LBB180_57
; %bb.56:                               ;   in Loop: Header=BB180_53 Depth=1
	v_lshl_add_u64 v[4:5], v[4:5], 2, s[24:25]
	global_load_dword v95, v[4:5], off
.LBB180_57:                             ;   in Loop: Header=BB180_53 Depth=1
	s_or_b64 exec, exec, s[20:21]
.LBB180_58:                             ;   in Loop: Header=BB180_53 Depth=1
	s_or_b64 exec, exec, s[18:19]
	s_mov_b32 s17, s16
	s_mov_b32 s18, s16
	;; [unrolled: 1-line block ×7, first 2 shown]
	v_mov_b64_e32 v[10:11], s[16:17]
	v_mov_b64_e32 v[16:17], s[22:23]
	v_lshl_add_u64 v[4:5], v[90:91], 0, s[12:13]
	v_mov_b64_e32 v[12:13], s[18:19]
	v_mov_b64_e32 v[14:15], s[20:21]
	;; [unrolled: 1-line block ×3, first 2 shown]
	v_cmp_gt_i64_e32 vcc, s[8:9], v[4:5]
	v_mov_b64_e32 v[22:23], v[14:15]
	v_mov_b64_e32 v[20:21], v[12:13]
	;; [unrolled: 1-line block ×3, first 2 shown]
	s_and_saveexec_b64 s[18:19], vcc
	s_cbranch_execz .LBB180_60
; %bb.59:                               ;   in Loop: Header=BB180_53 Depth=1
	v_lshl_add_u64 v[4:5], v[58:59], 0, v[28:29]
	global_load_ushort v2, v[4:5], off
	v_lshl_add_u64 v[4:5], v[60:61], 0, v[28:29]
	global_load_ushort v10, v[4:5], off
	v_mov_b32_e32 v8, v3
	v_mov_b32_e32 v9, v3
	;; [unrolled: 1-line block ×13, first 2 shown]
	s_waitcnt vmcnt(1)
	v_cvt_f32_f16_e32 v2, v2
	v_mov_b64_e32 v[24:25], v[8:9]
	s_waitcnt vmcnt(0)
	v_cvt_f32_f16_e32 v10, v10
	v_mov_b64_e32 v[22:23], v[6:7]
	v_mov_b64_e32 v[20:21], v[4:5]
	;; [unrolled: 1-line block ×3, first 2 shown]
.LBB180_60:                             ;   in Loop: Header=BB180_53 Depth=1
	s_or_b64 exec, exec, s[18:19]
	v_lshl_add_u64 v[4:5], v[90:91], 0, s[14:15]
	v_cmp_gt_i64_e32 vcc, s[8:9], v[4:5]
	s_and_saveexec_b64 s[18:19], vcc
	s_cbranch_execz .LBB180_62
; %bb.61:                               ;   in Loop: Header=BB180_53 Depth=1
	v_lshl_add_u64 v[4:5], v[86:87], 0, v[28:29]
	global_load_ushort v2, v[4:5], off
	v_lshl_add_u64 v[4:5], v[88:89], 0, v[28:29]
	global_load_ushort v4, v[4:5], off
	s_waitcnt vmcnt(1)
	v_cvt_f32_f16_e32 v19, v2
	s_waitcnt vmcnt(0)
	v_cvt_f32_f16_e32 v11, v4
.LBB180_62:                             ;   in Loop: Header=BB180_53 Depth=1
	s_or_b64 exec, exec, s[18:19]
	v_lshl_add_u64 v[4:5], v[90:91], 0, s[30:31]
	v_cmp_gt_i64_e32 vcc, s[8:9], v[4:5]
	s_and_saveexec_b64 s[18:19], vcc
	s_cbranch_execz .LBB180_64
; %bb.63:                               ;   in Loop: Header=BB180_53 Depth=1
	v_lshl_add_u64 v[4:5], v[82:83], 0, v[28:29]
	global_load_ushort v2, v[4:5], off
	v_lshl_add_u64 v[4:5], v[84:85], 0, v[28:29]
	global_load_ushort v4, v[4:5], off
	s_waitcnt vmcnt(1)
	v_cvt_f32_f16_e32 v20, v2
	s_waitcnt vmcnt(0)
	v_cvt_f32_f16_e32 v12, v4
.LBB180_64:                             ;   in Loop: Header=BB180_53 Depth=1
	;; [unrolled: 15-line block ×7, first 2 shown]
	s_or_b64 exec, exec, s[18:19]
	s_waitcnt vmcnt(0)
	ds_bpermute_b32 v4, v93, v95
	ds_bpermute_b32 v5, v93, v95 offset:4
	v_pk_mul_f32 v[8:9], v[14:15], v[22:23]
	ds_bpermute_b32 v14, v93, v95 offset:8
	ds_bpermute_b32 v15, v93, v95 offset:12
	v_pk_mul_f32 v[10:11], v[10:11], v[18:19]
	v_pk_mul_f32 v[12:13], v[12:13], v[20:21]
	s_waitcnt lgkmcnt(2)
	v_pk_mul_f32 v[4:5], v[10:11], v[4:5]
	ds_bpermute_b32 v10, v93, v95 offset:16
	ds_bpermute_b32 v11, v93, v95 offset:20
	v_add_f32_e32 v2, v94, v4
	v_add_f32_e32 v2, v2, v5
	s_waitcnt lgkmcnt(2)
	v_pk_mul_f32 v[4:5], v[12:13], v[14:15]
	ds_bpermute_b32 v12, v93, v95 offset:24
	ds_bpermute_b32 v13, v93, v95 offset:28
	v_add_f32_e32 v2, v2, v4
	v_add_f32_e32 v2, v2, v5
	s_waitcnt lgkmcnt(2)
	v_pk_mul_f32 v[4:5], v[8:9], v[10:11]
	v_pk_mul_f32 v[6:7], v[16:17], v[24:25]
	v_add_f32_e32 v2, v2, v4
	v_add_f32_e32 v2, v2, v5
	s_waitcnt lgkmcnt(0)
	v_pk_mul_f32 v[4:5], v[6:7], v[12:13]
	s_nop 0
	v_add_f32_e32 v2, v2, v4
	v_add_f32_e32 v2, v2, v5
	s_branch .LBB180_81
.LBB180_75:                             ;   in Loop: Header=BB180_53 Depth=1
                                        ; implicit-def: $vgpr2
	s_cbranch_execz .LBB180_81
; %bb.76:                               ;   in Loop: Header=BB180_53 Depth=1
	s_load_dword s17, s[4:5], 0x0
	v_mov_b32_e32 v6, 0
	s_waitcnt lgkmcnt(0)
	s_cmp_lt_u32 s2, s17
	s_cselect_b32 s17, 12, 18
	s_add_u32 s18, s4, s17
	s_addc_u32 s19, s5, 0
	global_load_ushort v2, v3, s[18:19]
	s_waitcnt vmcnt(0)
	v_mad_u32_u24 v2, v92, v2, v1
	v_and_b32_e32 v2, 63, v2
	v_cmp_gt_u32_e32 vcc, 8, v2
	s_and_saveexec_b64 s[18:19], vcc
	s_cbranch_execz .LBB180_80
; %bb.77:                               ;   in Loop: Header=BB180_53 Depth=1
	v_lshl_add_u64 v[4:5], v[90:91], 0, v[2:3]
	v_lshl_add_u64 v[4:5], v[4:5], 0, s[12:13]
	v_cmp_gt_i64_e32 vcc, s[8:9], v[4:5]
	v_mov_b32_e32 v6, 0
	s_and_saveexec_b64 s[20:21], vcc
	s_cbranch_execz .LBB180_79
; %bb.78:                               ;   in Loop: Header=BB180_53 Depth=1
	v_lshl_add_u64 v[4:5], v[4:5], 2, s[24:25]
	global_load_dword v6, v[4:5], off
.LBB180_79:                             ;   in Loop: Header=BB180_53 Depth=1
	s_or_b64 exec, exec, s[20:21]
.LBB180_80:                             ;   in Loop: Header=BB180_53 Depth=1
	s_or_b64 exec, exec, s[18:19]
	v_lshl_add_u64 v[4:5], v[58:59], 0, v[28:29]
	global_load_ushort v2, v[4:5], off
	v_lshl_add_u64 v[4:5], v[60:61], 0, v[28:29]
	global_load_ushort v7, v[4:5], off
	;; [unrolled: 2-line block ×16, first 2 shown]
	s_waitcnt vmcnt(16)
	ds_bpermute_b32 v5, v93, v6
	ds_bpermute_b32 v21, v93, v6 offset:4
	ds_bpermute_b32 v22, v93, v6 offset:8
	;; [unrolled: 1-line block ×7, first 2 shown]
	s_waitcnt vmcnt(15)
	v_cvt_f32_f16_e32 v2, v2
	s_waitcnt vmcnt(14)
	v_cvt_f32_f16_e32 v7, v7
	;; [unrolled: 2-line block ×4, first 2 shown]
	v_mul_f32_e32 v2, v2, v7
	s_waitcnt vmcnt(11)
	v_cvt_f32_f16_e32 v10, v10
	s_waitcnt lgkmcnt(7)
	v_fmac_f32_e32 v94, v2, v5
	s_waitcnt vmcnt(10)
	v_cvt_f32_f16_e32 v11, v11
	v_mul_f32_e32 v7, v8, v9
	s_waitcnt vmcnt(9)
	v_cvt_f32_f16_e32 v12, v12
	s_waitcnt lgkmcnt(6)
	v_fmac_f32_e32 v94, v7, v21
	s_waitcnt vmcnt(8)
	v_cvt_f32_f16_e32 v13, v13
	v_mul_f32_e32 v8, v10, v11
	s_waitcnt vmcnt(7)
	v_cvt_f32_f16_e32 v14, v14
	s_waitcnt lgkmcnt(5)
	v_fmac_f32_e32 v94, v8, v22
	s_waitcnt vmcnt(6)
	v_cvt_f32_f16_e32 v15, v15
	v_mul_f32_e32 v9, v12, v13
	s_waitcnt vmcnt(5)
	v_cvt_f32_f16_e32 v16, v16
	s_waitcnt lgkmcnt(4)
	v_fmac_f32_e32 v94, v9, v23
	s_waitcnt vmcnt(4)
	v_cvt_f32_f16_e32 v17, v17
	v_mul_f32_e32 v10, v14, v15
	s_waitcnt vmcnt(3)
	v_cvt_f32_f16_e32 v18, v18
	s_waitcnt lgkmcnt(3)
	v_fmac_f32_e32 v94, v10, v24
	s_waitcnt vmcnt(2)
	v_cvt_f32_f16_e32 v19, v19
	v_mul_f32_e32 v11, v16, v17
	s_waitcnt vmcnt(1)
	v_cvt_f32_f16_e32 v20, v20
	s_waitcnt lgkmcnt(2)
	v_fmac_f32_e32 v94, v11, v25
	s_waitcnt vmcnt(0)
	v_cvt_f32_f16_e32 v4, v4
	v_mul_f32_e32 v12, v18, v19
	s_waitcnt lgkmcnt(1)
	v_fmac_f32_e32 v94, v12, v90
	v_mul_f32_e32 v2, v20, v4
	s_waitcnt lgkmcnt(0)
	v_fmac_f32_e32 v94, v2, v6
	v_mov_b32_e32 v2, v94
.LBB180_81:                             ;   in Loop: Header=BB180_53 Depth=1
	s_add_u32 s26, s26, s3
	s_addc_u32 s27, s27, 0
	v_mov_b64_e32 v[4:5], s[8:9]
	s_add_u32 s6, s6, s3
	v_cmp_ge_i64_e32 vcc, s[26:27], v[4:5]
	s_addc_u32 s7, s7, 0
	v_lshl_add_u64 v[30:31], v[30:31], 0, s[28:29]
	v_lshl_add_u64 v[32:33], v[32:33], 0, s[28:29]
	;; [unrolled: 1-line block ×30, first 2 shown]
	s_cbranch_vccnz .LBB180_83
; %bb.82:                               ;   in Loop: Header=BB180_53 Depth=1
	v_mov_b32_e32 v94, v2
	s_branch .LBB180_53
.LBB180_83:
	v_and_b32_e32 v3, 0x3ff, v0
	v_bfe_u32 v0, v0, 10, 10
	v_mad_u32_u24 v4, v0, 33, v3
	v_lshl_add_u32 v5, v4, 2, 0
	ds_write_b32 v5, v2
	v_sub_u32_e32 v2, v4, v0
	s_movk_i32 s4, 0x800
	s_mov_b32 s3, 0
	v_mov_b32_e32 v1, 0
	v_cmp_gt_u32_e32 vcc, s4, v2
	ds_write_b32 v5, v1 offset:1056
	s_waitcnt lgkmcnt(0)
	s_barrier
	s_and_saveexec_b64 s[4:5], vcc
	s_cbranch_execz .LBB180_90
; %bb.84:
	v_mbcnt_lo_u32_b32 v4, -1, 0
	v_mbcnt_hi_u32_b32 v6, -1, v4
	v_and_b32_e32 v4, 64, v6
	s_load_dwordx2 s[14:15], s[0:1], 0x30
	v_add_u32_e32 v7, 64, v4
	v_cmp_ne_u32_e64 s[0:1], 0, v3
	v_xor_b32_e32 v3, 4, v6
	v_cmp_lt_i32_e64 s[4:5], v3, v7
	s_lshl_b64 s[6:7], s[2:3], 5
	s_waitcnt lgkmcnt(0)
	s_cmp_eq_u64 s[14:15], 0
	v_cndmask_b32_e64 v3, v6, v3, s[4:5]
	v_lshlrev_b32_e32 v4, 2, v3
	v_xor_b32_e32 v3, 2, v6
	v_cmp_lt_i32_e64 s[4:5], v3, v7
	v_lshrrev_b32_e32 v0, 6, v2
	v_and_b32_e32 v2, 63, v2
	v_cndmask_b32_e64 v3, v6, v3, s[4:5]
	v_lshlrev_b32_e32 v5, 2, v3
	v_xor_b32_e32 v3, 1, v6
	v_cmp_lt_i32_e64 s[4:5], v3, v7
	s_cselect_b64 s[12:13], -1, 0
	s_lshl_b64 s[2:3], s[2:3], 6
	v_cndmask_b32_e64 v3, v6, v3, s[4:5]
	v_cmp_gt_u32_e32 vcc, 8, v2
	v_mul_u32_u24_e32 v2, 0x84, v2
	v_lshlrev_b32_e32 v6, 2, v3
	v_lshlrev_b32_e32 v3, 2, v0
	s_add_u32 s2, s14, s2
	v_add3_u32 v7, v2, v3, 0
	v_lshlrev_b32_e32 v2, 1, v0
	v_mov_b32_e32 v3, v1
	s_addc_u32 s3, s15, s3
	s_mov_b64 s[8:9], 0
	v_lshl_add_u64 v[2:3], s[2:3], 0, v[2:3]
                                        ; implicit-def: $vgpr8
	s_branch .LBB180_86
.LBB180_85:                             ;   in Loop: Header=BB180_86 Depth=1
	s_or_b64 exec, exec, s[2:3]
	v_lshl_add_u64 v[0:1], v[0:1], 0, 4
	v_add_u32_e32 v9, -4, v0
	v_cmp_lt_u32_e64 s[2:3], 27, v9
	v_add_u32_e32 v7, 16, v7
	s_or_b64 s[8:9], s[2:3], s[8:9]
	v_lshl_add_u64 v[2:3], v[2:3], 0, 8
	s_andn2_b64 exec, exec, s[8:9]
	s_cbranch_execz .LBB180_90
.LBB180_86:                             ; =>This Inner Loop Header: Depth=1
	s_and_saveexec_b64 s[2:3], vcc
	s_cbranch_execz .LBB180_88
; %bb.87:                               ;   in Loop: Header=BB180_86 Depth=1
	ds_read_b32 v8, v7
.LBB180_88:                             ;   in Loop: Header=BB180_86 Depth=1
	s_or_b64 exec, exec, s[2:3]
	s_waitcnt lgkmcnt(0)
	ds_bpermute_b32 v9, v4, v8
	s_waitcnt lgkmcnt(0)
	v_add_f32_e32 v8, v8, v9
	ds_bpermute_b32 v9, v5, v8
	s_waitcnt lgkmcnt(0)
	v_add_f32_e32 v10, v8, v9
	ds_bpermute_b32 v11, v6, v10
	v_lshl_add_u64 v[8:9], s[6:7], 0, v[0:1]
	v_cmp_le_i64_e64 s[2:3], s[10:11], v[8:9]
	s_or_b64 s[2:3], s[0:1], s[2:3]
	s_or_b64 s[2:3], s[12:13], s[2:3]
	s_waitcnt lgkmcnt(0)
	v_add_f32_e32 v8, v10, v11
	s_xor_b64 s[4:5], s[2:3], -1
	s_and_saveexec_b64 s[2:3], s[4:5]
	s_cbranch_execz .LBB180_85
; %bb.89:                               ;   in Loop: Header=BB180_86 Depth=1
	v_cvt_f16_f32_e32 v9, v8
	global_store_short v[2:3], v9, off
	s_branch .LBB180_85
.LBB180_90:
	s_endpgm
	.section	.rodata,"a",@progbits
	.p2align	6, 0x0
	.amdhsa_kernel _ZN2at6native12_GLOBAL__N_135GammaBetaBackwardCUDAKernelTemplateIN3c104HalfEfLj32ELj8ELj64ELb0ELb0ELb1EEEvllPKT_S7_PKT0_SA_PS5_SB_
		.amdhsa_group_segment_fixed_size 0
		.amdhsa_private_segment_fixed_size 0
		.amdhsa_kernarg_size 320
		.amdhsa_user_sgpr_count 2
		.amdhsa_user_sgpr_dispatch_ptr 0
		.amdhsa_user_sgpr_queue_ptr 0
		.amdhsa_user_sgpr_kernarg_segment_ptr 1
		.amdhsa_user_sgpr_dispatch_id 0
		.amdhsa_user_sgpr_kernarg_preload_length 0
		.amdhsa_user_sgpr_kernarg_preload_offset 0
		.amdhsa_user_sgpr_private_segment_size 0
		.amdhsa_uses_dynamic_stack 0
		.amdhsa_enable_private_segment 0
		.amdhsa_system_sgpr_workgroup_id_x 1
		.amdhsa_system_sgpr_workgroup_id_y 1
		.amdhsa_system_sgpr_workgroup_id_z 0
		.amdhsa_system_sgpr_workgroup_info 0
		.amdhsa_system_vgpr_workitem_id 1
		.amdhsa_next_free_vgpr 96
		.amdhsa_next_free_sgpr 56
		.amdhsa_accum_offset 96
		.amdhsa_reserve_vcc 1
		.amdhsa_float_round_mode_32 0
		.amdhsa_float_round_mode_16_64 0
		.amdhsa_float_denorm_mode_32 3
		.amdhsa_float_denorm_mode_16_64 3
		.amdhsa_dx10_clamp 1
		.amdhsa_ieee_mode 1
		.amdhsa_fp16_overflow 0
		.amdhsa_tg_split 0
		.amdhsa_exception_fp_ieee_invalid_op 0
		.amdhsa_exception_fp_denorm_src 0
		.amdhsa_exception_fp_ieee_div_zero 0
		.amdhsa_exception_fp_ieee_overflow 0
		.amdhsa_exception_fp_ieee_underflow 0
		.amdhsa_exception_fp_ieee_inexact 0
		.amdhsa_exception_int_div_zero 0
	.end_amdhsa_kernel
	.section	.text._ZN2at6native12_GLOBAL__N_135GammaBetaBackwardCUDAKernelTemplateIN3c104HalfEfLj32ELj8ELj64ELb0ELb0ELb1EEEvllPKT_S7_PKT0_SA_PS5_SB_,"axG",@progbits,_ZN2at6native12_GLOBAL__N_135GammaBetaBackwardCUDAKernelTemplateIN3c104HalfEfLj32ELj8ELj64ELb0ELb0ELb1EEEvllPKT_S7_PKT0_SA_PS5_SB_,comdat
.Lfunc_end180:
	.size	_ZN2at6native12_GLOBAL__N_135GammaBetaBackwardCUDAKernelTemplateIN3c104HalfEfLj32ELj8ELj64ELb0ELb0ELb1EEEvllPKT_S7_PKT0_SA_PS5_SB_, .Lfunc_end180-_ZN2at6native12_GLOBAL__N_135GammaBetaBackwardCUDAKernelTemplateIN3c104HalfEfLj32ELj8ELj64ELb0ELb0ELb1EEEvllPKT_S7_PKT0_SA_PS5_SB_
                                        ; -- End function
	.section	.AMDGPU.csdata,"",@progbits
; Kernel info:
; codeLenInByte = 6596
; NumSgprs: 62
; NumVgprs: 96
; NumAgprs: 0
; TotalNumVgprs: 96
; ScratchSize: 0
; MemoryBound: 0
; FloatMode: 240
; IeeeMode: 1
; LDSByteSize: 0 bytes/workgroup (compile time only)
; SGPRBlocks: 7
; VGPRBlocks: 11
; NumSGPRsForWavesPerEU: 62
; NumVGPRsForWavesPerEU: 96
; AccumOffset: 96
; Occupancy: 5
; WaveLimiterHint : 0
; COMPUTE_PGM_RSRC2:SCRATCH_EN: 0
; COMPUTE_PGM_RSRC2:USER_SGPR: 2
; COMPUTE_PGM_RSRC2:TRAP_HANDLER: 0
; COMPUTE_PGM_RSRC2:TGID_X_EN: 1
; COMPUTE_PGM_RSRC2:TGID_Y_EN: 1
; COMPUTE_PGM_RSRC2:TGID_Z_EN: 0
; COMPUTE_PGM_RSRC2:TIDIG_COMP_CNT: 1
; COMPUTE_PGM_RSRC3_GFX90A:ACCUM_OFFSET: 23
; COMPUTE_PGM_RSRC3_GFX90A:TG_SPLIT: 0
	.section	.text._ZN2at6native12_GLOBAL__N_135GammaBetaBackwardCUDAKernelTemplateIN3c104HalfEfLj32ELj16ELj128ELb0ELb1ELb1EEEvllPKT_S7_PKT0_SA_PS5_SB_,"axG",@progbits,_ZN2at6native12_GLOBAL__N_135GammaBetaBackwardCUDAKernelTemplateIN3c104HalfEfLj32ELj16ELj128ELb0ELb1ELb1EEEvllPKT_S7_PKT0_SA_PS5_SB_,comdat
	.globl	_ZN2at6native12_GLOBAL__N_135GammaBetaBackwardCUDAKernelTemplateIN3c104HalfEfLj32ELj16ELj128ELb0ELb1ELb1EEEvllPKT_S7_PKT0_SA_PS5_SB_ ; -- Begin function _ZN2at6native12_GLOBAL__N_135GammaBetaBackwardCUDAKernelTemplateIN3c104HalfEfLj32ELj16ELj128ELb0ELb1ELb1EEEvllPKT_S7_PKT0_SA_PS5_SB_
	.p2align	8
	.type	_ZN2at6native12_GLOBAL__N_135GammaBetaBackwardCUDAKernelTemplateIN3c104HalfEfLj32ELj16ELj128ELb0ELb1ELb1EEEvllPKT_S7_PKT0_SA_PS5_SB_,@function
_ZN2at6native12_GLOBAL__N_135GammaBetaBackwardCUDAKernelTemplateIN3c104HalfEfLj32ELj16ELj128ELb0ELb1ELb1EEEvllPKT_S7_PKT0_SA_PS5_SB_: ; @_ZN2at6native12_GLOBAL__N_135GammaBetaBackwardCUDAKernelTemplateIN3c104HalfEfLj32ELj16ELj128ELb0ELb1ELb1EEEvllPKT_S7_PKT0_SA_PS5_SB_
; %bb.0:
	s_load_dwordx4 s[4:7], s[0:1], 0x0
	s_lshl_b32 s14, s3, 7
	s_mov_b32 s15, 0
	v_bfe_u32 v12, v0, 10, 10
	s_waitcnt lgkmcnt(0)
	v_mov_b64_e32 v[2:3], s[4:5]
	v_cmp_lt_i64_e32 vcc, s[14:15], v[2:3]
	s_cbranch_vccnz .LBB181_2
; %bb.1:
	s_mov_b64 s[8:9], 0
	v_bfe_u32 v2, v0, 10, 10
	s_branch .LBB181_3
.LBB181_2:
	s_mov_b64 s[8:9], -1
                                        ; implicit-def: $vgpr2
.LBB181_3:
	s_load_dwordx2 s[12:13], s[0:1], 0x30
	v_and_b32_e32 v10, 0x3ff, v0
	s_andn2_b64 vcc, exec, s[8:9]
	v_mov_b32_e32 v1, s15
	v_mbcnt_lo_u32_b32 v11, -1, 0
	s_cbranch_vccnz .LBB181_11
; %bb.4:
	s_load_dword s3, s[0:1], 0x4c
	s_load_dword s16, s[0:1], 0x44
	s_load_dwordx2 s[18:19], s[0:1], 0x28
	s_load_dwordx4 s[8:11], s[0:1], 0x10
	v_lshlrev_b32_e32 v0, 3, v12
	s_waitcnt lgkmcnt(0)
	s_and_b32 s0, s3, 0xffff
	v_mad_u32_u24 v1, v12, s0, v10
	v_and_b32_e32 v2, 63, v1
	v_mov_b32_e32 v1, 0
	v_mov_b32_e32 v3, v1
	v_lshl_add_u64 v[8:9], v[0:1], 0, s[14:15]
	v_cmp_gt_u32_e64 s[0:1], 8, v2
	v_mbcnt_hi_u32_b32 v4, -1, v11
	s_lshl_b32 s16, s16, 7
	v_lshl_add_u64 v[2:3], v[8:9], 0, v[2:3]
	v_mul_lo_u32 v0, s7, v8
	v_mul_lo_u32 v21, s6, v9
	v_mad_u64_u32 v[8:9], s[20:21], s6, v8, 0
	v_lshl_add_u32 v6, s2, 5, v10
	v_mov_b32_e32 v7, v1
	v_lshlrev_b32_e32 v4, 2, v4
	s_mul_i32 s3, s7, s16
	s_mul_hi_u32 s20, s6, s16
	s_mov_b32 s17, 0
	v_and_b32_e32 v13, 0x100, v4
	v_add3_u32 v9, v9, v21, v0
	v_lshlrev_b64 v[6:7], 1, v[6:7]
	s_add_i32 s21, s20, s3
	s_mul_i32 s20, s6, s16
	v_or_b32_e32 v14, 4, v13
	v_or_b32_e32 v15, 8, v13
	;; [unrolled: 1-line block ×7, first 2 shown]
	v_lshl_add_u64 v[4:5], v[2:3], 2, s[18:19]
	s_lshl_b64 s[18:19], s[16:17], 2
	v_lshl_add_u64 v[6:7], v[8:9], 1, v[6:7]
	s_lshl_b64 s[20:21], s[20:21], 1
	s_lshl_b64 s[6:7], s[6:7], 1
	v_mov_b64_e32 v[8:9], s[4:5]
	s_branch .LBB181_7
.LBB181_5:                              ;   in Loop: Header=BB181_7 Depth=1
	s_or_b64 exec, exec, s[24:25]
.LBB181_6:                              ;   in Loop: Header=BB181_7 Depth=1
	s_or_b64 exec, exec, s[22:23]
	v_lshl_add_u64 v[22:23], s[8:9], 0, v[6:7]
	global_load_ushort v21, v[22:23], off
	v_lshl_add_u64 v[24:25], s[10:11], 0, v[6:7]
	v_lshl_add_u64 v[22:23], v[22:23], 0, s[6:7]
	global_load_ushort v26, v[24:25], off
	global_load_ushort v27, v[22:23], off
	v_lshl_add_u64 v[24:25], v[24:25], 0, s[6:7]
	v_lshl_add_u64 v[22:23], v[22:23], 0, s[6:7]
	global_load_ushort v28, v[24:25], off
	;; [unrolled: 4-line block ×7, first 2 shown]
	global_load_ushort v39, v[22:23], off
	v_lshl_add_u64 v[22:23], v[24:25], 0, s[6:7]
	global_load_ushort v22, v[22:23], off
	s_waitcnt vmcnt(16)
	ds_bpermute_b32 v23, v13, v0
	ds_bpermute_b32 v24, v14, v0
	ds_bpermute_b32 v25, v15, v0
	ds_bpermute_b32 v40, v16, v0
	ds_bpermute_b32 v41, v17, v0
	ds_bpermute_b32 v42, v18, v0
	ds_bpermute_b32 v43, v19, v0
	ds_bpermute_b32 v0, v20, v0
	s_add_u32 s14, s14, s16
	s_addc_u32 s15, s15, 0
	v_cmp_lt_i64_e32 vcc, s[14:15], v[8:9]
	v_lshl_add_u64 v[4:5], v[4:5], 0, s[18:19]
	v_lshl_add_u64 v[2:3], v[2:3], 0, s[16:17]
	;; [unrolled: 1-line block ×3, first 2 shown]
	s_and_b64 vcc, exec, vcc
	s_waitcnt vmcnt(15)
	v_cvt_f32_f16_e32 v21, v21
	s_waitcnt vmcnt(14)
	v_cvt_f32_f16_e32 v26, v26
	;; [unrolled: 2-line block ×5, first 2 shown]
	v_mul_f32_e32 v21, v21, v26
	s_waitcnt lgkmcnt(7)
	v_fmac_f32_e32 v1, v21, v23
	s_waitcnt vmcnt(10)
	v_cvt_f32_f16_e32 v30, v30
	s_waitcnt vmcnt(9)
	v_cvt_f32_f16_e32 v31, v31
	v_mul_f32_e32 v21, v27, v28
	s_waitcnt lgkmcnt(6)
	v_fmac_f32_e32 v1, v21, v24
	s_waitcnt vmcnt(8)
	v_cvt_f32_f16_e32 v32, v32
	s_waitcnt vmcnt(7)
	v_cvt_f32_f16_e32 v33, v33
	;; [unrolled: 7-line block ×5, first 2 shown]
	v_mul_f32_e32 v21, v26, v35
	s_waitcnt vmcnt(0)
	v_cvt_f32_f16_e32 v22, v22
	s_waitcnt lgkmcnt(2)
	v_fmac_f32_e32 v1, v21, v42
	v_mul_f32_e32 v21, v23, v27
	s_waitcnt lgkmcnt(1)
	v_fmac_f32_e32 v1, v21, v43
	v_mul_f32_e32 v21, v24, v22
	s_waitcnt lgkmcnt(0)
	v_fmac_f32_e32 v1, v21, v0
	s_cbranch_vccz .LBB181_10
.LBB181_7:                              ; =>This Inner Loop Header: Depth=1
	v_mov_b32_e32 v0, 0
	s_and_saveexec_b64 s[22:23], s[0:1]
	s_cbranch_execz .LBB181_6
; %bb.8:                                ;   in Loop: Header=BB181_7 Depth=1
	v_cmp_gt_i64_e32 vcc, s[4:5], v[2:3]
	v_mov_b32_e32 v0, 0
	s_and_saveexec_b64 s[24:25], vcc
	s_cbranch_execz .LBB181_5
; %bb.9:                                ;   in Loop: Header=BB181_7 Depth=1
	global_load_dword v0, v[4:5], off
	s_branch .LBB181_5
.LBB181_10:
	v_mov_b32_e32 v2, v12
.LBB181_11:
	v_mad_u32_u24 v0, v2, 33, v10
	v_lshl_add_u32 v3, v0, 2, 0
	v_sub_u32_e32 v0, v0, v2
	s_movk_i32 s0, 0x800
	s_mov_b32 s3, 0
	ds_write_b32 v3, v1
	v_mov_b32_e32 v1, 0
	v_cmp_gt_u32_e32 vcc, s0, v0
	ds_write_b32 v3, v1 offset:2112
	s_waitcnt lgkmcnt(0)
	s_barrier
	s_and_saveexec_b64 s[0:1], vcc
	s_cbranch_execz .LBB181_18
; %bb.12:
	v_mbcnt_hi_u32_b32 v5, -1, v11
	v_and_b32_e32 v2, 64, v5
	s_cmp_lg_u64 s[12:13], 0
	v_add_u32_e32 v6, 64, v2
	v_cmp_eq_u32_e64 s[0:1], 0, v10
	s_cselect_b64 s[6:7], -1, 0
	v_xor_b32_e32 v2, 8, v5
	s_and_b64 s[6:7], s[0:1], s[6:7]
	v_cmp_lt_i32_e64 s[0:1], v2, v6
	v_xor_b32_e32 v3, 4, v5
	v_xor_b32_e32 v4, 2, v5
	v_cndmask_b32_e64 v2, v5, v2, s[0:1]
	v_cmp_lt_i32_e64 s[0:1], v3, v6
	v_xor_b32_e32 v7, 1, v5
	v_lshrrev_b32_e32 v8, 6, v0
	v_cndmask_b32_e64 v3, v5, v3, s[0:1]
	v_cmp_lt_i32_e64 s[0:1], v4, v6
	v_and_b32_e32 v0, 63, v0
	v_cmp_gt_u32_e32 vcc, 16, v0
	v_cndmask_b32_e64 v4, v5, v4, s[0:1]
	v_cmp_lt_i32_e64 s[0:1], v7, v6
	v_mul_u32_u24_e32 v0, 0x84, v0
	v_lshlrev_b32_e32 v6, 2, v8
	v_cndmask_b32_e64 v5, v5, v7, s[0:1]
	s_lshl_b64 s[0:1], s[2:3], 6
	s_add_u32 s0, s12, s0
	v_add3_u32 v6, v0, v6, 0
	v_lshlrev_b32_e32 v0, 1, v8
	s_addc_u32 s1, s13, s1
	s_mov_b64 s[4:5], 0
	v_lshlrev_b32_e32 v2, 2, v2
	v_lshlrev_b32_e32 v3, 2, v3
	;; [unrolled: 1-line block ×4, first 2 shown]
	v_add_u32_e32 v7, -8, v8
	v_lshl_add_u64 v[0:1], s[0:1], 0, v[0:1]
                                        ; implicit-def: $vgpr8
	s_branch .LBB181_14
.LBB181_13:                             ;   in Loop: Header=BB181_14 Depth=1
	s_or_b64 exec, exec, s[0:1]
	v_add_u32_e32 v7, 8, v7
	v_cmp_lt_u32_e64 s[0:1], 23, v7
	v_add_u32_e32 v6, 32, v6
	s_or_b64 s[4:5], s[0:1], s[4:5]
	v_lshl_add_u64 v[0:1], v[0:1], 0, 16
	s_andn2_b64 exec, exec, s[4:5]
	s_cbranch_execz .LBB181_18
.LBB181_14:                             ; =>This Inner Loop Header: Depth=1
	s_and_saveexec_b64 s[0:1], vcc
	s_cbranch_execz .LBB181_16
; %bb.15:                               ;   in Loop: Header=BB181_14 Depth=1
	ds_read_b32 v8, v6
.LBB181_16:                             ;   in Loop: Header=BB181_14 Depth=1
	s_or_b64 exec, exec, s[0:1]
	s_waitcnt lgkmcnt(0)
	ds_bpermute_b32 v9, v2, v8
	s_waitcnt lgkmcnt(0)
	v_add_f32_e32 v8, v8, v9
	ds_bpermute_b32 v9, v3, v8
	s_waitcnt lgkmcnt(0)
	v_add_f32_e32 v8, v8, v9
	;; [unrolled: 3-line block ×4, first 2 shown]
	s_and_saveexec_b64 s[0:1], s[6:7]
	s_cbranch_execz .LBB181_13
; %bb.17:                               ;   in Loop: Header=BB181_14 Depth=1
	v_cvt_f16_f32_e32 v9, v8
	global_store_short v[0:1], v9, off
	s_branch .LBB181_13
.LBB181_18:
	s_endpgm
	.section	.rodata,"a",@progbits
	.p2align	6, 0x0
	.amdhsa_kernel _ZN2at6native12_GLOBAL__N_135GammaBetaBackwardCUDAKernelTemplateIN3c104HalfEfLj32ELj16ELj128ELb0ELb1ELb1EEEvllPKT_S7_PKT0_SA_PS5_SB_
		.amdhsa_group_segment_fixed_size 0
		.amdhsa_private_segment_fixed_size 0
		.amdhsa_kernarg_size 320
		.amdhsa_user_sgpr_count 2
		.amdhsa_user_sgpr_dispatch_ptr 0
		.amdhsa_user_sgpr_queue_ptr 0
		.amdhsa_user_sgpr_kernarg_segment_ptr 1
		.amdhsa_user_sgpr_dispatch_id 0
		.amdhsa_user_sgpr_kernarg_preload_length 0
		.amdhsa_user_sgpr_kernarg_preload_offset 0
		.amdhsa_user_sgpr_private_segment_size 0
		.amdhsa_uses_dynamic_stack 0
		.amdhsa_enable_private_segment 0
		.amdhsa_system_sgpr_workgroup_id_x 1
		.amdhsa_system_sgpr_workgroup_id_y 1
		.amdhsa_system_sgpr_workgroup_id_z 0
		.amdhsa_system_sgpr_workgroup_info 0
		.amdhsa_system_vgpr_workitem_id 1
		.amdhsa_next_free_vgpr 44
		.amdhsa_next_free_sgpr 26
		.amdhsa_accum_offset 44
		.amdhsa_reserve_vcc 1
		.amdhsa_float_round_mode_32 0
		.amdhsa_float_round_mode_16_64 0
		.amdhsa_float_denorm_mode_32 3
		.amdhsa_float_denorm_mode_16_64 3
		.amdhsa_dx10_clamp 1
		.amdhsa_ieee_mode 1
		.amdhsa_fp16_overflow 0
		.amdhsa_tg_split 0
		.amdhsa_exception_fp_ieee_invalid_op 0
		.amdhsa_exception_fp_denorm_src 0
		.amdhsa_exception_fp_ieee_div_zero 0
		.amdhsa_exception_fp_ieee_overflow 0
		.amdhsa_exception_fp_ieee_underflow 0
		.amdhsa_exception_fp_ieee_inexact 0
		.amdhsa_exception_int_div_zero 0
	.end_amdhsa_kernel
	.section	.text._ZN2at6native12_GLOBAL__N_135GammaBetaBackwardCUDAKernelTemplateIN3c104HalfEfLj32ELj16ELj128ELb0ELb1ELb1EEEvllPKT_S7_PKT0_SA_PS5_SB_,"axG",@progbits,_ZN2at6native12_GLOBAL__N_135GammaBetaBackwardCUDAKernelTemplateIN3c104HalfEfLj32ELj16ELj128ELb0ELb1ELb1EEEvllPKT_S7_PKT0_SA_PS5_SB_,comdat
.Lfunc_end181:
	.size	_ZN2at6native12_GLOBAL__N_135GammaBetaBackwardCUDAKernelTemplateIN3c104HalfEfLj32ELj16ELj128ELb0ELb1ELb1EEEvllPKT_S7_PKT0_SA_PS5_SB_, .Lfunc_end181-_ZN2at6native12_GLOBAL__N_135GammaBetaBackwardCUDAKernelTemplateIN3c104HalfEfLj32ELj16ELj128ELb0ELb1ELb1EEEvllPKT_S7_PKT0_SA_PS5_SB_
                                        ; -- End function
	.section	.AMDGPU.csdata,"",@progbits
; Kernel info:
; codeLenInByte = 1416
; NumSgprs: 32
; NumVgprs: 44
; NumAgprs: 0
; TotalNumVgprs: 44
; ScratchSize: 0
; MemoryBound: 0
; FloatMode: 240
; IeeeMode: 1
; LDSByteSize: 0 bytes/workgroup (compile time only)
; SGPRBlocks: 3
; VGPRBlocks: 5
; NumSGPRsForWavesPerEU: 32
; NumVGPRsForWavesPerEU: 44
; AccumOffset: 44
; Occupancy: 8
; WaveLimiterHint : 0
; COMPUTE_PGM_RSRC2:SCRATCH_EN: 0
; COMPUTE_PGM_RSRC2:USER_SGPR: 2
; COMPUTE_PGM_RSRC2:TRAP_HANDLER: 0
; COMPUTE_PGM_RSRC2:TGID_X_EN: 1
; COMPUTE_PGM_RSRC2:TGID_Y_EN: 1
; COMPUTE_PGM_RSRC2:TGID_Z_EN: 0
; COMPUTE_PGM_RSRC2:TIDIG_COMP_CNT: 1
; COMPUTE_PGM_RSRC3_GFX90A:ACCUM_OFFSET: 10
; COMPUTE_PGM_RSRC3_GFX90A:TG_SPLIT: 0
	.section	.text._ZN2at6native12_GLOBAL__N_135GammaBetaBackwardCUDAKernelTemplateIN3c104HalfEfLj32ELj16ELj128ELb0ELb0ELb1EEEvllPKT_S7_PKT0_SA_PS5_SB_,"axG",@progbits,_ZN2at6native12_GLOBAL__N_135GammaBetaBackwardCUDAKernelTemplateIN3c104HalfEfLj32ELj16ELj128ELb0ELb0ELb1EEEvllPKT_S7_PKT0_SA_PS5_SB_,comdat
	.globl	_ZN2at6native12_GLOBAL__N_135GammaBetaBackwardCUDAKernelTemplateIN3c104HalfEfLj32ELj16ELj128ELb0ELb0ELb1EEEvllPKT_S7_PKT0_SA_PS5_SB_ ; -- Begin function _ZN2at6native12_GLOBAL__N_135GammaBetaBackwardCUDAKernelTemplateIN3c104HalfEfLj32ELj16ELj128ELb0ELb0ELb1EEEvllPKT_S7_PKT0_SA_PS5_SB_
	.p2align	8
	.type	_ZN2at6native12_GLOBAL__N_135GammaBetaBackwardCUDAKernelTemplateIN3c104HalfEfLj32ELj16ELj128ELb0ELb0ELb1EEEvllPKT_S7_PKT0_SA_PS5_SB_,@function
_ZN2at6native12_GLOBAL__N_135GammaBetaBackwardCUDAKernelTemplateIN3c104HalfEfLj32ELj16ELj128ELb0ELb0ELb1EEEvllPKT_S7_PKT0_SA_PS5_SB_: ; @_ZN2at6native12_GLOBAL__N_135GammaBetaBackwardCUDAKernelTemplateIN3c104HalfEfLj32ELj16ELj128ELb0ELb0ELb1EEEvllPKT_S7_PKT0_SA_PS5_SB_
; %bb.0:
	s_load_dwordx8 s[8:15], s[0:1], 0x0
	s_load_dwordx2 s[24:25], s[0:1], 0x28
	s_lshl_b32 s33, s2, 5
	s_or_b32 s26, s33, 31
	s_mov_b32 s27, 0
	s_waitcnt lgkmcnt(0)
	v_mov_b64_e32 v[2:3], s[10:11]
	v_cmp_ge_i64_e32 vcc, s[26:27], v[2:3]
	s_lshl_b32 s26, s3, 7
	v_mov_b64_e32 v[2:3], s[8:9]
	v_cmp_lt_i64_e64 s[4:5], s[26:27], v[2:3]
	s_nop 1
	v_cndmask_b32_e64 v1, 0, 1, s[4:5]
	v_cmp_ne_u32_e64 s[4:5], 1, v1
	s_cbranch_vccz .LBB182_49
; %bb.1:
	s_and_b64 vcc, exec, s[4:5]
	v_mov_b32_e32 v2, 0
	s_cbranch_vccnz .LBB182_50
; %bb.2:
	v_mov_b32_e32 v3, 0
	v_bfe_u32 v64, v0, 10, 10
	s_load_dword s3, s[0:1], 0x44
	v_lshlrev_b32_e32 v26, 3, v64
	v_mov_b32_e32 v27, v3
	v_and_b32_e32 v1, 0x3ff, v0
	v_lshl_add_u64 v[4:5], v[26:27], 0, s[26:27]
	v_add_u32_e32 v2, s33, v1
	v_lshl_add_u64 v[6:7], v[4:5], 0, 7
	s_add_u32 s28, s0, 64
	v_cmp_gt_i64_e64 s[6:7], s[10:11], v[2:3]
	v_lshlrev_b64 v[28:29], 1, v[2:3]
	v_mul_lo_u32 v2, s11, v6
	v_mul_lo_u32 v8, s10, v7
	v_mad_u64_u32 v[6:7], s[18:19], s10, v6, 0
	s_addc_u32 s29, s1, 0
	s_waitcnt lgkmcnt(0)
	s_lshl_b32 s3, s3, 7
	v_add3_u32 v7, v7, v8, v2
	v_lshlrev_b64 v[6:7], 1, v[6:7]
	s_mul_i32 s17, s11, s3
	s_mul_hi_u32 s18, s10, s3
	v_lshl_add_u64 v[30:31], s[12:13], 0, v[6:7]
	s_add_i32 s19, s18, s17
	s_mul_i32 s18, s10, s3
	v_lshl_add_u64 v[32:33], s[14:15], 0, v[6:7]
	v_lshl_add_u64 v[6:7], v[4:5], 0, 6
	s_lshl_b64 s[30:31], s[18:19], 1
	v_mul_lo_u32 v2, s11, v6
	v_mul_lo_u32 v8, s10, v7
	v_mad_u64_u32 v[6:7], s[18:19], s10, v6, 0
	v_add3_u32 v7, v7, v8, v2
	v_lshlrev_b64 v[6:7], 1, v[6:7]
	v_lshl_add_u64 v[34:35], s[12:13], 0, v[6:7]
	v_lshl_add_u64 v[36:37], s[14:15], 0, v[6:7]
	v_lshl_add_u64 v[6:7], v[4:5], 0, 5
	v_mul_lo_u32 v2, s11, v6
	v_mul_lo_u32 v8, s10, v7
	v_mad_u64_u32 v[6:7], s[18:19], s10, v6, 0
	v_add3_u32 v7, v7, v8, v2
	v_lshlrev_b64 v[6:7], 1, v[6:7]
	v_lshl_add_u64 v[38:39], s[12:13], 0, v[6:7]
	v_lshl_add_u64 v[40:41], s[14:15], 0, v[6:7]
	v_lshl_add_u64 v[6:7], v[4:5], 0, 4
	;; [unrolled: 8-line block ×4, first 2 shown]
	v_mul_lo_u32 v2, s11, v6
	v_mul_lo_u32 v8, s10, v7
	v_mad_u64_u32 v[6:7], s[18:19], s10, v6, 0
	v_add3_u32 v7, v7, v8, v2
	v_lshlrev_b64 v[6:7], 1, v[6:7]
	v_lshl_add_u64 v[50:51], s[12:13], 0, v[6:7]
	v_lshl_add_u64 v[52:53], s[14:15], 0, v[6:7]
	v_mov_b64_e32 v[6:7], s[10:11]
	v_mad_u64_u32 v[6:7], s[18:19], s10, v4, v[6:7]
	v_mul_lo_u32 v2, s10, v5
	v_mul_lo_u32 v8, s11, v4
	v_mad_u64_u32 v[4:5], s[18:19], s10, v4, 0
	v_add3_u32 v7, v8, v7, v2
	v_add3_u32 v5, v5, v2, v8
	v_mbcnt_lo_u32_b32 v2, -1, 0
	v_mbcnt_hi_u32_b32 v2, -1, v2
	v_lshlrev_b64 v[6:7], 1, v[6:7]
	s_add_u32 s34, s26, 0x7f
	v_lshlrev_b64 v[4:5], 1, v[4:5]
	s_movk_i32 s36, 0xff81
	s_movk_i32 s38, 0xff82
	;; [unrolled: 1-line block ×8, first 2 shown]
	v_lshlrev_b32_e32 v2, 2, v2
	s_mov_b32 s16, 0
	v_lshl_add_u64 v[54:55], s[12:13], 0, v[6:7]
	v_lshl_add_u64 v[56:57], s[14:15], 0, v[6:7]
	s_addc_u32 s35, 0, 0
	v_lshl_add_u64 v[58:59], s[12:13], 0, v[4:5]
	v_lshl_add_u64 v[60:61], s[14:15], 0, v[4:5]
	s_mov_b32 s37, -1
	s_mov_b32 s39, -1
	;; [unrolled: 1-line block ×8, first 2 shown]
	v_and_b32_e32 v65, 0x100, v2
	s_mov_b64 s[52:53], s[26:27]
	v_mov_b32_e32 v66, 0
.LBB182_3:                              ; =>This Inner Loop Header: Depth=1
	v_mov_b64_e32 v[4:5], s[8:9]
	v_cmp_ge_i64_e32 vcc, s[34:35], v[4:5]
	v_lshl_add_u64 v[62:63], v[26:27], 0, s[34:35]
	s_cbranch_vccz .LBB182_25
; %bb.4:                                ;   in Loop: Header=BB182_3 Depth=1
	s_load_dword s17, s[28:29], 0xc
	v_mov_b32_e32 v67, 0
	s_waitcnt lgkmcnt(0)
	s_and_b32 s17, s17, 0xffff
	v_mad_u32_u24 v2, v64, s17, v1
	v_and_b32_e32 v2, 63, v2
	v_cmp_gt_u32_e32 vcc, 8, v2
	s_and_saveexec_b64 s[18:19], vcc
	s_cbranch_execz .LBB182_8
; %bb.5:                                ;   in Loop: Header=BB182_3 Depth=1
	v_lshl_add_u64 v[4:5], v[62:63], 0, v[2:3]
	v_lshl_add_u64 v[4:5], v[4:5], 0, s[36:37]
	v_cmp_gt_i64_e32 vcc, s[8:9], v[4:5]
	v_mov_b32_e32 v67, 0
	s_and_saveexec_b64 s[20:21], vcc
	s_cbranch_execz .LBB182_7
; %bb.6:                                ;   in Loop: Header=BB182_3 Depth=1
	v_lshl_add_u64 v[4:5], v[4:5], 2, s[24:25]
	global_load_dword v67, v[4:5], off
.LBB182_7:                              ;   in Loop: Header=BB182_3 Depth=1
	s_or_b64 exec, exec, s[20:21]
.LBB182_8:                              ;   in Loop: Header=BB182_3 Depth=1
	s_or_b64 exec, exec, s[18:19]
	s_mov_b32 s17, s16
	s_mov_b32 s18, s16
	;; [unrolled: 1-line block ×7, first 2 shown]
	v_mov_b64_e32 v[10:11], s[16:17]
	v_lshl_add_u64 v[4:5], v[62:63], 0, s[36:37]
	v_mov_b64_e32 v[16:17], s[22:23]
	v_cmp_gt_i64_e32 vcc, s[8:9], v[4:5]
	v_mov_b64_e32 v[12:13], s[18:19]
	v_mov_b64_e32 v[14:15], s[20:21]
	;; [unrolled: 1-line block ×3, first 2 shown]
	s_and_b64 s[54:55], s[6:7], vcc
	v_mov_b64_e32 v[22:23], v[14:15]
	v_mov_b64_e32 v[20:21], v[12:13]
	;; [unrolled: 1-line block ×3, first 2 shown]
	s_and_saveexec_b64 s[18:19], s[54:55]
	s_cbranch_execz .LBB182_10
; %bb.9:                                ;   in Loop: Header=BB182_3 Depth=1
	v_lshl_add_u64 v[4:5], v[58:59], 0, v[28:29]
	global_load_ushort v2, v[4:5], off
	v_lshl_add_u64 v[4:5], v[60:61], 0, v[28:29]
	global_load_ushort v10, v[4:5], off
	v_mov_b32_e32 v8, v3
	v_mov_b32_e32 v9, v3
	;; [unrolled: 1-line block ×13, first 2 shown]
	s_waitcnt vmcnt(1)
	v_cvt_f32_f16_e32 v2, v2
	v_mov_b64_e32 v[24:25], v[8:9]
	s_waitcnt vmcnt(0)
	v_cvt_f32_f16_e32 v10, v10
	v_mov_b64_e32 v[22:23], v[6:7]
	v_mov_b64_e32 v[20:21], v[4:5]
	;; [unrolled: 1-line block ×3, first 2 shown]
.LBB182_10:                             ;   in Loop: Header=BB182_3 Depth=1
	s_or_b64 exec, exec, s[18:19]
	v_lshl_add_u64 v[4:5], v[62:63], 0, s[38:39]
	v_cmp_gt_i64_e32 vcc, s[8:9], v[4:5]
	s_and_b64 s[20:21], s[6:7], vcc
	s_and_saveexec_b64 s[18:19], s[20:21]
	s_cbranch_execz .LBB182_12
; %bb.11:                               ;   in Loop: Header=BB182_3 Depth=1
	v_lshl_add_u64 v[4:5], v[54:55], 0, v[28:29]
	global_load_ushort v2, v[4:5], off
	v_lshl_add_u64 v[4:5], v[56:57], 0, v[28:29]
	global_load_ushort v4, v[4:5], off
	s_waitcnt vmcnt(1)
	v_cvt_f32_f16_e32 v19, v2
	s_waitcnt vmcnt(0)
	v_cvt_f32_f16_e32 v11, v4
.LBB182_12:                             ;   in Loop: Header=BB182_3 Depth=1
	s_or_b64 exec, exec, s[18:19]
	v_lshl_add_u64 v[4:5], v[62:63], 0, s[40:41]
	v_cmp_gt_i64_e32 vcc, s[8:9], v[4:5]
	s_and_b64 s[20:21], s[6:7], vcc
	s_and_saveexec_b64 s[18:19], s[20:21]
	s_cbranch_execz .LBB182_14
; %bb.13:                               ;   in Loop: Header=BB182_3 Depth=1
	v_lshl_add_u64 v[4:5], v[50:51], 0, v[28:29]
	global_load_ushort v2, v[4:5], off
	v_lshl_add_u64 v[4:5], v[52:53], 0, v[28:29]
	global_load_ushort v4, v[4:5], off
	s_waitcnt vmcnt(1)
	v_cvt_f32_f16_e32 v20, v2
	s_waitcnt vmcnt(0)
	v_cvt_f32_f16_e32 v12, v4
.LBB182_14:                             ;   in Loop: Header=BB182_3 Depth=1
	;; [unrolled: 16-line block ×7, first 2 shown]
	s_or_b64 exec, exec, s[18:19]
	s_waitcnt vmcnt(0)
	ds_bpermute_b32 v4, v65, v67 offset:4
	ds_bpermute_b32 v5, v65, v67 offset:8
	ds_bpermute_b32 v2, v65, v67
	v_mul_f32_e32 v8, v10, v18
	v_pk_mul_f32 v[10:11], v[10:11], v[18:19]
	v_pk_mul_f32 v[12:13], v[12:13], v[20:21]
	v_mov_b32_e32 v10, v11
	v_mov_b32_e32 v11, v12
	s_waitcnt lgkmcnt(1)
	v_pk_mul_f32 v[4:5], v[10:11], v[4:5]
	ds_bpermute_b32 v10, v65, v67 offset:12
	ds_bpermute_b32 v11, v65, v67 offset:16
	s_waitcnt lgkmcnt(2)
	v_fma_f32 v2, v8, v2, v66
	v_pk_mul_f32 v[8:9], v[14:15], v[22:23]
	v_add_f32_e32 v2, v2, v4
	v_add_f32_e32 v2, v2, v5
	v_mov_b32_e32 v4, v13
	v_mov_b32_e32 v5, v8
	s_waitcnt lgkmcnt(0)
	v_pk_mul_f32 v[4:5], v[4:5], v[10:11]
	ds_bpermute_b32 v10, v65, v67 offset:20
	ds_bpermute_b32 v11, v65, v67 offset:24
	v_pk_mul_f32 v[6:7], v[16:17], v[24:25]
	v_add_f32_e32 v2, v2, v4
	ds_bpermute_b32 v4, v65, v67 offset:28
	v_mov_b32_e32 v8, v9
	v_mov_b32_e32 v9, v6
	v_add_f32_e32 v2, v2, v5
	s_waitcnt lgkmcnt(1)
	v_pk_mul_f32 v[6:7], v[8:9], v[10:11]
	s_nop 0
	v_add_f32_e32 v2, v2, v6
	v_add_f32_e32 v2, v2, v7
	s_branch .LBB182_40
.LBB182_25:                             ;   in Loop: Header=BB182_3 Depth=1
                                        ; implicit-def: $vgpr2
                                        ; implicit-def: $vgpr10_vgpr11_vgpr12_vgpr13_vgpr14_vgpr15_vgpr16_vgpr17
                                        ; implicit-def: $vgpr18_vgpr19_vgpr20_vgpr21_vgpr22_vgpr23_vgpr24_vgpr25
                                        ; implicit-def: $vgpr4
	s_cbranch_execz .LBB182_40
; %bb.26:                               ;   in Loop: Header=BB182_3 Depth=1
	s_load_dword s17, s[28:29], 0x0
	v_mov_b32_e32 v67, 0
	s_waitcnt lgkmcnt(0)
	s_cmp_lt_u32 s2, s17
	s_cselect_b32 s17, 12, 18
	s_add_u32 s18, s28, s17
	s_addc_u32 s19, s29, 0
	global_load_ushort v2, v3, s[18:19]
	s_waitcnt vmcnt(0)
	v_mad_u32_u24 v2, v64, v2, v1
	v_and_b32_e32 v2, 63, v2
	v_cmp_gt_u32_e32 vcc, 8, v2
	s_and_saveexec_b64 s[18:19], vcc
	s_cbranch_execz .LBB182_30
; %bb.27:                               ;   in Loop: Header=BB182_3 Depth=1
	v_lshl_add_u64 v[4:5], v[62:63], 0, v[2:3]
	v_lshl_add_u64 v[4:5], v[4:5], 0, s[36:37]
	v_cmp_gt_i64_e32 vcc, s[8:9], v[4:5]
	v_mov_b32_e32 v67, 0
	s_and_saveexec_b64 s[20:21], vcc
	s_cbranch_execz .LBB182_29
; %bb.28:                               ;   in Loop: Header=BB182_3 Depth=1
	v_lshl_add_u64 v[4:5], v[4:5], 2, s[24:25]
	global_load_dword v67, v[4:5], off
.LBB182_29:                             ;   in Loop: Header=BB182_3 Depth=1
	s_or_b64 exec, exec, s[20:21]
.LBB182_30:                             ;   in Loop: Header=BB182_3 Depth=1
	s_or_b64 exec, exec, s[18:19]
	s_mov_b32 s17, s16
	s_mov_b32 s18, s16
	;; [unrolled: 1-line block ×7, first 2 shown]
	v_mov_b64_e32 v[10:11], s[16:17]
	v_mov_b64_e32 v[16:17], s[22:23]
	v_mov_b64_e32 v[12:13], s[18:19]
	v_mov_b64_e32 v[14:15], s[20:21]
	v_mov_b64_e32 v[24:25], v[16:17]
	v_mov_b64_e32 v[22:23], v[14:15]
	v_mov_b64_e32 v[20:21], v[12:13]
	v_mov_b64_e32 v[18:19], v[10:11]
	s_and_saveexec_b64 s[18:19], s[6:7]
	s_cbranch_execnz .LBB182_42
; %bb.31:                               ;   in Loop: Header=BB182_3 Depth=1
	s_or_b64 exec, exec, s[18:19]
	s_and_saveexec_b64 s[18:19], s[6:7]
	s_cbranch_execnz .LBB182_43
.LBB182_32:                             ;   in Loop: Header=BB182_3 Depth=1
	s_or_b64 exec, exec, s[18:19]
	s_and_saveexec_b64 s[18:19], s[6:7]
	s_cbranch_execnz .LBB182_44
.LBB182_33:                             ;   in Loop: Header=BB182_3 Depth=1
	s_or_b64 exec, exec, s[18:19]
	s_and_saveexec_b64 s[18:19], s[6:7]
	s_cbranch_execnz .LBB182_45
.LBB182_34:                             ;   in Loop: Header=BB182_3 Depth=1
	s_or_b64 exec, exec, s[18:19]
	s_and_saveexec_b64 s[18:19], s[6:7]
	s_cbranch_execnz .LBB182_46
.LBB182_35:                             ;   in Loop: Header=BB182_3 Depth=1
	s_or_b64 exec, exec, s[18:19]
	s_and_saveexec_b64 s[18:19], s[6:7]
	s_cbranch_execnz .LBB182_47
.LBB182_36:                             ;   in Loop: Header=BB182_3 Depth=1
	s_or_b64 exec, exec, s[18:19]
	s_and_saveexec_b64 s[18:19], s[6:7]
	s_cbranch_execnz .LBB182_48
.LBB182_37:                             ;   in Loop: Header=BB182_3 Depth=1
	s_or_b64 exec, exec, s[18:19]
	s_and_saveexec_b64 s[18:19], s[6:7]
	s_cbranch_execz .LBB182_39
.LBB182_38:                             ;   in Loop: Header=BB182_3 Depth=1
	v_lshl_add_u64 v[4:5], v[30:31], 0, v[28:29]
	global_load_ushort v2, v[4:5], off
	v_lshl_add_u64 v[4:5], v[32:33], 0, v[28:29]
	global_load_ushort v4, v[4:5], off
	s_waitcnt vmcnt(1)
	v_cvt_f32_f16_e32 v25, v2
	s_waitcnt vmcnt(0)
	v_cvt_f32_f16_e32 v17, v4
.LBB182_39:                             ;   in Loop: Header=BB182_3 Depth=1
	s_or_b64 exec, exec, s[18:19]
	s_waitcnt vmcnt(0)
	ds_bpermute_b32 v4, v65, v67 offset:4
	ds_bpermute_b32 v5, v65, v67 offset:8
	ds_bpermute_b32 v2, v65, v67
	v_mul_f32_e32 v8, v10, v18
	v_pk_mul_f32 v[10:11], v[10:11], v[18:19]
	v_pk_mul_f32 v[12:13], v[12:13], v[20:21]
	v_mov_b32_e32 v10, v11
	v_mov_b32_e32 v11, v12
	s_waitcnt lgkmcnt(1)
	v_pk_mul_f32 v[4:5], v[10:11], v[4:5]
	ds_bpermute_b32 v10, v65, v67 offset:12
	ds_bpermute_b32 v11, v65, v67 offset:16
	s_waitcnt lgkmcnt(2)
	v_fmac_f32_e32 v66, v8, v2
	v_pk_mul_f32 v[8:9], v[14:15], v[22:23]
	v_add_f32_e32 v2, v66, v4
	v_add_f32_e32 v2, v2, v5
	v_mov_b32_e32 v4, v13
	v_mov_b32_e32 v5, v8
	s_waitcnt lgkmcnt(0)
	v_pk_mul_f32 v[4:5], v[4:5], v[10:11]
	ds_bpermute_b32 v10, v65, v67 offset:20
	ds_bpermute_b32 v11, v65, v67 offset:24
	v_pk_mul_f32 v[6:7], v[16:17], v[24:25]
	v_add_f32_e32 v2, v2, v4
	v_mov_b32_e32 v8, v9
	v_mov_b32_e32 v9, v6
	v_add_f32_e32 v2, v2, v5
	s_waitcnt lgkmcnt(0)
	v_pk_mul_f32 v[6:7], v[8:9], v[10:11]
	ds_bpermute_b32 v4, v65, v67 offset:28
	v_add_f32_e32 v2, v2, v6
	v_add_f32_e32 v2, v2, v7
.LBB182_40:                             ;   in Loop: Header=BB182_3 Depth=1
	v_mul_f32_e32 v5, v25, v17
	s_add_u32 s52, s52, s3
	s_waitcnt lgkmcnt(0)
	v_fmac_f32_e32 v2, v5, v4
	s_addc_u32 s53, s53, 0
	v_mov_b64_e32 v[4:5], s[8:9]
	s_add_u32 s34, s34, s3
	v_cmp_lt_i64_e32 vcc, s[52:53], v[4:5]
	v_lshl_add_u64 v[30:31], v[30:31], 0, s[30:31]
	v_lshl_add_u64 v[32:33], v[32:33], 0, s[30:31]
	;; [unrolled: 1-line block ×14, first 2 shown]
	s_addc_u32 s35, s35, 0
	v_lshl_add_u64 v[58:59], v[58:59], 0, s[30:31]
	v_lshl_add_u64 v[60:61], v[60:61], 0, s[30:31]
	s_cbranch_vccz .LBB182_50
; %bb.41:                               ;   in Loop: Header=BB182_3 Depth=1
	v_mov_b32_e32 v66, v2
	s_branch .LBB182_3
.LBB182_42:                             ;   in Loop: Header=BB182_3 Depth=1
	v_lshl_add_u64 v[4:5], v[58:59], 0, v[28:29]
	global_load_ushort v2, v[4:5], off
	v_lshl_add_u64 v[4:5], v[60:61], 0, v[28:29]
	global_load_ushort v10, v[4:5], off
	v_mov_b32_e32 v8, v3
	v_mov_b32_e32 v9, v3
	;; [unrolled: 1-line block ×13, first 2 shown]
	s_waitcnt vmcnt(1)
	v_cvt_f32_f16_e32 v2, v2
	v_mov_b64_e32 v[24:25], v[8:9]
	s_waitcnt vmcnt(0)
	v_cvt_f32_f16_e32 v10, v10
	v_mov_b64_e32 v[22:23], v[6:7]
	v_mov_b64_e32 v[20:21], v[4:5]
	v_mov_b64_e32 v[18:19], v[2:3]
	s_or_b64 exec, exec, s[18:19]
	s_and_saveexec_b64 s[18:19], s[6:7]
	s_cbranch_execz .LBB182_32
.LBB182_43:                             ;   in Loop: Header=BB182_3 Depth=1
	v_lshl_add_u64 v[4:5], v[54:55], 0, v[28:29]
	global_load_ushort v2, v[4:5], off
	v_lshl_add_u64 v[4:5], v[56:57], 0, v[28:29]
	global_load_ushort v4, v[4:5], off
	s_waitcnt vmcnt(1)
	v_cvt_f32_f16_e32 v19, v2
	s_waitcnt vmcnt(0)
	v_cvt_f32_f16_e32 v11, v4
	s_or_b64 exec, exec, s[18:19]
	s_and_saveexec_b64 s[18:19], s[6:7]
	s_cbranch_execz .LBB182_33
.LBB182_44:                             ;   in Loop: Header=BB182_3 Depth=1
	v_lshl_add_u64 v[4:5], v[50:51], 0, v[28:29]
	global_load_ushort v2, v[4:5], off
	v_lshl_add_u64 v[4:5], v[52:53], 0, v[28:29]
	global_load_ushort v4, v[4:5], off
	s_waitcnt vmcnt(1)
	v_cvt_f32_f16_e32 v20, v2
	s_waitcnt vmcnt(0)
	v_cvt_f32_f16_e32 v12, v4
	s_or_b64 exec, exec, s[18:19]
	s_and_saveexec_b64 s[18:19], s[6:7]
	s_cbranch_execz .LBB182_34
.LBB182_45:                             ;   in Loop: Header=BB182_3 Depth=1
	v_lshl_add_u64 v[4:5], v[46:47], 0, v[28:29]
	global_load_ushort v2, v[4:5], off
	v_lshl_add_u64 v[4:5], v[48:49], 0, v[28:29]
	global_load_ushort v4, v[4:5], off
	s_waitcnt vmcnt(1)
	v_cvt_f32_f16_e32 v21, v2
	s_waitcnt vmcnt(0)
	v_cvt_f32_f16_e32 v13, v4
	s_or_b64 exec, exec, s[18:19]
	s_and_saveexec_b64 s[18:19], s[6:7]
	s_cbranch_execz .LBB182_35
.LBB182_46:                             ;   in Loop: Header=BB182_3 Depth=1
	v_lshl_add_u64 v[4:5], v[42:43], 0, v[28:29]
	global_load_ushort v2, v[4:5], off
	v_lshl_add_u64 v[4:5], v[44:45], 0, v[28:29]
	global_load_ushort v4, v[4:5], off
	s_waitcnt vmcnt(1)
	v_cvt_f32_f16_e32 v22, v2
	s_waitcnt vmcnt(0)
	v_cvt_f32_f16_e32 v14, v4
	s_or_b64 exec, exec, s[18:19]
	s_and_saveexec_b64 s[18:19], s[6:7]
	s_cbranch_execz .LBB182_36
.LBB182_47:                             ;   in Loop: Header=BB182_3 Depth=1
	v_lshl_add_u64 v[4:5], v[38:39], 0, v[28:29]
	global_load_ushort v2, v[4:5], off
	v_lshl_add_u64 v[4:5], v[40:41], 0, v[28:29]
	global_load_ushort v4, v[4:5], off
	s_waitcnt vmcnt(1)
	v_cvt_f32_f16_e32 v23, v2
	s_waitcnt vmcnt(0)
	v_cvt_f32_f16_e32 v15, v4
	s_or_b64 exec, exec, s[18:19]
	s_and_saveexec_b64 s[18:19], s[6:7]
	s_cbranch_execz .LBB182_37
.LBB182_48:                             ;   in Loop: Header=BB182_3 Depth=1
	v_lshl_add_u64 v[4:5], v[34:35], 0, v[28:29]
	global_load_ushort v2, v[4:5], off
	v_lshl_add_u64 v[4:5], v[36:37], 0, v[28:29]
	global_load_ushort v4, v[4:5], off
	s_waitcnt vmcnt(1)
	v_cvt_f32_f16_e32 v24, v2
	s_waitcnt vmcnt(0)
	v_cvt_f32_f16_e32 v16, v4
	s_or_b64 exec, exec, s[18:19]
	s_and_saveexec_b64 s[18:19], s[6:7]
	s_cbranch_execnz .LBB182_38
	s_branch .LBB182_39
.LBB182_49:
                                        ; implicit-def: $vgpr2
	s_branch .LBB182_51
.LBB182_50:
	s_cbranch_execnz .LBB182_83
.LBB182_51:
	s_and_b64 vcc, exec, s[4:5]
	v_mov_b32_e32 v2, 0
	s_cbranch_vccnz .LBB182_83
; %bb.52:
	v_and_b32_e32 v1, 0x3ff, v0
	v_add_u32_e32 v2, s33, v1
	v_mov_b32_e32 v3, 0
	v_bfe_u32 v92, v0, 10, 10
	v_lshlrev_b64 v[28:29], 1, v[2:3]
	v_lshlrev_b32_e32 v2, 4, v92
	v_lshl_add_u64 v[4:5], s[26:27], 1, v[2:3]
	v_lshl_add_u64 v[6:7], v[4:5], 0, 2
	v_mov_b64_e32 v[8:9], s[12:13]
	v_lshl_add_u64 v[10:11], v[4:5], 0, 4
	v_lshl_add_u64 v[12:13], v[4:5], 0, 6
	v_lshl_add_u64 v[14:15], v[4:5], 0, 8
	v_lshl_add_u64 v[16:17], v[4:5], 0, 10
	v_lshl_add_u64 v[18:19], v[4:5], 0, 12
	v_lshl_add_u64 v[4:5], v[4:5], 0, 14
	v_mad_u64_u32 v[30:31], s[4:5], s10, v6, v[8:9]
	v_mad_u64_u32 v[32:33], s[4:5], s10, v10, v[8:9]
	;; [unrolled: 1-line block ×7, first 2 shown]
	v_mov_b64_e32 v[8:9], s[14:15]
	v_lshlrev_b32_e32 v26, 3, v92
	v_mov_b32_e32 v27, v3
	v_mul_lo_u32 v2, s10, v7
	v_mul_lo_u32 v7, s11, v6
	v_mad_u64_u32 v[44:45], s[4:5], s10, v6, v[8:9]
	v_add3_u32 v31, v7, v31, v2
	v_mul_lo_u32 v5, s10, v5
	v_mul_lo_u32 v25, s11, v4
	v_add3_u32 v45, v7, v45, v2
	v_lshl_add_u64 v[6:7], v[26:27], 0, s[26:27]
	v_mad_u64_u32 v[56:57], s[4:5], s10, v4, v[8:9]
	v_add3_u32 v43, v25, v43, v5
	v_add3_u32 v57, v25, v57, v5
	v_lshl_add_u64 v[4:5], v[6:7], 0, 7
	v_mad_u64_u32 v[46:47], s[4:5], s10, v10, v[8:9]
	v_mad_u64_u32 v[48:49], s[4:5], s10, v12, v[8:9]
	;; [unrolled: 1-line block ×5, first 2 shown]
	v_mul_lo_u32 v8, s11, v4
	v_mul_lo_u32 v9, s10, v5
	v_mad_u64_u32 v[4:5], s[4:5], s10, v4, 0
	v_mul_lo_u32 v11, s10, v11
	v_mul_lo_u32 v20, s11, v10
	v_add3_u32 v5, v5, v9, v8
	v_lshl_add_u64 v[8:9], v[6:7], 0, 6
	v_add3_u32 v33, v20, v33, v11
	v_add3_u32 v47, v20, v47, v11
	v_mul_lo_u32 v10, s11, v8
	v_mul_lo_u32 v11, s10, v9
	v_mad_u64_u32 v[8:9], s[4:5], s10, v8, 0
	v_mul_lo_u32 v13, s10, v13
	v_mul_lo_u32 v21, s11, v12
	v_add3_u32 v9, v9, v11, v10
	v_lshl_add_u64 v[10:11], v[6:7], 0, 5
	v_add3_u32 v35, v21, v35, v13
	v_add3_u32 v49, v21, v49, v13
	;; [unrolled: 9-line block ×4, first 2 shown]
	v_mul_lo_u32 v16, s11, v14
	v_mul_lo_u32 v17, s10, v15
	v_mad_u64_u32 v[14:15], s[4:5], s10, v14, 0
	v_mul_lo_u32 v19, s10, v19
	v_mul_lo_u32 v24, s11, v18
	v_add3_u32 v15, v15, v17, v16
	v_lshl_add_u64 v[16:17], v[6:7], 0, 2
	s_load_dword s3, s[0:1], 0x44
	v_lshlrev_b64 v[4:5], 1, v[4:5]
	v_add3_u32 v41, v24, v41, v19
	v_add3_u32 v55, v24, v55, v19
	v_mul_lo_u32 v18, s11, v16
	v_mul_lo_u32 v19, s10, v17
	v_mad_u64_u32 v[16:17], s[4:5], s10, v16, 0
	v_lshl_add_u64 v[62:63], s[12:13], 0, v[4:5]
	v_lshl_add_u64 v[64:65], s[14:15], 0, v[4:5]
	v_lshlrev_b64 v[4:5], 1, v[8:9]
	v_add3_u32 v17, v17, v19, v18
	v_mov_b64_e32 v[18:19], s[10:11]
	v_lshl_add_u64 v[66:67], s[12:13], 0, v[4:5]
	v_lshl_add_u64 v[68:69], s[14:15], 0, v[4:5]
	v_lshlrev_b64 v[4:5], 1, v[10:11]
	v_mul_lo_u32 v2, s11, v6
	v_mad_u64_u32 v[18:19], s[4:5], s10, v6, v[18:19]
	v_mul_lo_u32 v20, s10, v7
	v_mad_u64_u32 v[6:7], s[4:5], s10, v6, 0
	v_lshl_add_u64 v[70:71], s[12:13], 0, v[4:5]
	v_lshl_add_u64 v[72:73], s[14:15], 0, v[4:5]
	v_lshlrev_b64 v[4:5], 1, v[12:13]
	s_add_u32 s4, s0, 64
	v_lshl_add_u64 v[74:75], s[12:13], 0, v[4:5]
	v_lshl_add_u64 v[76:77], s[14:15], 0, v[4:5]
	v_lshlrev_b64 v[4:5], 1, v[14:15]
	v_add3_u32 v7, v7, v20, v2
	v_add3_u32 v19, v2, v19, v20
	s_addc_u32 s5, s1, 0
	s_waitcnt lgkmcnt(0)
	s_lshl_b32 s3, s3, 7
	v_lshl_add_u64 v[78:79], s[12:13], 0, v[4:5]
	v_lshl_add_u64 v[80:81], s[14:15], 0, v[4:5]
	v_lshlrev_b64 v[4:5], 1, v[16:17]
	v_mbcnt_lo_u32_b32 v2, -1, 0
	s_add_u32 s6, s26, 0x7f
	s_mul_i32 s17, s11, s3
	s_mul_hi_u32 s18, s10, s3
	v_lshlrev_b64 v[6:7], 1, v[6:7]
	v_lshl_add_u64 v[82:83], s[12:13], 0, v[4:5]
	v_lshl_add_u64 v[84:85], s[14:15], 0, v[4:5]
	v_lshlrev_b64 v[4:5], 1, v[18:19]
	v_mbcnt_hi_u32_b32 v2, -1, v2
	s_addc_u32 s7, 0, 0
	s_add_i32 s19, s18, s17
	s_mul_i32 s18, s10, s3
	v_lshl_add_u64 v[58:59], s[12:13], 0, v[6:7]
	v_lshl_add_u64 v[60:61], s[14:15], 0, v[6:7]
	;; [unrolled: 1-line block ×4, first 2 shown]
	s_movk_i32 s12, 0xff81
	s_movk_i32 s14, 0xff82
	;; [unrolled: 1-line block ×8, first 2 shown]
	v_lshlrev_b32_e32 v2, 2, v2
	s_mov_b32 s16, 0
	s_lshl_b64 s[28:29], s[18:19], 1
	s_mov_b32 s13, -1
	s_mov_b32 s15, -1
	;; [unrolled: 1-line block ×8, first 2 shown]
	v_and_b32_e32 v93, 0x100, v2
	v_mov_b32_e32 v94, 0
.LBB182_53:                             ; =>This Inner Loop Header: Depth=1
	v_mov_b64_e32 v[4:5], s[8:9]
	v_cmp_ge_i64_e32 vcc, s[6:7], v[4:5]
	v_lshl_add_u64 v[90:91], v[26:27], 0, s[6:7]
	s_cbranch_vccz .LBB182_75
; %bb.54:                               ;   in Loop: Header=BB182_53 Depth=1
	s_load_dword s17, s[4:5], 0xc
	v_mov_b32_e32 v95, 0
	s_waitcnt lgkmcnt(0)
	s_and_b32 s17, s17, 0xffff
	v_mad_u32_u24 v2, v92, s17, v1
	v_and_b32_e32 v2, 63, v2
	v_cmp_gt_u32_e32 vcc, 8, v2
	s_and_saveexec_b64 s[18:19], vcc
	s_cbranch_execz .LBB182_58
; %bb.55:                               ;   in Loop: Header=BB182_53 Depth=1
	v_lshl_add_u64 v[4:5], v[90:91], 0, v[2:3]
	v_lshl_add_u64 v[4:5], v[4:5], 0, s[12:13]
	v_cmp_gt_i64_e32 vcc, s[8:9], v[4:5]
	v_mov_b32_e32 v95, 0
	s_and_saveexec_b64 s[20:21], vcc
	s_cbranch_execz .LBB182_57
; %bb.56:                               ;   in Loop: Header=BB182_53 Depth=1
	v_lshl_add_u64 v[4:5], v[4:5], 2, s[24:25]
	global_load_dword v95, v[4:5], off
.LBB182_57:                             ;   in Loop: Header=BB182_53 Depth=1
	s_or_b64 exec, exec, s[20:21]
.LBB182_58:                             ;   in Loop: Header=BB182_53 Depth=1
	s_or_b64 exec, exec, s[18:19]
	s_mov_b32 s17, s16
	s_mov_b32 s18, s16
	;; [unrolled: 1-line block ×7, first 2 shown]
	v_mov_b64_e32 v[10:11], s[16:17]
	v_mov_b64_e32 v[16:17], s[22:23]
	v_lshl_add_u64 v[4:5], v[90:91], 0, s[12:13]
	v_mov_b64_e32 v[12:13], s[18:19]
	v_mov_b64_e32 v[14:15], s[20:21]
	;; [unrolled: 1-line block ×3, first 2 shown]
	v_cmp_gt_i64_e32 vcc, s[8:9], v[4:5]
	v_mov_b64_e32 v[22:23], v[14:15]
	v_mov_b64_e32 v[20:21], v[12:13]
	;; [unrolled: 1-line block ×3, first 2 shown]
	s_and_saveexec_b64 s[18:19], vcc
	s_cbranch_execz .LBB182_60
; %bb.59:                               ;   in Loop: Header=BB182_53 Depth=1
	v_lshl_add_u64 v[4:5], v[58:59], 0, v[28:29]
	global_load_ushort v2, v[4:5], off
	v_lshl_add_u64 v[4:5], v[60:61], 0, v[28:29]
	global_load_ushort v10, v[4:5], off
	v_mov_b32_e32 v8, v3
	v_mov_b32_e32 v9, v3
	;; [unrolled: 1-line block ×13, first 2 shown]
	s_waitcnt vmcnt(1)
	v_cvt_f32_f16_e32 v2, v2
	v_mov_b64_e32 v[24:25], v[8:9]
	s_waitcnt vmcnt(0)
	v_cvt_f32_f16_e32 v10, v10
	v_mov_b64_e32 v[22:23], v[6:7]
	v_mov_b64_e32 v[20:21], v[4:5]
	;; [unrolled: 1-line block ×3, first 2 shown]
.LBB182_60:                             ;   in Loop: Header=BB182_53 Depth=1
	s_or_b64 exec, exec, s[18:19]
	v_lshl_add_u64 v[4:5], v[90:91], 0, s[14:15]
	v_cmp_gt_i64_e32 vcc, s[8:9], v[4:5]
	s_and_saveexec_b64 s[18:19], vcc
	s_cbranch_execz .LBB182_62
; %bb.61:                               ;   in Loop: Header=BB182_53 Depth=1
	v_lshl_add_u64 v[4:5], v[86:87], 0, v[28:29]
	global_load_ushort v2, v[4:5], off
	v_lshl_add_u64 v[4:5], v[88:89], 0, v[28:29]
	global_load_ushort v4, v[4:5], off
	s_waitcnt vmcnt(1)
	v_cvt_f32_f16_e32 v19, v2
	s_waitcnt vmcnt(0)
	v_cvt_f32_f16_e32 v11, v4
.LBB182_62:                             ;   in Loop: Header=BB182_53 Depth=1
	s_or_b64 exec, exec, s[18:19]
	v_lshl_add_u64 v[4:5], v[90:91], 0, s[30:31]
	v_cmp_gt_i64_e32 vcc, s[8:9], v[4:5]
	s_and_saveexec_b64 s[18:19], vcc
	s_cbranch_execz .LBB182_64
; %bb.63:                               ;   in Loop: Header=BB182_53 Depth=1
	v_lshl_add_u64 v[4:5], v[82:83], 0, v[28:29]
	global_load_ushort v2, v[4:5], off
	v_lshl_add_u64 v[4:5], v[84:85], 0, v[28:29]
	global_load_ushort v4, v[4:5], off
	s_waitcnt vmcnt(1)
	v_cvt_f32_f16_e32 v20, v2
	s_waitcnt vmcnt(0)
	v_cvt_f32_f16_e32 v12, v4
.LBB182_64:                             ;   in Loop: Header=BB182_53 Depth=1
	;; [unrolled: 15-line block ×7, first 2 shown]
	s_or_b64 exec, exec, s[18:19]
	s_waitcnt vmcnt(0)
	ds_bpermute_b32 v4, v93, v95
	ds_bpermute_b32 v5, v93, v95 offset:4
	v_pk_mul_f32 v[8:9], v[14:15], v[22:23]
	ds_bpermute_b32 v14, v93, v95 offset:8
	ds_bpermute_b32 v15, v93, v95 offset:12
	v_pk_mul_f32 v[10:11], v[10:11], v[18:19]
	v_pk_mul_f32 v[12:13], v[12:13], v[20:21]
	s_waitcnt lgkmcnt(2)
	v_pk_mul_f32 v[4:5], v[10:11], v[4:5]
	ds_bpermute_b32 v10, v93, v95 offset:16
	ds_bpermute_b32 v11, v93, v95 offset:20
	v_add_f32_e32 v2, v94, v4
	v_add_f32_e32 v2, v2, v5
	s_waitcnt lgkmcnt(2)
	v_pk_mul_f32 v[4:5], v[12:13], v[14:15]
	ds_bpermute_b32 v12, v93, v95 offset:24
	ds_bpermute_b32 v13, v93, v95 offset:28
	v_add_f32_e32 v2, v2, v4
	v_add_f32_e32 v2, v2, v5
	s_waitcnt lgkmcnt(2)
	v_pk_mul_f32 v[4:5], v[8:9], v[10:11]
	v_pk_mul_f32 v[6:7], v[16:17], v[24:25]
	v_add_f32_e32 v2, v2, v4
	v_add_f32_e32 v2, v2, v5
	s_waitcnt lgkmcnt(0)
	v_pk_mul_f32 v[4:5], v[6:7], v[12:13]
	s_nop 0
	v_add_f32_e32 v2, v2, v4
	v_add_f32_e32 v2, v2, v5
	s_branch .LBB182_81
.LBB182_75:                             ;   in Loop: Header=BB182_53 Depth=1
                                        ; implicit-def: $vgpr2
	s_cbranch_execz .LBB182_81
; %bb.76:                               ;   in Loop: Header=BB182_53 Depth=1
	s_load_dword s17, s[4:5], 0x0
	v_mov_b32_e32 v6, 0
	s_waitcnt lgkmcnt(0)
	s_cmp_lt_u32 s2, s17
	s_cselect_b32 s17, 12, 18
	s_add_u32 s18, s4, s17
	s_addc_u32 s19, s5, 0
	global_load_ushort v2, v3, s[18:19]
	s_waitcnt vmcnt(0)
	v_mad_u32_u24 v2, v92, v2, v1
	v_and_b32_e32 v2, 63, v2
	v_cmp_gt_u32_e32 vcc, 8, v2
	s_and_saveexec_b64 s[18:19], vcc
	s_cbranch_execz .LBB182_80
; %bb.77:                               ;   in Loop: Header=BB182_53 Depth=1
	v_lshl_add_u64 v[4:5], v[90:91], 0, v[2:3]
	v_lshl_add_u64 v[4:5], v[4:5], 0, s[12:13]
	v_cmp_gt_i64_e32 vcc, s[8:9], v[4:5]
	v_mov_b32_e32 v6, 0
	s_and_saveexec_b64 s[20:21], vcc
	s_cbranch_execz .LBB182_79
; %bb.78:                               ;   in Loop: Header=BB182_53 Depth=1
	v_lshl_add_u64 v[4:5], v[4:5], 2, s[24:25]
	global_load_dword v6, v[4:5], off
.LBB182_79:                             ;   in Loop: Header=BB182_53 Depth=1
	s_or_b64 exec, exec, s[20:21]
.LBB182_80:                             ;   in Loop: Header=BB182_53 Depth=1
	s_or_b64 exec, exec, s[18:19]
	v_lshl_add_u64 v[4:5], v[58:59], 0, v[28:29]
	global_load_ushort v2, v[4:5], off
	v_lshl_add_u64 v[4:5], v[60:61], 0, v[28:29]
	global_load_ushort v7, v[4:5], off
	;; [unrolled: 2-line block ×16, first 2 shown]
	s_waitcnt vmcnt(16)
	ds_bpermute_b32 v5, v93, v6
	ds_bpermute_b32 v21, v93, v6 offset:4
	ds_bpermute_b32 v22, v93, v6 offset:8
	;; [unrolled: 1-line block ×7, first 2 shown]
	s_waitcnt vmcnt(15)
	v_cvt_f32_f16_e32 v2, v2
	s_waitcnt vmcnt(14)
	v_cvt_f32_f16_e32 v7, v7
	;; [unrolled: 2-line block ×4, first 2 shown]
	v_mul_f32_e32 v2, v2, v7
	s_waitcnt vmcnt(11)
	v_cvt_f32_f16_e32 v10, v10
	s_waitcnt lgkmcnt(7)
	v_fmac_f32_e32 v94, v2, v5
	s_waitcnt vmcnt(10)
	v_cvt_f32_f16_e32 v11, v11
	v_mul_f32_e32 v7, v8, v9
	s_waitcnt vmcnt(9)
	v_cvt_f32_f16_e32 v12, v12
	s_waitcnt lgkmcnt(6)
	v_fmac_f32_e32 v94, v7, v21
	s_waitcnt vmcnt(8)
	v_cvt_f32_f16_e32 v13, v13
	;; [unrolled: 7-line block ×6, first 2 shown]
	v_mul_f32_e32 v12, v18, v19
	s_waitcnt lgkmcnt(1)
	v_fmac_f32_e32 v94, v12, v90
	v_mul_f32_e32 v2, v20, v4
	s_waitcnt lgkmcnt(0)
	v_fmac_f32_e32 v94, v2, v6
	v_mov_b32_e32 v2, v94
.LBB182_81:                             ;   in Loop: Header=BB182_53 Depth=1
	s_add_u32 s26, s26, s3
	s_addc_u32 s27, s27, 0
	v_mov_b64_e32 v[4:5], s[8:9]
	s_add_u32 s6, s6, s3
	v_cmp_ge_i64_e32 vcc, s[26:27], v[4:5]
	s_addc_u32 s7, s7, 0
	v_lshl_add_u64 v[30:31], v[30:31], 0, s[28:29]
	v_lshl_add_u64 v[32:33], v[32:33], 0, s[28:29]
	;; [unrolled: 1-line block ×30, first 2 shown]
	s_cbranch_vccnz .LBB182_83
; %bb.82:                               ;   in Loop: Header=BB182_53 Depth=1
	v_mov_b32_e32 v94, v2
	s_branch .LBB182_53
.LBB182_83:
	v_and_b32_e32 v3, 0x3ff, v0
	v_bfe_u32 v0, v0, 10, 10
	v_mad_u32_u24 v4, v0, 33, v3
	v_lshl_add_u32 v5, v4, 2, 0
	ds_write_b32 v5, v2
	v_sub_u32_e32 v2, v4, v0
	s_movk_i32 s4, 0x800
	s_mov_b32 s3, 0
	v_mov_b32_e32 v1, 0
	v_cmp_gt_u32_e32 vcc, s4, v2
	ds_write_b32 v5, v1 offset:2112
	s_waitcnt lgkmcnt(0)
	s_barrier
	s_and_saveexec_b64 s[4:5], vcc
	s_cbranch_execz .LBB182_90
; %bb.84:
	v_mbcnt_lo_u32_b32 v4, -1, 0
	v_mbcnt_hi_u32_b32 v7, -1, v4
	v_and_b32_e32 v4, 64, v7
	s_load_dwordx2 s[14:15], s[0:1], 0x30
	v_add_u32_e32 v8, 64, v4
	v_cmp_ne_u32_e64 s[0:1], 0, v3
	v_xor_b32_e32 v3, 8, v7
	v_cmp_lt_i32_e64 s[4:5], v3, v8
	s_lshl_b64 s[6:7], s[2:3], 5
	s_waitcnt lgkmcnt(0)
	s_cmp_eq_u64 s[14:15], 0
	v_cndmask_b32_e64 v3, v7, v3, s[4:5]
	v_lshlrev_b32_e32 v4, 2, v3
	v_xor_b32_e32 v3, 4, v7
	v_cmp_lt_i32_e64 s[4:5], v3, v8
	v_lshrrev_b32_e32 v0, 6, v2
	v_and_b32_e32 v2, 63, v2
	v_cndmask_b32_e64 v3, v7, v3, s[4:5]
	v_lshlrev_b32_e32 v5, 2, v3
	v_xor_b32_e32 v3, 2, v7
	v_cmp_lt_i32_e64 s[4:5], v3, v8
	s_cselect_b64 s[12:13], -1, 0
	s_lshl_b64 s[2:3], s[2:3], 6
	v_cndmask_b32_e64 v3, v7, v3, s[4:5]
	v_lshlrev_b32_e32 v6, 2, v3
	v_xor_b32_e32 v3, 1, v7
	v_cmp_lt_i32_e64 s[4:5], v3, v8
	v_cmp_gt_u32_e32 vcc, 16, v2
	v_mul_u32_u24_e32 v2, 0x84, v2
	v_cndmask_b32_e64 v3, v7, v3, s[4:5]
	v_lshlrev_b32_e32 v7, 2, v3
	v_lshlrev_b32_e32 v3, 2, v0
	s_add_u32 s2, s14, s2
	v_add3_u32 v8, v2, v3, 0
	v_lshlrev_b32_e32 v2, 1, v0
	v_mov_b32_e32 v3, v1
	s_addc_u32 s3, s15, s3
	s_mov_b64 s[8:9], 0
	v_lshl_add_u64 v[2:3], s[2:3], 0, v[2:3]
                                        ; implicit-def: $vgpr9
	s_branch .LBB182_86
.LBB182_85:                             ;   in Loop: Header=BB182_86 Depth=1
	s_or_b64 exec, exec, s[2:3]
	v_lshl_add_u64 v[0:1], v[0:1], 0, 8
	v_add_u32_e32 v10, -8, v0
	v_cmp_lt_u32_e64 s[2:3], 23, v10
	v_add_u32_e32 v8, 32, v8
	s_or_b64 s[8:9], s[2:3], s[8:9]
	v_lshl_add_u64 v[2:3], v[2:3], 0, 16
	s_andn2_b64 exec, exec, s[8:9]
	s_cbranch_execz .LBB182_90
.LBB182_86:                             ; =>This Inner Loop Header: Depth=1
	s_and_saveexec_b64 s[2:3], vcc
	s_cbranch_execz .LBB182_88
; %bb.87:                               ;   in Loop: Header=BB182_86 Depth=1
	ds_read_b32 v9, v8
.LBB182_88:                             ;   in Loop: Header=BB182_86 Depth=1
	s_or_b64 exec, exec, s[2:3]
	s_waitcnt lgkmcnt(0)
	ds_bpermute_b32 v10, v4, v9
	s_waitcnt lgkmcnt(0)
	v_add_f32_e32 v9, v9, v10
	ds_bpermute_b32 v10, v5, v9
	s_waitcnt lgkmcnt(0)
	v_add_f32_e32 v9, v9, v10
	;; [unrolled: 3-line block ×3, first 2 shown]
	ds_bpermute_b32 v12, v7, v9
	v_lshl_add_u64 v[10:11], s[6:7], 0, v[0:1]
	v_cmp_le_i64_e64 s[2:3], s[10:11], v[10:11]
	s_or_b64 s[2:3], s[0:1], s[2:3]
	s_or_b64 s[2:3], s[12:13], s[2:3]
	s_waitcnt lgkmcnt(0)
	v_add_f32_e32 v9, v9, v12
	s_xor_b64 s[4:5], s[2:3], -1
	s_and_saveexec_b64 s[2:3], s[4:5]
	s_cbranch_execz .LBB182_85
; %bb.89:                               ;   in Loop: Header=BB182_86 Depth=1
	v_cvt_f16_f32_e32 v10, v9
	global_store_short v[2:3], v10, off
	s_branch .LBB182_85
.LBB182_90:
	s_endpgm
	.section	.rodata,"a",@progbits
	.p2align	6, 0x0
	.amdhsa_kernel _ZN2at6native12_GLOBAL__N_135GammaBetaBackwardCUDAKernelTemplateIN3c104HalfEfLj32ELj16ELj128ELb0ELb0ELb1EEEvllPKT_S7_PKT0_SA_PS5_SB_
		.amdhsa_group_segment_fixed_size 0
		.amdhsa_private_segment_fixed_size 0
		.amdhsa_kernarg_size 320
		.amdhsa_user_sgpr_count 2
		.amdhsa_user_sgpr_dispatch_ptr 0
		.amdhsa_user_sgpr_queue_ptr 0
		.amdhsa_user_sgpr_kernarg_segment_ptr 1
		.amdhsa_user_sgpr_dispatch_id 0
		.amdhsa_user_sgpr_kernarg_preload_length 0
		.amdhsa_user_sgpr_kernarg_preload_offset 0
		.amdhsa_user_sgpr_private_segment_size 0
		.amdhsa_uses_dynamic_stack 0
		.amdhsa_enable_private_segment 0
		.amdhsa_system_sgpr_workgroup_id_x 1
		.amdhsa_system_sgpr_workgroup_id_y 1
		.amdhsa_system_sgpr_workgroup_id_z 0
		.amdhsa_system_sgpr_workgroup_info 0
		.amdhsa_system_vgpr_workitem_id 1
		.amdhsa_next_free_vgpr 96
		.amdhsa_next_free_sgpr 56
		.amdhsa_accum_offset 96
		.amdhsa_reserve_vcc 1
		.amdhsa_float_round_mode_32 0
		.amdhsa_float_round_mode_16_64 0
		.amdhsa_float_denorm_mode_32 3
		.amdhsa_float_denorm_mode_16_64 3
		.amdhsa_dx10_clamp 1
		.amdhsa_ieee_mode 1
		.amdhsa_fp16_overflow 0
		.amdhsa_tg_split 0
		.amdhsa_exception_fp_ieee_invalid_op 0
		.amdhsa_exception_fp_denorm_src 0
		.amdhsa_exception_fp_ieee_div_zero 0
		.amdhsa_exception_fp_ieee_overflow 0
		.amdhsa_exception_fp_ieee_underflow 0
		.amdhsa_exception_fp_ieee_inexact 0
		.amdhsa_exception_int_div_zero 0
	.end_amdhsa_kernel
	.section	.text._ZN2at6native12_GLOBAL__N_135GammaBetaBackwardCUDAKernelTemplateIN3c104HalfEfLj32ELj16ELj128ELb0ELb0ELb1EEEvllPKT_S7_PKT0_SA_PS5_SB_,"axG",@progbits,_ZN2at6native12_GLOBAL__N_135GammaBetaBackwardCUDAKernelTemplateIN3c104HalfEfLj32ELj16ELj128ELb0ELb0ELb1EEEvllPKT_S7_PKT0_SA_PS5_SB_,comdat
.Lfunc_end182:
	.size	_ZN2at6native12_GLOBAL__N_135GammaBetaBackwardCUDAKernelTemplateIN3c104HalfEfLj32ELj16ELj128ELb0ELb0ELb1EEEvllPKT_S7_PKT0_SA_PS5_SB_, .Lfunc_end182-_ZN2at6native12_GLOBAL__N_135GammaBetaBackwardCUDAKernelTemplateIN3c104HalfEfLj32ELj16ELj128ELb0ELb0ELb1EEEvllPKT_S7_PKT0_SA_PS5_SB_
                                        ; -- End function
	.section	.AMDGPU.csdata,"",@progbits
; Kernel info:
; codeLenInByte = 6644
; NumSgprs: 62
; NumVgprs: 96
; NumAgprs: 0
; TotalNumVgprs: 96
; ScratchSize: 0
; MemoryBound: 0
; FloatMode: 240
; IeeeMode: 1
; LDSByteSize: 0 bytes/workgroup (compile time only)
; SGPRBlocks: 7
; VGPRBlocks: 11
; NumSGPRsForWavesPerEU: 62
; NumVGPRsForWavesPerEU: 96
; AccumOffset: 96
; Occupancy: 5
; WaveLimiterHint : 0
; COMPUTE_PGM_RSRC2:SCRATCH_EN: 0
; COMPUTE_PGM_RSRC2:USER_SGPR: 2
; COMPUTE_PGM_RSRC2:TRAP_HANDLER: 0
; COMPUTE_PGM_RSRC2:TGID_X_EN: 1
; COMPUTE_PGM_RSRC2:TGID_Y_EN: 1
; COMPUTE_PGM_RSRC2:TGID_Z_EN: 0
; COMPUTE_PGM_RSRC2:TIDIG_COMP_CNT: 1
; COMPUTE_PGM_RSRC3_GFX90A:ACCUM_OFFSET: 23
; COMPUTE_PGM_RSRC3_GFX90A:TG_SPLIT: 0
	.section	.text._ZN2at6native12_GLOBAL__N_135GammaBetaBackwardCUDAKernelTemplateIN3c104HalfEfLj32ELj32ELj256ELb0ELb1ELb1EEEvllPKT_S7_PKT0_SA_PS5_SB_,"axG",@progbits,_ZN2at6native12_GLOBAL__N_135GammaBetaBackwardCUDAKernelTemplateIN3c104HalfEfLj32ELj32ELj256ELb0ELb1ELb1EEEvllPKT_S7_PKT0_SA_PS5_SB_,comdat
	.globl	_ZN2at6native12_GLOBAL__N_135GammaBetaBackwardCUDAKernelTemplateIN3c104HalfEfLj32ELj32ELj256ELb0ELb1ELb1EEEvllPKT_S7_PKT0_SA_PS5_SB_ ; -- Begin function _ZN2at6native12_GLOBAL__N_135GammaBetaBackwardCUDAKernelTemplateIN3c104HalfEfLj32ELj32ELj256ELb0ELb1ELb1EEEvllPKT_S7_PKT0_SA_PS5_SB_
	.p2align	8
	.type	_ZN2at6native12_GLOBAL__N_135GammaBetaBackwardCUDAKernelTemplateIN3c104HalfEfLj32ELj32ELj256ELb0ELb1ELb1EEEvllPKT_S7_PKT0_SA_PS5_SB_,@function
_ZN2at6native12_GLOBAL__N_135GammaBetaBackwardCUDAKernelTemplateIN3c104HalfEfLj32ELj32ELj256ELb0ELb1ELb1EEEvllPKT_S7_PKT0_SA_PS5_SB_: ; @_ZN2at6native12_GLOBAL__N_135GammaBetaBackwardCUDAKernelTemplateIN3c104HalfEfLj32ELj32ELj256ELb0ELb1ELb1EEEvllPKT_S7_PKT0_SA_PS5_SB_
; %bb.0:
	s_load_dwordx4 s[4:7], s[0:1], 0x0
	s_lshl_b32 s14, s3, 8
	s_mov_b32 s15, 0
	v_bfe_u32 v12, v0, 10, 10
	s_waitcnt lgkmcnt(0)
	v_mov_b64_e32 v[2:3], s[4:5]
	v_cmp_lt_i64_e32 vcc, s[14:15], v[2:3]
	s_cbranch_vccnz .LBB183_2
; %bb.1:
	s_mov_b64 s[8:9], 0
	v_bfe_u32 v2, v0, 10, 10
	s_branch .LBB183_3
.LBB183_2:
	s_mov_b64 s[8:9], -1
                                        ; implicit-def: $vgpr2
.LBB183_3:
	s_load_dwordx2 s[12:13], s[0:1], 0x30
	v_and_b32_e32 v10, 0x3ff, v0
	s_andn2_b64 vcc, exec, s[8:9]
	v_mov_b32_e32 v1, s15
	v_mbcnt_lo_u32_b32 v11, -1, 0
	s_cbranch_vccnz .LBB183_11
; %bb.4:
	s_load_dword s3, s[0:1], 0x4c
	s_load_dword s16, s[0:1], 0x44
	s_load_dwordx2 s[18:19], s[0:1], 0x28
	s_load_dwordx4 s[8:11], s[0:1], 0x10
	v_lshlrev_b32_e32 v0, 3, v12
	s_waitcnt lgkmcnt(0)
	s_and_b32 s0, s3, 0xffff
	v_mad_u32_u24 v1, v12, s0, v10
	v_and_b32_e32 v2, 63, v1
	v_mov_b32_e32 v1, 0
	v_mov_b32_e32 v3, v1
	v_lshl_add_u64 v[8:9], v[0:1], 0, s[14:15]
	v_cmp_gt_u32_e64 s[0:1], 8, v2
	v_mbcnt_hi_u32_b32 v4, -1, v11
	s_lshl_b32 s16, s16, 8
	v_lshl_add_u64 v[2:3], v[8:9], 0, v[2:3]
	v_mul_lo_u32 v0, s7, v8
	v_mul_lo_u32 v21, s6, v9
	v_mad_u64_u32 v[8:9], s[20:21], s6, v8, 0
	v_lshl_add_u32 v6, s2, 5, v10
	v_mov_b32_e32 v7, v1
	v_lshlrev_b32_e32 v4, 2, v4
	s_mul_i32 s3, s7, s16
	s_mul_hi_u32 s20, s6, s16
	s_mov_b32 s17, 0
	v_and_b32_e32 v13, 0x100, v4
	v_add3_u32 v9, v9, v21, v0
	v_lshlrev_b64 v[6:7], 1, v[6:7]
	s_add_i32 s21, s20, s3
	s_mul_i32 s20, s6, s16
	v_or_b32_e32 v14, 4, v13
	v_or_b32_e32 v15, 8, v13
	;; [unrolled: 1-line block ×7, first 2 shown]
	v_lshl_add_u64 v[4:5], v[2:3], 2, s[18:19]
	s_lshl_b64 s[18:19], s[16:17], 2
	v_lshl_add_u64 v[6:7], v[8:9], 1, v[6:7]
	s_lshl_b64 s[20:21], s[20:21], 1
	s_lshl_b64 s[6:7], s[6:7], 1
	v_mov_b64_e32 v[8:9], s[4:5]
	s_branch .LBB183_7
.LBB183_5:                              ;   in Loop: Header=BB183_7 Depth=1
	s_or_b64 exec, exec, s[24:25]
.LBB183_6:                              ;   in Loop: Header=BB183_7 Depth=1
	s_or_b64 exec, exec, s[22:23]
	v_lshl_add_u64 v[22:23], s[8:9], 0, v[6:7]
	global_load_ushort v21, v[22:23], off
	v_lshl_add_u64 v[24:25], s[10:11], 0, v[6:7]
	v_lshl_add_u64 v[22:23], v[22:23], 0, s[6:7]
	global_load_ushort v26, v[24:25], off
	global_load_ushort v27, v[22:23], off
	v_lshl_add_u64 v[24:25], v[24:25], 0, s[6:7]
	v_lshl_add_u64 v[22:23], v[22:23], 0, s[6:7]
	global_load_ushort v28, v[24:25], off
	global_load_ushort v29, v[22:23], off
	v_lshl_add_u64 v[24:25], v[24:25], 0, s[6:7]
	v_lshl_add_u64 v[22:23], v[22:23], 0, s[6:7]
	global_load_ushort v30, v[24:25], off
	global_load_ushort v31, v[22:23], off
	v_lshl_add_u64 v[24:25], v[24:25], 0, s[6:7]
	v_lshl_add_u64 v[22:23], v[22:23], 0, s[6:7]
	global_load_ushort v32, v[24:25], off
	global_load_ushort v33, v[22:23], off
	v_lshl_add_u64 v[24:25], v[24:25], 0, s[6:7]
	v_lshl_add_u64 v[22:23], v[22:23], 0, s[6:7]
	global_load_ushort v34, v[24:25], off
	global_load_ushort v35, v[22:23], off
	v_lshl_add_u64 v[24:25], v[24:25], 0, s[6:7]
	v_lshl_add_u64 v[22:23], v[22:23], 0, s[6:7]
	global_load_ushort v36, v[24:25], off
	global_load_ushort v37, v[22:23], off
	v_lshl_add_u64 v[24:25], v[24:25], 0, s[6:7]
	v_lshl_add_u64 v[22:23], v[22:23], 0, s[6:7]
	global_load_ushort v38, v[24:25], off
	global_load_ushort v39, v[22:23], off
	v_lshl_add_u64 v[22:23], v[24:25], 0, s[6:7]
	global_load_ushort v22, v[22:23], off
	s_waitcnt vmcnt(16)
	ds_bpermute_b32 v23, v13, v0
	ds_bpermute_b32 v24, v14, v0
	;; [unrolled: 1-line block ×8, first 2 shown]
	s_add_u32 s14, s14, s16
	s_addc_u32 s15, s15, 0
	v_cmp_lt_i64_e32 vcc, s[14:15], v[8:9]
	v_lshl_add_u64 v[4:5], v[4:5], 0, s[18:19]
	v_lshl_add_u64 v[2:3], v[2:3], 0, s[16:17]
	;; [unrolled: 1-line block ×3, first 2 shown]
	s_and_b64 vcc, exec, vcc
	s_waitcnt vmcnt(15)
	v_cvt_f32_f16_e32 v21, v21
	s_waitcnt vmcnt(14)
	v_cvt_f32_f16_e32 v26, v26
	;; [unrolled: 2-line block ×5, first 2 shown]
	v_mul_f32_e32 v21, v21, v26
	s_waitcnt lgkmcnt(7)
	v_fmac_f32_e32 v1, v21, v23
	s_waitcnt vmcnt(10)
	v_cvt_f32_f16_e32 v30, v30
	s_waitcnt vmcnt(9)
	v_cvt_f32_f16_e32 v31, v31
	v_mul_f32_e32 v21, v27, v28
	s_waitcnt lgkmcnt(6)
	v_fmac_f32_e32 v1, v21, v24
	s_waitcnt vmcnt(8)
	v_cvt_f32_f16_e32 v32, v32
	s_waitcnt vmcnt(7)
	v_cvt_f32_f16_e32 v33, v33
	;; [unrolled: 7-line block ×5, first 2 shown]
	v_mul_f32_e32 v21, v26, v35
	s_waitcnt vmcnt(0)
	v_cvt_f32_f16_e32 v22, v22
	s_waitcnt lgkmcnt(2)
	v_fmac_f32_e32 v1, v21, v42
	v_mul_f32_e32 v21, v23, v27
	s_waitcnt lgkmcnt(1)
	v_fmac_f32_e32 v1, v21, v43
	v_mul_f32_e32 v21, v24, v22
	s_waitcnt lgkmcnt(0)
	v_fmac_f32_e32 v1, v21, v0
	s_cbranch_vccz .LBB183_10
.LBB183_7:                              ; =>This Inner Loop Header: Depth=1
	v_mov_b32_e32 v0, 0
	s_and_saveexec_b64 s[22:23], s[0:1]
	s_cbranch_execz .LBB183_6
; %bb.8:                                ;   in Loop: Header=BB183_7 Depth=1
	v_cmp_gt_i64_e32 vcc, s[4:5], v[2:3]
	v_mov_b32_e32 v0, 0
	s_and_saveexec_b64 s[24:25], vcc
	s_cbranch_execz .LBB183_5
; %bb.9:                                ;   in Loop: Header=BB183_7 Depth=1
	global_load_dword v0, v[4:5], off
	s_branch .LBB183_5
.LBB183_10:
	v_mov_b32_e32 v2, v12
.LBB183_11:
	v_mad_u32_u24 v0, v2, 33, v10
	v_lshl_add_u32 v3, v0, 2, 0
	v_sub_u32_e32 v0, v0, v2
	s_movk_i32 s0, 0x800
	s_mov_b32 s3, 0
	ds_write_b32 v3, v1
	v_mov_b32_e32 v1, 0
	v_cmp_gt_u32_e32 vcc, s0, v0
	ds_write_b32 v3, v1 offset:4224
	s_waitcnt lgkmcnt(0)
	s_barrier
	s_and_saveexec_b64 s[0:1], vcc
	s_cbranch_execz .LBB183_18
; %bb.12:
	v_mbcnt_hi_u32_b32 v6, -1, v11
	v_and_b32_e32 v2, 64, v6
	s_cmp_lg_u64 s[12:13], 0
	v_add_u32_e32 v7, 64, v2
	v_cmp_eq_u32_e64 s[0:1], 0, v10
	s_cselect_b64 s[6:7], -1, 0
	v_xor_b32_e32 v2, 16, v6
	s_and_b64 s[6:7], s[0:1], s[6:7]
	v_cmp_lt_i32_e64 s[0:1], v2, v7
	v_xor_b32_e32 v3, 8, v6
	v_xor_b32_e32 v4, 4, v6
	v_cndmask_b32_e64 v2, v6, v2, s[0:1]
	v_cmp_lt_i32_e64 s[0:1], v3, v7
	v_xor_b32_e32 v5, 2, v6
	v_xor_b32_e32 v8, 1, v6
	v_cndmask_b32_e64 v3, v6, v3, s[0:1]
	v_cmp_lt_i32_e64 s[0:1], v4, v7
	v_lshrrev_b32_e32 v9, 6, v0
	v_and_b32_e32 v0, 63, v0
	v_cndmask_b32_e64 v4, v6, v4, s[0:1]
	v_cmp_lt_i32_e64 s[0:1], v5, v7
	v_cmp_gt_u32_e32 vcc, 32, v0
	v_mul_u32_u24_e32 v0, 0x84, v0
	v_cndmask_b32_e64 v5, v6, v5, s[0:1]
	v_cmp_lt_i32_e64 s[0:1], v8, v7
	v_lshlrev_b32_e32 v7, 2, v9
	v_add3_u32 v7, v0, v7, 0
	v_cndmask_b32_e64 v6, v6, v8, s[0:1]
	s_lshl_b64 s[0:1], s[2:3], 6
	s_add_u32 s0, s12, s0
	v_lshlrev_b32_e32 v0, 1, v9
	s_addc_u32 s1, s13, s1
	s_mov_b64 s[4:5], 0
	v_lshlrev_b32_e32 v2, 2, v2
	v_lshlrev_b32_e32 v3, 2, v3
	;; [unrolled: 1-line block ×5, first 2 shown]
	v_add_u32_e32 v8, -16, v9
	v_lshl_add_u64 v[0:1], s[0:1], 0, v[0:1]
                                        ; implicit-def: $vgpr9
	s_branch .LBB183_14
.LBB183_13:                             ;   in Loop: Header=BB183_14 Depth=1
	s_or_b64 exec, exec, s[0:1]
	v_add_co_u32_e64 v8, s[0:1], 16, v8
	s_xor_b64 s[0:1], s[0:1], -1
	s_and_b64 s[0:1], exec, s[0:1]
	v_add_u32_e32 v7, 64, v7
	s_or_b64 s[4:5], s[0:1], s[4:5]
	v_lshl_add_u64 v[0:1], v[0:1], 0, 32
	s_andn2_b64 exec, exec, s[4:5]
	s_cbranch_execz .LBB183_18
.LBB183_14:                             ; =>This Inner Loop Header: Depth=1
	s_and_saveexec_b64 s[0:1], vcc
	s_cbranch_execz .LBB183_16
; %bb.15:                               ;   in Loop: Header=BB183_14 Depth=1
	ds_read_b32 v9, v7
.LBB183_16:                             ;   in Loop: Header=BB183_14 Depth=1
	s_or_b64 exec, exec, s[0:1]
	s_waitcnt lgkmcnt(0)
	ds_bpermute_b32 v10, v2, v9
	s_waitcnt lgkmcnt(0)
	v_add_f32_e32 v9, v9, v10
	ds_bpermute_b32 v10, v3, v9
	s_waitcnt lgkmcnt(0)
	v_add_f32_e32 v9, v9, v10
	;; [unrolled: 3-line block ×5, first 2 shown]
	s_and_saveexec_b64 s[0:1], s[6:7]
	s_cbranch_execz .LBB183_13
; %bb.17:                               ;   in Loop: Header=BB183_14 Depth=1
	v_cvt_f16_f32_e32 v10, v9
	global_store_short v[0:1], v10, off
	s_branch .LBB183_13
.LBB183_18:
	s_endpgm
	.section	.rodata,"a",@progbits
	.p2align	6, 0x0
	.amdhsa_kernel _ZN2at6native12_GLOBAL__N_135GammaBetaBackwardCUDAKernelTemplateIN3c104HalfEfLj32ELj32ELj256ELb0ELb1ELb1EEEvllPKT_S7_PKT0_SA_PS5_SB_
		.amdhsa_group_segment_fixed_size 0
		.amdhsa_private_segment_fixed_size 0
		.amdhsa_kernarg_size 320
		.amdhsa_user_sgpr_count 2
		.amdhsa_user_sgpr_dispatch_ptr 0
		.amdhsa_user_sgpr_queue_ptr 0
		.amdhsa_user_sgpr_kernarg_segment_ptr 1
		.amdhsa_user_sgpr_dispatch_id 0
		.amdhsa_user_sgpr_kernarg_preload_length 0
		.amdhsa_user_sgpr_kernarg_preload_offset 0
		.amdhsa_user_sgpr_private_segment_size 0
		.amdhsa_uses_dynamic_stack 0
		.amdhsa_enable_private_segment 0
		.amdhsa_system_sgpr_workgroup_id_x 1
		.amdhsa_system_sgpr_workgroup_id_y 1
		.amdhsa_system_sgpr_workgroup_id_z 0
		.amdhsa_system_sgpr_workgroup_info 0
		.amdhsa_system_vgpr_workitem_id 1
		.amdhsa_next_free_vgpr 44
		.amdhsa_next_free_sgpr 26
		.amdhsa_accum_offset 44
		.amdhsa_reserve_vcc 1
		.amdhsa_float_round_mode_32 0
		.amdhsa_float_round_mode_16_64 0
		.amdhsa_float_denorm_mode_32 3
		.amdhsa_float_denorm_mode_16_64 3
		.amdhsa_dx10_clamp 1
		.amdhsa_ieee_mode 1
		.amdhsa_fp16_overflow 0
		.amdhsa_tg_split 0
		.amdhsa_exception_fp_ieee_invalid_op 0
		.amdhsa_exception_fp_denorm_src 0
		.amdhsa_exception_fp_ieee_div_zero 0
		.amdhsa_exception_fp_ieee_overflow 0
		.amdhsa_exception_fp_ieee_underflow 0
		.amdhsa_exception_fp_ieee_inexact 0
		.amdhsa_exception_int_div_zero 0
	.end_amdhsa_kernel
	.section	.text._ZN2at6native12_GLOBAL__N_135GammaBetaBackwardCUDAKernelTemplateIN3c104HalfEfLj32ELj32ELj256ELb0ELb1ELb1EEEvllPKT_S7_PKT0_SA_PS5_SB_,"axG",@progbits,_ZN2at6native12_GLOBAL__N_135GammaBetaBackwardCUDAKernelTemplateIN3c104HalfEfLj32ELj32ELj256ELb0ELb1ELb1EEEvllPKT_S7_PKT0_SA_PS5_SB_,comdat
.Lfunc_end183:
	.size	_ZN2at6native12_GLOBAL__N_135GammaBetaBackwardCUDAKernelTemplateIN3c104HalfEfLj32ELj32ELj256ELb0ELb1ELb1EEEvllPKT_S7_PKT0_SA_PS5_SB_, .Lfunc_end183-_ZN2at6native12_GLOBAL__N_135GammaBetaBackwardCUDAKernelTemplateIN3c104HalfEfLj32ELj32ELj256ELb0ELb1ELb1EEEvllPKT_S7_PKT0_SA_PS5_SB_
                                        ; -- End function
	.section	.AMDGPU.csdata,"",@progbits
; Kernel info:
; codeLenInByte = 1460
; NumSgprs: 32
; NumVgprs: 44
; NumAgprs: 0
; TotalNumVgprs: 44
; ScratchSize: 0
; MemoryBound: 0
; FloatMode: 240
; IeeeMode: 1
; LDSByteSize: 0 bytes/workgroup (compile time only)
; SGPRBlocks: 3
; VGPRBlocks: 5
; NumSGPRsForWavesPerEU: 32
; NumVGPRsForWavesPerEU: 44
; AccumOffset: 44
; Occupancy: 8
; WaveLimiterHint : 0
; COMPUTE_PGM_RSRC2:SCRATCH_EN: 0
; COMPUTE_PGM_RSRC2:USER_SGPR: 2
; COMPUTE_PGM_RSRC2:TRAP_HANDLER: 0
; COMPUTE_PGM_RSRC2:TGID_X_EN: 1
; COMPUTE_PGM_RSRC2:TGID_Y_EN: 1
; COMPUTE_PGM_RSRC2:TGID_Z_EN: 0
; COMPUTE_PGM_RSRC2:TIDIG_COMP_CNT: 1
; COMPUTE_PGM_RSRC3_GFX90A:ACCUM_OFFSET: 10
; COMPUTE_PGM_RSRC3_GFX90A:TG_SPLIT: 0
	.section	.text._ZN2at6native12_GLOBAL__N_135GammaBetaBackwardCUDAKernelTemplateIN3c104HalfEfLj32ELj32ELj256ELb0ELb0ELb1EEEvllPKT_S7_PKT0_SA_PS5_SB_,"axG",@progbits,_ZN2at6native12_GLOBAL__N_135GammaBetaBackwardCUDAKernelTemplateIN3c104HalfEfLj32ELj32ELj256ELb0ELb0ELb1EEEvllPKT_S7_PKT0_SA_PS5_SB_,comdat
	.globl	_ZN2at6native12_GLOBAL__N_135GammaBetaBackwardCUDAKernelTemplateIN3c104HalfEfLj32ELj32ELj256ELb0ELb0ELb1EEEvllPKT_S7_PKT0_SA_PS5_SB_ ; -- Begin function _ZN2at6native12_GLOBAL__N_135GammaBetaBackwardCUDAKernelTemplateIN3c104HalfEfLj32ELj32ELj256ELb0ELb0ELb1EEEvllPKT_S7_PKT0_SA_PS5_SB_
	.p2align	8
	.type	_ZN2at6native12_GLOBAL__N_135GammaBetaBackwardCUDAKernelTemplateIN3c104HalfEfLj32ELj32ELj256ELb0ELb0ELb1EEEvllPKT_S7_PKT0_SA_PS5_SB_,@function
_ZN2at6native12_GLOBAL__N_135GammaBetaBackwardCUDAKernelTemplateIN3c104HalfEfLj32ELj32ELj256ELb0ELb0ELb1EEEvllPKT_S7_PKT0_SA_PS5_SB_: ; @_ZN2at6native12_GLOBAL__N_135GammaBetaBackwardCUDAKernelTemplateIN3c104HalfEfLj32ELj32ELj256ELb0ELb0ELb1EEEvllPKT_S7_PKT0_SA_PS5_SB_
; %bb.0:
	s_load_dwordx8 s[8:15], s[0:1], 0x0
	s_load_dwordx2 s[24:25], s[0:1], 0x28
	s_lshl_b32 s33, s2, 5
	s_or_b32 s26, s33, 31
	s_mov_b32 s27, 0
	s_waitcnt lgkmcnt(0)
	v_mov_b64_e32 v[2:3], s[10:11]
	v_cmp_ge_i64_e32 vcc, s[26:27], v[2:3]
	s_lshl_b32 s26, s3, 8
	v_mov_b64_e32 v[2:3], s[8:9]
	v_cmp_lt_i64_e64 s[4:5], s[26:27], v[2:3]
	s_nop 1
	v_cndmask_b32_e64 v1, 0, 1, s[4:5]
	v_cmp_ne_u32_e64 s[4:5], 1, v1
	s_cbranch_vccz .LBB184_49
; %bb.1:
	s_and_b64 vcc, exec, s[4:5]
	v_mov_b32_e32 v2, 0
	s_cbranch_vccnz .LBB184_50
; %bb.2:
	v_mov_b32_e32 v3, 0
	v_bfe_u32 v64, v0, 10, 10
	s_load_dword s3, s[0:1], 0x44
	v_lshlrev_b32_e32 v26, 3, v64
	v_mov_b32_e32 v27, v3
	v_and_b32_e32 v1, 0x3ff, v0
	v_lshl_add_u64 v[4:5], v[26:27], 0, s[26:27]
	v_add_u32_e32 v2, s33, v1
	v_lshl_add_u64 v[6:7], v[4:5], 0, 7
	s_add_u32 s28, s0, 64
	v_cmp_gt_i64_e64 s[6:7], s[10:11], v[2:3]
	v_lshlrev_b64 v[28:29], 1, v[2:3]
	v_mul_lo_u32 v2, s11, v6
	v_mul_lo_u32 v8, s10, v7
	v_mad_u64_u32 v[6:7], s[18:19], s10, v6, 0
	s_addc_u32 s29, s1, 0
	s_waitcnt lgkmcnt(0)
	s_lshl_b32 s3, s3, 8
	v_add3_u32 v7, v7, v8, v2
	v_lshlrev_b64 v[6:7], 1, v[6:7]
	s_mul_i32 s17, s11, s3
	s_mul_hi_u32 s18, s10, s3
	v_lshl_add_u64 v[30:31], s[12:13], 0, v[6:7]
	s_add_i32 s19, s18, s17
	s_mul_i32 s18, s10, s3
	v_lshl_add_u64 v[32:33], s[14:15], 0, v[6:7]
	v_lshl_add_u64 v[6:7], v[4:5], 0, 6
	s_lshl_b64 s[30:31], s[18:19], 1
	v_mul_lo_u32 v2, s11, v6
	v_mul_lo_u32 v8, s10, v7
	v_mad_u64_u32 v[6:7], s[18:19], s10, v6, 0
	v_add3_u32 v7, v7, v8, v2
	v_lshlrev_b64 v[6:7], 1, v[6:7]
	v_lshl_add_u64 v[34:35], s[12:13], 0, v[6:7]
	v_lshl_add_u64 v[36:37], s[14:15], 0, v[6:7]
	v_lshl_add_u64 v[6:7], v[4:5], 0, 5
	v_mul_lo_u32 v2, s11, v6
	v_mul_lo_u32 v8, s10, v7
	v_mad_u64_u32 v[6:7], s[18:19], s10, v6, 0
	v_add3_u32 v7, v7, v8, v2
	v_lshlrev_b64 v[6:7], 1, v[6:7]
	v_lshl_add_u64 v[38:39], s[12:13], 0, v[6:7]
	v_lshl_add_u64 v[40:41], s[14:15], 0, v[6:7]
	v_lshl_add_u64 v[6:7], v[4:5], 0, 4
	;; [unrolled: 8-line block ×4, first 2 shown]
	v_mul_lo_u32 v2, s11, v6
	v_mul_lo_u32 v8, s10, v7
	v_mad_u64_u32 v[6:7], s[18:19], s10, v6, 0
	v_add3_u32 v7, v7, v8, v2
	v_lshlrev_b64 v[6:7], 1, v[6:7]
	v_lshl_add_u64 v[50:51], s[12:13], 0, v[6:7]
	v_lshl_add_u64 v[52:53], s[14:15], 0, v[6:7]
	v_mov_b64_e32 v[6:7], s[10:11]
	v_mad_u64_u32 v[6:7], s[18:19], s10, v4, v[6:7]
	v_mul_lo_u32 v2, s10, v5
	v_mul_lo_u32 v8, s11, v4
	v_mad_u64_u32 v[4:5], s[18:19], s10, v4, 0
	v_add3_u32 v7, v8, v7, v2
	v_add3_u32 v5, v5, v2, v8
	v_mbcnt_lo_u32_b32 v2, -1, 0
	v_mbcnt_hi_u32_b32 v2, -1, v2
	v_lshlrev_b64 v[6:7], 1, v[6:7]
	s_add_u32 s34, s26, 0xff
	v_lshlrev_b64 v[4:5], 1, v[4:5]
	s_movk_i32 s36, 0xff01
	s_movk_i32 s38, 0xff02
	;; [unrolled: 1-line block ×8, first 2 shown]
	v_lshlrev_b32_e32 v2, 2, v2
	s_mov_b32 s16, 0
	v_lshl_add_u64 v[54:55], s[12:13], 0, v[6:7]
	v_lshl_add_u64 v[56:57], s[14:15], 0, v[6:7]
	s_addc_u32 s35, 0, 0
	v_lshl_add_u64 v[58:59], s[12:13], 0, v[4:5]
	v_lshl_add_u64 v[60:61], s[14:15], 0, v[4:5]
	s_mov_b32 s37, -1
	s_mov_b32 s39, -1
	;; [unrolled: 1-line block ×8, first 2 shown]
	v_and_b32_e32 v65, 0x100, v2
	s_mov_b64 s[52:53], s[26:27]
	v_mov_b32_e32 v66, 0
.LBB184_3:                              ; =>This Inner Loop Header: Depth=1
	v_mov_b64_e32 v[4:5], s[8:9]
	v_cmp_ge_i64_e32 vcc, s[34:35], v[4:5]
	v_lshl_add_u64 v[62:63], v[26:27], 0, s[34:35]
	s_cbranch_vccz .LBB184_25
; %bb.4:                                ;   in Loop: Header=BB184_3 Depth=1
	s_load_dword s17, s[28:29], 0xc
	v_mov_b32_e32 v67, 0
	s_waitcnt lgkmcnt(0)
	s_and_b32 s17, s17, 0xffff
	v_mad_u32_u24 v2, v64, s17, v1
	v_and_b32_e32 v2, 63, v2
	v_cmp_gt_u32_e32 vcc, 8, v2
	s_and_saveexec_b64 s[18:19], vcc
	s_cbranch_execz .LBB184_8
; %bb.5:                                ;   in Loop: Header=BB184_3 Depth=1
	v_lshl_add_u64 v[4:5], v[62:63], 0, v[2:3]
	v_lshl_add_u64 v[4:5], v[4:5], 0, s[36:37]
	v_cmp_gt_i64_e32 vcc, s[8:9], v[4:5]
	v_mov_b32_e32 v67, 0
	s_and_saveexec_b64 s[20:21], vcc
	s_cbranch_execz .LBB184_7
; %bb.6:                                ;   in Loop: Header=BB184_3 Depth=1
	v_lshl_add_u64 v[4:5], v[4:5], 2, s[24:25]
	global_load_dword v67, v[4:5], off
.LBB184_7:                              ;   in Loop: Header=BB184_3 Depth=1
	s_or_b64 exec, exec, s[20:21]
.LBB184_8:                              ;   in Loop: Header=BB184_3 Depth=1
	s_or_b64 exec, exec, s[18:19]
	s_mov_b32 s17, s16
	s_mov_b32 s18, s16
	;; [unrolled: 1-line block ×7, first 2 shown]
	v_mov_b64_e32 v[10:11], s[16:17]
	v_lshl_add_u64 v[4:5], v[62:63], 0, s[36:37]
	v_mov_b64_e32 v[16:17], s[22:23]
	v_cmp_gt_i64_e32 vcc, s[8:9], v[4:5]
	v_mov_b64_e32 v[12:13], s[18:19]
	v_mov_b64_e32 v[14:15], s[20:21]
	;; [unrolled: 1-line block ×3, first 2 shown]
	s_and_b64 s[54:55], s[6:7], vcc
	v_mov_b64_e32 v[22:23], v[14:15]
	v_mov_b64_e32 v[20:21], v[12:13]
	;; [unrolled: 1-line block ×3, first 2 shown]
	s_and_saveexec_b64 s[18:19], s[54:55]
	s_cbranch_execz .LBB184_10
; %bb.9:                                ;   in Loop: Header=BB184_3 Depth=1
	v_lshl_add_u64 v[4:5], v[58:59], 0, v[28:29]
	global_load_ushort v2, v[4:5], off
	v_lshl_add_u64 v[4:5], v[60:61], 0, v[28:29]
	global_load_ushort v10, v[4:5], off
	v_mov_b32_e32 v8, v3
	v_mov_b32_e32 v9, v3
	;; [unrolled: 1-line block ×13, first 2 shown]
	s_waitcnt vmcnt(1)
	v_cvt_f32_f16_e32 v2, v2
	v_mov_b64_e32 v[24:25], v[8:9]
	s_waitcnt vmcnt(0)
	v_cvt_f32_f16_e32 v10, v10
	v_mov_b64_e32 v[22:23], v[6:7]
	v_mov_b64_e32 v[20:21], v[4:5]
	;; [unrolled: 1-line block ×3, first 2 shown]
.LBB184_10:                             ;   in Loop: Header=BB184_3 Depth=1
	s_or_b64 exec, exec, s[18:19]
	v_lshl_add_u64 v[4:5], v[62:63], 0, s[38:39]
	v_cmp_gt_i64_e32 vcc, s[8:9], v[4:5]
	s_and_b64 s[20:21], s[6:7], vcc
	s_and_saveexec_b64 s[18:19], s[20:21]
	s_cbranch_execz .LBB184_12
; %bb.11:                               ;   in Loop: Header=BB184_3 Depth=1
	v_lshl_add_u64 v[4:5], v[54:55], 0, v[28:29]
	global_load_ushort v2, v[4:5], off
	v_lshl_add_u64 v[4:5], v[56:57], 0, v[28:29]
	global_load_ushort v4, v[4:5], off
	s_waitcnt vmcnt(1)
	v_cvt_f32_f16_e32 v19, v2
	s_waitcnt vmcnt(0)
	v_cvt_f32_f16_e32 v11, v4
.LBB184_12:                             ;   in Loop: Header=BB184_3 Depth=1
	s_or_b64 exec, exec, s[18:19]
	v_lshl_add_u64 v[4:5], v[62:63], 0, s[40:41]
	v_cmp_gt_i64_e32 vcc, s[8:9], v[4:5]
	s_and_b64 s[20:21], s[6:7], vcc
	s_and_saveexec_b64 s[18:19], s[20:21]
	s_cbranch_execz .LBB184_14
; %bb.13:                               ;   in Loop: Header=BB184_3 Depth=1
	v_lshl_add_u64 v[4:5], v[50:51], 0, v[28:29]
	global_load_ushort v2, v[4:5], off
	v_lshl_add_u64 v[4:5], v[52:53], 0, v[28:29]
	global_load_ushort v4, v[4:5], off
	s_waitcnt vmcnt(1)
	v_cvt_f32_f16_e32 v20, v2
	s_waitcnt vmcnt(0)
	v_cvt_f32_f16_e32 v12, v4
.LBB184_14:                             ;   in Loop: Header=BB184_3 Depth=1
	;; [unrolled: 16-line block ×7, first 2 shown]
	s_or_b64 exec, exec, s[18:19]
	s_waitcnt vmcnt(0)
	ds_bpermute_b32 v4, v65, v67 offset:4
	ds_bpermute_b32 v5, v65, v67 offset:8
	ds_bpermute_b32 v2, v65, v67
	v_mul_f32_e32 v8, v10, v18
	v_pk_mul_f32 v[10:11], v[10:11], v[18:19]
	v_pk_mul_f32 v[12:13], v[12:13], v[20:21]
	v_mov_b32_e32 v10, v11
	v_mov_b32_e32 v11, v12
	s_waitcnt lgkmcnt(1)
	v_pk_mul_f32 v[4:5], v[10:11], v[4:5]
	ds_bpermute_b32 v10, v65, v67 offset:12
	ds_bpermute_b32 v11, v65, v67 offset:16
	s_waitcnt lgkmcnt(2)
	v_fma_f32 v2, v8, v2, v66
	v_pk_mul_f32 v[8:9], v[14:15], v[22:23]
	v_add_f32_e32 v2, v2, v4
	v_add_f32_e32 v2, v2, v5
	v_mov_b32_e32 v4, v13
	v_mov_b32_e32 v5, v8
	s_waitcnt lgkmcnt(0)
	v_pk_mul_f32 v[4:5], v[4:5], v[10:11]
	ds_bpermute_b32 v10, v65, v67 offset:20
	ds_bpermute_b32 v11, v65, v67 offset:24
	v_pk_mul_f32 v[6:7], v[16:17], v[24:25]
	v_add_f32_e32 v2, v2, v4
	ds_bpermute_b32 v4, v65, v67 offset:28
	v_mov_b32_e32 v8, v9
	v_mov_b32_e32 v9, v6
	v_add_f32_e32 v2, v2, v5
	s_waitcnt lgkmcnt(1)
	v_pk_mul_f32 v[6:7], v[8:9], v[10:11]
	s_nop 0
	v_add_f32_e32 v2, v2, v6
	v_add_f32_e32 v2, v2, v7
	s_branch .LBB184_40
.LBB184_25:                             ;   in Loop: Header=BB184_3 Depth=1
                                        ; implicit-def: $vgpr2
                                        ; implicit-def: $vgpr10_vgpr11_vgpr12_vgpr13_vgpr14_vgpr15_vgpr16_vgpr17
                                        ; implicit-def: $vgpr18_vgpr19_vgpr20_vgpr21_vgpr22_vgpr23_vgpr24_vgpr25
                                        ; implicit-def: $vgpr4
	s_cbranch_execz .LBB184_40
; %bb.26:                               ;   in Loop: Header=BB184_3 Depth=1
	s_load_dword s17, s[28:29], 0x0
	v_mov_b32_e32 v67, 0
	s_waitcnt lgkmcnt(0)
	s_cmp_lt_u32 s2, s17
	s_cselect_b32 s17, 12, 18
	s_add_u32 s18, s28, s17
	s_addc_u32 s19, s29, 0
	global_load_ushort v2, v3, s[18:19]
	s_waitcnt vmcnt(0)
	v_mad_u32_u24 v2, v64, v2, v1
	v_and_b32_e32 v2, 63, v2
	v_cmp_gt_u32_e32 vcc, 8, v2
	s_and_saveexec_b64 s[18:19], vcc
	s_cbranch_execz .LBB184_30
; %bb.27:                               ;   in Loop: Header=BB184_3 Depth=1
	v_lshl_add_u64 v[4:5], v[62:63], 0, v[2:3]
	v_lshl_add_u64 v[4:5], v[4:5], 0, s[36:37]
	v_cmp_gt_i64_e32 vcc, s[8:9], v[4:5]
	v_mov_b32_e32 v67, 0
	s_and_saveexec_b64 s[20:21], vcc
	s_cbranch_execz .LBB184_29
; %bb.28:                               ;   in Loop: Header=BB184_3 Depth=1
	v_lshl_add_u64 v[4:5], v[4:5], 2, s[24:25]
	global_load_dword v67, v[4:5], off
.LBB184_29:                             ;   in Loop: Header=BB184_3 Depth=1
	s_or_b64 exec, exec, s[20:21]
.LBB184_30:                             ;   in Loop: Header=BB184_3 Depth=1
	s_or_b64 exec, exec, s[18:19]
	s_mov_b32 s17, s16
	s_mov_b32 s18, s16
	s_mov_b32 s19, s16
	s_mov_b32 s20, s16
	s_mov_b32 s21, s16
	s_mov_b32 s22, s16
	s_mov_b32 s23, s16
	v_mov_b64_e32 v[10:11], s[16:17]
	v_mov_b64_e32 v[16:17], s[22:23]
	;; [unrolled: 1-line block ×8, first 2 shown]
	s_and_saveexec_b64 s[18:19], s[6:7]
	s_cbranch_execnz .LBB184_42
; %bb.31:                               ;   in Loop: Header=BB184_3 Depth=1
	s_or_b64 exec, exec, s[18:19]
	s_and_saveexec_b64 s[18:19], s[6:7]
	s_cbranch_execnz .LBB184_43
.LBB184_32:                             ;   in Loop: Header=BB184_3 Depth=1
	s_or_b64 exec, exec, s[18:19]
	s_and_saveexec_b64 s[18:19], s[6:7]
	s_cbranch_execnz .LBB184_44
.LBB184_33:                             ;   in Loop: Header=BB184_3 Depth=1
	s_or_b64 exec, exec, s[18:19]
	s_and_saveexec_b64 s[18:19], s[6:7]
	s_cbranch_execnz .LBB184_45
.LBB184_34:                             ;   in Loop: Header=BB184_3 Depth=1
	s_or_b64 exec, exec, s[18:19]
	s_and_saveexec_b64 s[18:19], s[6:7]
	s_cbranch_execnz .LBB184_46
.LBB184_35:                             ;   in Loop: Header=BB184_3 Depth=1
	s_or_b64 exec, exec, s[18:19]
	s_and_saveexec_b64 s[18:19], s[6:7]
	s_cbranch_execnz .LBB184_47
.LBB184_36:                             ;   in Loop: Header=BB184_3 Depth=1
	s_or_b64 exec, exec, s[18:19]
	s_and_saveexec_b64 s[18:19], s[6:7]
	s_cbranch_execnz .LBB184_48
.LBB184_37:                             ;   in Loop: Header=BB184_3 Depth=1
	s_or_b64 exec, exec, s[18:19]
	s_and_saveexec_b64 s[18:19], s[6:7]
	s_cbranch_execz .LBB184_39
.LBB184_38:                             ;   in Loop: Header=BB184_3 Depth=1
	v_lshl_add_u64 v[4:5], v[30:31], 0, v[28:29]
	global_load_ushort v2, v[4:5], off
	v_lshl_add_u64 v[4:5], v[32:33], 0, v[28:29]
	global_load_ushort v4, v[4:5], off
	s_waitcnt vmcnt(1)
	v_cvt_f32_f16_e32 v25, v2
	s_waitcnt vmcnt(0)
	v_cvt_f32_f16_e32 v17, v4
.LBB184_39:                             ;   in Loop: Header=BB184_3 Depth=1
	s_or_b64 exec, exec, s[18:19]
	s_waitcnt vmcnt(0)
	ds_bpermute_b32 v4, v65, v67 offset:4
	ds_bpermute_b32 v5, v65, v67 offset:8
	ds_bpermute_b32 v2, v65, v67
	v_mul_f32_e32 v8, v10, v18
	v_pk_mul_f32 v[10:11], v[10:11], v[18:19]
	v_pk_mul_f32 v[12:13], v[12:13], v[20:21]
	v_mov_b32_e32 v10, v11
	v_mov_b32_e32 v11, v12
	s_waitcnt lgkmcnt(1)
	v_pk_mul_f32 v[4:5], v[10:11], v[4:5]
	ds_bpermute_b32 v10, v65, v67 offset:12
	ds_bpermute_b32 v11, v65, v67 offset:16
	s_waitcnt lgkmcnt(2)
	v_fmac_f32_e32 v66, v8, v2
	v_pk_mul_f32 v[8:9], v[14:15], v[22:23]
	v_add_f32_e32 v2, v66, v4
	v_add_f32_e32 v2, v2, v5
	v_mov_b32_e32 v4, v13
	v_mov_b32_e32 v5, v8
	s_waitcnt lgkmcnt(0)
	v_pk_mul_f32 v[4:5], v[4:5], v[10:11]
	ds_bpermute_b32 v10, v65, v67 offset:20
	ds_bpermute_b32 v11, v65, v67 offset:24
	v_pk_mul_f32 v[6:7], v[16:17], v[24:25]
	v_add_f32_e32 v2, v2, v4
	v_mov_b32_e32 v8, v9
	v_mov_b32_e32 v9, v6
	v_add_f32_e32 v2, v2, v5
	s_waitcnt lgkmcnt(0)
	v_pk_mul_f32 v[6:7], v[8:9], v[10:11]
	ds_bpermute_b32 v4, v65, v67 offset:28
	v_add_f32_e32 v2, v2, v6
	v_add_f32_e32 v2, v2, v7
.LBB184_40:                             ;   in Loop: Header=BB184_3 Depth=1
	v_mul_f32_e32 v5, v25, v17
	s_add_u32 s52, s52, s3
	s_waitcnt lgkmcnt(0)
	v_fmac_f32_e32 v2, v5, v4
	s_addc_u32 s53, s53, 0
	v_mov_b64_e32 v[4:5], s[8:9]
	s_add_u32 s34, s34, s3
	v_cmp_lt_i64_e32 vcc, s[52:53], v[4:5]
	v_lshl_add_u64 v[30:31], v[30:31], 0, s[30:31]
	v_lshl_add_u64 v[32:33], v[32:33], 0, s[30:31]
	;; [unrolled: 1-line block ×14, first 2 shown]
	s_addc_u32 s35, s35, 0
	v_lshl_add_u64 v[58:59], v[58:59], 0, s[30:31]
	v_lshl_add_u64 v[60:61], v[60:61], 0, s[30:31]
	s_cbranch_vccz .LBB184_50
; %bb.41:                               ;   in Loop: Header=BB184_3 Depth=1
	v_mov_b32_e32 v66, v2
	s_branch .LBB184_3
.LBB184_42:                             ;   in Loop: Header=BB184_3 Depth=1
	v_lshl_add_u64 v[4:5], v[58:59], 0, v[28:29]
	global_load_ushort v2, v[4:5], off
	v_lshl_add_u64 v[4:5], v[60:61], 0, v[28:29]
	global_load_ushort v10, v[4:5], off
	v_mov_b32_e32 v8, v3
	v_mov_b32_e32 v9, v3
	;; [unrolled: 1-line block ×13, first 2 shown]
	s_waitcnt vmcnt(1)
	v_cvt_f32_f16_e32 v2, v2
	v_mov_b64_e32 v[24:25], v[8:9]
	s_waitcnt vmcnt(0)
	v_cvt_f32_f16_e32 v10, v10
	v_mov_b64_e32 v[22:23], v[6:7]
	v_mov_b64_e32 v[20:21], v[4:5]
	;; [unrolled: 1-line block ×3, first 2 shown]
	s_or_b64 exec, exec, s[18:19]
	s_and_saveexec_b64 s[18:19], s[6:7]
	s_cbranch_execz .LBB184_32
.LBB184_43:                             ;   in Loop: Header=BB184_3 Depth=1
	v_lshl_add_u64 v[4:5], v[54:55], 0, v[28:29]
	global_load_ushort v2, v[4:5], off
	v_lshl_add_u64 v[4:5], v[56:57], 0, v[28:29]
	global_load_ushort v4, v[4:5], off
	s_waitcnt vmcnt(1)
	v_cvt_f32_f16_e32 v19, v2
	s_waitcnt vmcnt(0)
	v_cvt_f32_f16_e32 v11, v4
	s_or_b64 exec, exec, s[18:19]
	s_and_saveexec_b64 s[18:19], s[6:7]
	s_cbranch_execz .LBB184_33
.LBB184_44:                             ;   in Loop: Header=BB184_3 Depth=1
	v_lshl_add_u64 v[4:5], v[50:51], 0, v[28:29]
	global_load_ushort v2, v[4:5], off
	v_lshl_add_u64 v[4:5], v[52:53], 0, v[28:29]
	global_load_ushort v4, v[4:5], off
	s_waitcnt vmcnt(1)
	v_cvt_f32_f16_e32 v20, v2
	s_waitcnt vmcnt(0)
	v_cvt_f32_f16_e32 v12, v4
	s_or_b64 exec, exec, s[18:19]
	s_and_saveexec_b64 s[18:19], s[6:7]
	s_cbranch_execz .LBB184_34
.LBB184_45:                             ;   in Loop: Header=BB184_3 Depth=1
	v_lshl_add_u64 v[4:5], v[46:47], 0, v[28:29]
	global_load_ushort v2, v[4:5], off
	v_lshl_add_u64 v[4:5], v[48:49], 0, v[28:29]
	global_load_ushort v4, v[4:5], off
	s_waitcnt vmcnt(1)
	v_cvt_f32_f16_e32 v21, v2
	s_waitcnt vmcnt(0)
	v_cvt_f32_f16_e32 v13, v4
	s_or_b64 exec, exec, s[18:19]
	s_and_saveexec_b64 s[18:19], s[6:7]
	s_cbranch_execz .LBB184_35
.LBB184_46:                             ;   in Loop: Header=BB184_3 Depth=1
	v_lshl_add_u64 v[4:5], v[42:43], 0, v[28:29]
	global_load_ushort v2, v[4:5], off
	v_lshl_add_u64 v[4:5], v[44:45], 0, v[28:29]
	global_load_ushort v4, v[4:5], off
	s_waitcnt vmcnt(1)
	v_cvt_f32_f16_e32 v22, v2
	s_waitcnt vmcnt(0)
	v_cvt_f32_f16_e32 v14, v4
	s_or_b64 exec, exec, s[18:19]
	s_and_saveexec_b64 s[18:19], s[6:7]
	s_cbranch_execz .LBB184_36
.LBB184_47:                             ;   in Loop: Header=BB184_3 Depth=1
	v_lshl_add_u64 v[4:5], v[38:39], 0, v[28:29]
	global_load_ushort v2, v[4:5], off
	v_lshl_add_u64 v[4:5], v[40:41], 0, v[28:29]
	global_load_ushort v4, v[4:5], off
	s_waitcnt vmcnt(1)
	v_cvt_f32_f16_e32 v23, v2
	s_waitcnt vmcnt(0)
	v_cvt_f32_f16_e32 v15, v4
	s_or_b64 exec, exec, s[18:19]
	s_and_saveexec_b64 s[18:19], s[6:7]
	s_cbranch_execz .LBB184_37
.LBB184_48:                             ;   in Loop: Header=BB184_3 Depth=1
	v_lshl_add_u64 v[4:5], v[34:35], 0, v[28:29]
	global_load_ushort v2, v[4:5], off
	v_lshl_add_u64 v[4:5], v[36:37], 0, v[28:29]
	global_load_ushort v4, v[4:5], off
	s_waitcnt vmcnt(1)
	v_cvt_f32_f16_e32 v24, v2
	s_waitcnt vmcnt(0)
	v_cvt_f32_f16_e32 v16, v4
	s_or_b64 exec, exec, s[18:19]
	s_and_saveexec_b64 s[18:19], s[6:7]
	s_cbranch_execnz .LBB184_38
	s_branch .LBB184_39
.LBB184_49:
                                        ; implicit-def: $vgpr2
	s_branch .LBB184_51
.LBB184_50:
	s_cbranch_execnz .LBB184_83
.LBB184_51:
	s_and_b64 vcc, exec, s[4:5]
	v_mov_b32_e32 v2, 0
	s_cbranch_vccnz .LBB184_83
; %bb.52:
	v_and_b32_e32 v1, 0x3ff, v0
	v_add_u32_e32 v2, s33, v1
	v_mov_b32_e32 v3, 0
	v_bfe_u32 v92, v0, 10, 10
	v_lshlrev_b64 v[28:29], 1, v[2:3]
	v_lshlrev_b32_e32 v2, 4, v92
	v_lshl_add_u64 v[4:5], s[26:27], 1, v[2:3]
	v_lshl_add_u64 v[6:7], v[4:5], 0, 2
	v_mov_b64_e32 v[8:9], s[12:13]
	v_lshl_add_u64 v[10:11], v[4:5], 0, 4
	v_lshl_add_u64 v[12:13], v[4:5], 0, 6
	;; [unrolled: 1-line block ×6, first 2 shown]
	v_mad_u64_u32 v[30:31], s[4:5], s10, v6, v[8:9]
	v_mad_u64_u32 v[32:33], s[4:5], s10, v10, v[8:9]
	;; [unrolled: 1-line block ×7, first 2 shown]
	v_mov_b64_e32 v[8:9], s[14:15]
	v_lshlrev_b32_e32 v26, 3, v92
	v_mov_b32_e32 v27, v3
	v_mul_lo_u32 v2, s10, v7
	v_mul_lo_u32 v7, s11, v6
	v_mad_u64_u32 v[44:45], s[4:5], s10, v6, v[8:9]
	v_add3_u32 v31, v7, v31, v2
	v_mul_lo_u32 v5, s10, v5
	v_mul_lo_u32 v25, s11, v4
	v_add3_u32 v45, v7, v45, v2
	v_lshl_add_u64 v[6:7], v[26:27], 0, s[26:27]
	v_mad_u64_u32 v[56:57], s[4:5], s10, v4, v[8:9]
	v_add3_u32 v43, v25, v43, v5
	v_add3_u32 v57, v25, v57, v5
	v_lshl_add_u64 v[4:5], v[6:7], 0, 7
	v_mad_u64_u32 v[46:47], s[4:5], s10, v10, v[8:9]
	v_mad_u64_u32 v[48:49], s[4:5], s10, v12, v[8:9]
	;; [unrolled: 1-line block ×5, first 2 shown]
	v_mul_lo_u32 v8, s11, v4
	v_mul_lo_u32 v9, s10, v5
	v_mad_u64_u32 v[4:5], s[4:5], s10, v4, 0
	v_mul_lo_u32 v11, s10, v11
	v_mul_lo_u32 v20, s11, v10
	v_add3_u32 v5, v5, v9, v8
	v_lshl_add_u64 v[8:9], v[6:7], 0, 6
	v_add3_u32 v33, v20, v33, v11
	v_add3_u32 v47, v20, v47, v11
	v_mul_lo_u32 v10, s11, v8
	v_mul_lo_u32 v11, s10, v9
	v_mad_u64_u32 v[8:9], s[4:5], s10, v8, 0
	v_mul_lo_u32 v13, s10, v13
	v_mul_lo_u32 v21, s11, v12
	v_add3_u32 v9, v9, v11, v10
	v_lshl_add_u64 v[10:11], v[6:7], 0, 5
	v_add3_u32 v35, v21, v35, v13
	v_add3_u32 v49, v21, v49, v13
	v_mul_lo_u32 v12, s11, v10
	v_mul_lo_u32 v13, s10, v11
	v_mad_u64_u32 v[10:11], s[4:5], s10, v10, 0
	v_mul_lo_u32 v15, s10, v15
	v_mul_lo_u32 v22, s11, v14
	v_add3_u32 v11, v11, v13, v12
	v_lshl_add_u64 v[12:13], v[6:7], 0, 4
	v_add3_u32 v37, v22, v37, v15
	v_add3_u32 v51, v22, v51, v15
	v_mul_lo_u32 v14, s11, v12
	v_mul_lo_u32 v15, s10, v13
	v_mad_u64_u32 v[12:13], s[4:5], s10, v12, 0
	v_mul_lo_u32 v17, s10, v17
	v_mul_lo_u32 v23, s11, v16
	v_add3_u32 v13, v13, v15, v14
	v_lshl_add_u64 v[14:15], v[6:7], 0, 3
	v_add3_u32 v39, v23, v39, v17
	v_add3_u32 v53, v23, v53, v17
	v_mul_lo_u32 v16, s11, v14
	v_mul_lo_u32 v17, s10, v15
	v_mad_u64_u32 v[14:15], s[4:5], s10, v14, 0
	v_mul_lo_u32 v19, s10, v19
	v_mul_lo_u32 v24, s11, v18
	v_add3_u32 v15, v15, v17, v16
	v_lshl_add_u64 v[16:17], v[6:7], 0, 2
	s_load_dword s3, s[0:1], 0x44
	v_lshlrev_b64 v[4:5], 1, v[4:5]
	v_add3_u32 v41, v24, v41, v19
	v_add3_u32 v55, v24, v55, v19
	v_mul_lo_u32 v18, s11, v16
	v_mul_lo_u32 v19, s10, v17
	v_mad_u64_u32 v[16:17], s[4:5], s10, v16, 0
	v_lshl_add_u64 v[62:63], s[12:13], 0, v[4:5]
	v_lshl_add_u64 v[64:65], s[14:15], 0, v[4:5]
	v_lshlrev_b64 v[4:5], 1, v[8:9]
	v_add3_u32 v17, v17, v19, v18
	v_mov_b64_e32 v[18:19], s[10:11]
	v_lshl_add_u64 v[66:67], s[12:13], 0, v[4:5]
	v_lshl_add_u64 v[68:69], s[14:15], 0, v[4:5]
	v_lshlrev_b64 v[4:5], 1, v[10:11]
	v_mul_lo_u32 v2, s11, v6
	v_mad_u64_u32 v[18:19], s[4:5], s10, v6, v[18:19]
	v_mul_lo_u32 v20, s10, v7
	v_mad_u64_u32 v[6:7], s[4:5], s10, v6, 0
	v_lshl_add_u64 v[70:71], s[12:13], 0, v[4:5]
	v_lshl_add_u64 v[72:73], s[14:15], 0, v[4:5]
	v_lshlrev_b64 v[4:5], 1, v[12:13]
	s_add_u32 s4, s0, 64
	v_lshl_add_u64 v[74:75], s[12:13], 0, v[4:5]
	v_lshl_add_u64 v[76:77], s[14:15], 0, v[4:5]
	v_lshlrev_b64 v[4:5], 1, v[14:15]
	v_add3_u32 v7, v7, v20, v2
	v_add3_u32 v19, v2, v19, v20
	s_addc_u32 s5, s1, 0
	s_waitcnt lgkmcnt(0)
	s_lshl_b32 s3, s3, 8
	v_lshl_add_u64 v[78:79], s[12:13], 0, v[4:5]
	v_lshl_add_u64 v[80:81], s[14:15], 0, v[4:5]
	v_lshlrev_b64 v[4:5], 1, v[16:17]
	v_mbcnt_lo_u32_b32 v2, -1, 0
	s_add_u32 s6, s26, 0xff
	s_mul_i32 s17, s11, s3
	s_mul_hi_u32 s18, s10, s3
	v_lshlrev_b64 v[6:7], 1, v[6:7]
	v_lshl_add_u64 v[82:83], s[12:13], 0, v[4:5]
	v_lshl_add_u64 v[84:85], s[14:15], 0, v[4:5]
	v_lshlrev_b64 v[4:5], 1, v[18:19]
	v_mbcnt_hi_u32_b32 v2, -1, v2
	s_addc_u32 s7, 0, 0
	s_add_i32 s19, s18, s17
	s_mul_i32 s18, s10, s3
	v_lshl_add_u64 v[58:59], s[12:13], 0, v[6:7]
	v_lshl_add_u64 v[60:61], s[14:15], 0, v[6:7]
	;; [unrolled: 1-line block ×4, first 2 shown]
	s_movk_i32 s12, 0xff01
	s_movk_i32 s14, 0xff02
	s_movk_i32 s30, 0xff03
	s_movk_i32 s34, 0xff04
	s_movk_i32 s36, 0xff05
	s_movk_i32 s38, 0xff06
	s_movk_i32 s40, 0xff07
	s_movk_i32 s42, 0xff08
	v_lshlrev_b32_e32 v2, 2, v2
	s_mov_b32 s16, 0
	s_lshl_b64 s[28:29], s[18:19], 1
	s_mov_b32 s13, -1
	s_mov_b32 s15, -1
	s_mov_b32 s31, -1
	s_mov_b32 s35, -1
	s_mov_b32 s37, -1
	s_mov_b32 s39, -1
	s_mov_b32 s41, -1
	s_mov_b32 s43, -1
	v_and_b32_e32 v93, 0x100, v2
	v_mov_b32_e32 v94, 0
.LBB184_53:                             ; =>This Inner Loop Header: Depth=1
	v_mov_b64_e32 v[4:5], s[8:9]
	v_cmp_ge_i64_e32 vcc, s[6:7], v[4:5]
	v_lshl_add_u64 v[90:91], v[26:27], 0, s[6:7]
	s_cbranch_vccz .LBB184_75
; %bb.54:                               ;   in Loop: Header=BB184_53 Depth=1
	s_load_dword s17, s[4:5], 0xc
	v_mov_b32_e32 v95, 0
	s_waitcnt lgkmcnt(0)
	s_and_b32 s17, s17, 0xffff
	v_mad_u32_u24 v2, v92, s17, v1
	v_and_b32_e32 v2, 63, v2
	v_cmp_gt_u32_e32 vcc, 8, v2
	s_and_saveexec_b64 s[18:19], vcc
	s_cbranch_execz .LBB184_58
; %bb.55:                               ;   in Loop: Header=BB184_53 Depth=1
	v_lshl_add_u64 v[4:5], v[90:91], 0, v[2:3]
	v_lshl_add_u64 v[4:5], v[4:5], 0, s[12:13]
	v_cmp_gt_i64_e32 vcc, s[8:9], v[4:5]
	v_mov_b32_e32 v95, 0
	s_and_saveexec_b64 s[20:21], vcc
	s_cbranch_execz .LBB184_57
; %bb.56:                               ;   in Loop: Header=BB184_53 Depth=1
	v_lshl_add_u64 v[4:5], v[4:5], 2, s[24:25]
	global_load_dword v95, v[4:5], off
.LBB184_57:                             ;   in Loop: Header=BB184_53 Depth=1
	s_or_b64 exec, exec, s[20:21]
.LBB184_58:                             ;   in Loop: Header=BB184_53 Depth=1
	s_or_b64 exec, exec, s[18:19]
	s_mov_b32 s17, s16
	s_mov_b32 s18, s16
	;; [unrolled: 1-line block ×7, first 2 shown]
	v_mov_b64_e32 v[10:11], s[16:17]
	v_mov_b64_e32 v[16:17], s[22:23]
	v_lshl_add_u64 v[4:5], v[90:91], 0, s[12:13]
	v_mov_b64_e32 v[12:13], s[18:19]
	v_mov_b64_e32 v[14:15], s[20:21]
	;; [unrolled: 1-line block ×3, first 2 shown]
	v_cmp_gt_i64_e32 vcc, s[8:9], v[4:5]
	v_mov_b64_e32 v[22:23], v[14:15]
	v_mov_b64_e32 v[20:21], v[12:13]
	v_mov_b64_e32 v[18:19], v[10:11]
	s_and_saveexec_b64 s[18:19], vcc
	s_cbranch_execz .LBB184_60
; %bb.59:                               ;   in Loop: Header=BB184_53 Depth=1
	v_lshl_add_u64 v[4:5], v[58:59], 0, v[28:29]
	global_load_ushort v2, v[4:5], off
	v_lshl_add_u64 v[4:5], v[60:61], 0, v[28:29]
	global_load_ushort v10, v[4:5], off
	v_mov_b32_e32 v8, v3
	v_mov_b32_e32 v9, v3
	;; [unrolled: 1-line block ×13, first 2 shown]
	s_waitcnt vmcnt(1)
	v_cvt_f32_f16_e32 v2, v2
	v_mov_b64_e32 v[24:25], v[8:9]
	s_waitcnt vmcnt(0)
	v_cvt_f32_f16_e32 v10, v10
	v_mov_b64_e32 v[22:23], v[6:7]
	v_mov_b64_e32 v[20:21], v[4:5]
	;; [unrolled: 1-line block ×3, first 2 shown]
.LBB184_60:                             ;   in Loop: Header=BB184_53 Depth=1
	s_or_b64 exec, exec, s[18:19]
	v_lshl_add_u64 v[4:5], v[90:91], 0, s[14:15]
	v_cmp_gt_i64_e32 vcc, s[8:9], v[4:5]
	s_and_saveexec_b64 s[18:19], vcc
	s_cbranch_execz .LBB184_62
; %bb.61:                               ;   in Loop: Header=BB184_53 Depth=1
	v_lshl_add_u64 v[4:5], v[86:87], 0, v[28:29]
	global_load_ushort v2, v[4:5], off
	v_lshl_add_u64 v[4:5], v[88:89], 0, v[28:29]
	global_load_ushort v4, v[4:5], off
	s_waitcnt vmcnt(1)
	v_cvt_f32_f16_e32 v19, v2
	s_waitcnt vmcnt(0)
	v_cvt_f32_f16_e32 v11, v4
.LBB184_62:                             ;   in Loop: Header=BB184_53 Depth=1
	s_or_b64 exec, exec, s[18:19]
	v_lshl_add_u64 v[4:5], v[90:91], 0, s[30:31]
	v_cmp_gt_i64_e32 vcc, s[8:9], v[4:5]
	s_and_saveexec_b64 s[18:19], vcc
	s_cbranch_execz .LBB184_64
; %bb.63:                               ;   in Loop: Header=BB184_53 Depth=1
	v_lshl_add_u64 v[4:5], v[82:83], 0, v[28:29]
	global_load_ushort v2, v[4:5], off
	v_lshl_add_u64 v[4:5], v[84:85], 0, v[28:29]
	global_load_ushort v4, v[4:5], off
	s_waitcnt vmcnt(1)
	v_cvt_f32_f16_e32 v20, v2
	s_waitcnt vmcnt(0)
	v_cvt_f32_f16_e32 v12, v4
.LBB184_64:                             ;   in Loop: Header=BB184_53 Depth=1
	;; [unrolled: 15-line block ×7, first 2 shown]
	s_or_b64 exec, exec, s[18:19]
	s_waitcnt vmcnt(0)
	ds_bpermute_b32 v4, v93, v95
	ds_bpermute_b32 v5, v93, v95 offset:4
	v_pk_mul_f32 v[8:9], v[14:15], v[22:23]
	ds_bpermute_b32 v14, v93, v95 offset:8
	ds_bpermute_b32 v15, v93, v95 offset:12
	v_pk_mul_f32 v[10:11], v[10:11], v[18:19]
	v_pk_mul_f32 v[12:13], v[12:13], v[20:21]
	s_waitcnt lgkmcnt(2)
	v_pk_mul_f32 v[4:5], v[10:11], v[4:5]
	ds_bpermute_b32 v10, v93, v95 offset:16
	ds_bpermute_b32 v11, v93, v95 offset:20
	v_add_f32_e32 v2, v94, v4
	v_add_f32_e32 v2, v2, v5
	s_waitcnt lgkmcnt(2)
	v_pk_mul_f32 v[4:5], v[12:13], v[14:15]
	ds_bpermute_b32 v12, v93, v95 offset:24
	ds_bpermute_b32 v13, v93, v95 offset:28
	v_add_f32_e32 v2, v2, v4
	v_add_f32_e32 v2, v2, v5
	s_waitcnt lgkmcnt(2)
	v_pk_mul_f32 v[4:5], v[8:9], v[10:11]
	v_pk_mul_f32 v[6:7], v[16:17], v[24:25]
	v_add_f32_e32 v2, v2, v4
	v_add_f32_e32 v2, v2, v5
	s_waitcnt lgkmcnt(0)
	v_pk_mul_f32 v[4:5], v[6:7], v[12:13]
	s_nop 0
	v_add_f32_e32 v2, v2, v4
	v_add_f32_e32 v2, v2, v5
	s_branch .LBB184_81
.LBB184_75:                             ;   in Loop: Header=BB184_53 Depth=1
                                        ; implicit-def: $vgpr2
	s_cbranch_execz .LBB184_81
; %bb.76:                               ;   in Loop: Header=BB184_53 Depth=1
	s_load_dword s17, s[4:5], 0x0
	v_mov_b32_e32 v6, 0
	s_waitcnt lgkmcnt(0)
	s_cmp_lt_u32 s2, s17
	s_cselect_b32 s17, 12, 18
	s_add_u32 s18, s4, s17
	s_addc_u32 s19, s5, 0
	global_load_ushort v2, v3, s[18:19]
	s_waitcnt vmcnt(0)
	v_mad_u32_u24 v2, v92, v2, v1
	v_and_b32_e32 v2, 63, v2
	v_cmp_gt_u32_e32 vcc, 8, v2
	s_and_saveexec_b64 s[18:19], vcc
	s_cbranch_execz .LBB184_80
; %bb.77:                               ;   in Loop: Header=BB184_53 Depth=1
	v_lshl_add_u64 v[4:5], v[90:91], 0, v[2:3]
	v_lshl_add_u64 v[4:5], v[4:5], 0, s[12:13]
	v_cmp_gt_i64_e32 vcc, s[8:9], v[4:5]
	v_mov_b32_e32 v6, 0
	s_and_saveexec_b64 s[20:21], vcc
	s_cbranch_execz .LBB184_79
; %bb.78:                               ;   in Loop: Header=BB184_53 Depth=1
	v_lshl_add_u64 v[4:5], v[4:5], 2, s[24:25]
	global_load_dword v6, v[4:5], off
.LBB184_79:                             ;   in Loop: Header=BB184_53 Depth=1
	s_or_b64 exec, exec, s[20:21]
.LBB184_80:                             ;   in Loop: Header=BB184_53 Depth=1
	s_or_b64 exec, exec, s[18:19]
	v_lshl_add_u64 v[4:5], v[58:59], 0, v[28:29]
	global_load_ushort v2, v[4:5], off
	v_lshl_add_u64 v[4:5], v[60:61], 0, v[28:29]
	global_load_ushort v7, v[4:5], off
	;; [unrolled: 2-line block ×16, first 2 shown]
	s_waitcnt vmcnt(16)
	ds_bpermute_b32 v5, v93, v6
	ds_bpermute_b32 v21, v93, v6 offset:4
	ds_bpermute_b32 v22, v93, v6 offset:8
	;; [unrolled: 1-line block ×7, first 2 shown]
	s_waitcnt vmcnt(15)
	v_cvt_f32_f16_e32 v2, v2
	s_waitcnt vmcnt(14)
	v_cvt_f32_f16_e32 v7, v7
	;; [unrolled: 2-line block ×4, first 2 shown]
	v_mul_f32_e32 v2, v2, v7
	s_waitcnt vmcnt(11)
	v_cvt_f32_f16_e32 v10, v10
	s_waitcnt lgkmcnt(7)
	v_fmac_f32_e32 v94, v2, v5
	s_waitcnt vmcnt(10)
	v_cvt_f32_f16_e32 v11, v11
	v_mul_f32_e32 v7, v8, v9
	s_waitcnt vmcnt(9)
	v_cvt_f32_f16_e32 v12, v12
	s_waitcnt lgkmcnt(6)
	v_fmac_f32_e32 v94, v7, v21
	s_waitcnt vmcnt(8)
	v_cvt_f32_f16_e32 v13, v13
	;; [unrolled: 7-line block ×6, first 2 shown]
	v_mul_f32_e32 v12, v18, v19
	s_waitcnt lgkmcnt(1)
	v_fmac_f32_e32 v94, v12, v90
	v_mul_f32_e32 v2, v20, v4
	s_waitcnt lgkmcnt(0)
	v_fmac_f32_e32 v94, v2, v6
	v_mov_b32_e32 v2, v94
.LBB184_81:                             ;   in Loop: Header=BB184_53 Depth=1
	s_add_u32 s26, s26, s3
	s_addc_u32 s27, s27, 0
	v_mov_b64_e32 v[4:5], s[8:9]
	s_add_u32 s6, s6, s3
	v_cmp_ge_i64_e32 vcc, s[26:27], v[4:5]
	s_addc_u32 s7, s7, 0
	v_lshl_add_u64 v[30:31], v[30:31], 0, s[28:29]
	v_lshl_add_u64 v[32:33], v[32:33], 0, s[28:29]
	;; [unrolled: 1-line block ×30, first 2 shown]
	s_cbranch_vccnz .LBB184_83
; %bb.82:                               ;   in Loop: Header=BB184_53 Depth=1
	v_mov_b32_e32 v94, v2
	s_branch .LBB184_53
.LBB184_83:
	v_and_b32_e32 v3, 0x3ff, v0
	v_bfe_u32 v0, v0, 10, 10
	v_mad_u32_u24 v4, v0, 33, v3
	v_lshl_add_u32 v5, v4, 2, 0
	ds_write_b32 v5, v2
	v_sub_u32_e32 v2, v4, v0
	s_movk_i32 s4, 0x800
	s_mov_b32 s3, 0
	v_mov_b32_e32 v1, 0
	v_cmp_gt_u32_e32 vcc, s4, v2
	ds_write_b32 v5, v1 offset:4224
	s_waitcnt lgkmcnt(0)
	s_barrier
	s_and_saveexec_b64 s[4:5], vcc
	s_cbranch_execz .LBB184_90
; %bb.84:
	v_mbcnt_lo_u32_b32 v4, -1, 0
	v_mbcnt_hi_u32_b32 v8, -1, v4
	v_and_b32_e32 v4, 64, v8
	s_load_dwordx2 s[14:15], s[0:1], 0x30
	v_add_u32_e32 v9, 64, v4
	v_cmp_ne_u32_e64 s[0:1], 0, v3
	v_xor_b32_e32 v3, 16, v8
	v_cmp_lt_i32_e64 s[4:5], v3, v9
	s_lshl_b64 s[6:7], s[2:3], 5
	s_waitcnt lgkmcnt(0)
	s_cmp_eq_u64 s[14:15], 0
	v_cndmask_b32_e64 v3, v8, v3, s[4:5]
	v_lshlrev_b32_e32 v4, 2, v3
	v_xor_b32_e32 v3, 8, v8
	v_cmp_lt_i32_e64 s[4:5], v3, v9
	v_lshrrev_b32_e32 v0, 6, v2
	v_and_b32_e32 v2, 63, v2
	v_cndmask_b32_e64 v3, v8, v3, s[4:5]
	v_lshlrev_b32_e32 v5, 2, v3
	v_xor_b32_e32 v3, 4, v8
	v_cmp_lt_i32_e64 s[4:5], v3, v9
	s_cselect_b64 s[12:13], -1, 0
	s_lshl_b64 s[2:3], s[2:3], 6
	v_cndmask_b32_e64 v3, v8, v3, s[4:5]
	v_lshlrev_b32_e32 v6, 2, v3
	v_xor_b32_e32 v3, 2, v8
	v_cmp_lt_i32_e64 s[4:5], v3, v9
	v_cmp_gt_u32_e32 vcc, 32, v2
	v_mul_u32_u24_e32 v2, 0x84, v2
	v_cndmask_b32_e64 v3, v8, v3, s[4:5]
	v_lshlrev_b32_e32 v7, 2, v3
	v_xor_b32_e32 v3, 1, v8
	v_cmp_lt_i32_e64 s[4:5], v3, v9
	s_add_u32 s2, s14, s2
	s_addc_u32 s3, s15, s3
	v_cndmask_b32_e64 v3, v8, v3, s[4:5]
	v_lshlrev_b32_e32 v8, 2, v3
	v_lshlrev_b32_e32 v3, 2, v0
	v_add3_u32 v9, v2, v3, 0
	v_lshlrev_b32_e32 v2, 1, v0
	v_mov_b32_e32 v3, v1
	s_mov_b64 s[8:9], 0
	v_lshl_add_u64 v[2:3], s[2:3], 0, v[2:3]
                                        ; implicit-def: $vgpr10
	s_branch .LBB184_86
.LBB184_85:                             ;   in Loop: Header=BB184_86 Depth=1
	s_or_b64 exec, exec, s[2:3]
	v_lshl_add_u64 v[0:1], v[0:1], 0, 16
	v_add_u32_e32 v11, -16, v0
	v_cmp_lt_u32_e64 s[2:3], 15, v11
	v_add_u32_e32 v9, 64, v9
	s_or_b64 s[8:9], s[2:3], s[8:9]
	v_lshl_add_u64 v[2:3], v[2:3], 0, 32
	s_andn2_b64 exec, exec, s[8:9]
	s_cbranch_execz .LBB184_90
.LBB184_86:                             ; =>This Inner Loop Header: Depth=1
	s_and_saveexec_b64 s[2:3], vcc
	s_cbranch_execz .LBB184_88
; %bb.87:                               ;   in Loop: Header=BB184_86 Depth=1
	ds_read_b32 v10, v9
.LBB184_88:                             ;   in Loop: Header=BB184_86 Depth=1
	s_or_b64 exec, exec, s[2:3]
	s_waitcnt lgkmcnt(0)
	ds_bpermute_b32 v11, v4, v10
	s_waitcnt lgkmcnt(0)
	v_add_f32_e32 v10, v10, v11
	ds_bpermute_b32 v11, v5, v10
	s_waitcnt lgkmcnt(0)
	v_add_f32_e32 v10, v10, v11
	;; [unrolled: 3-line block ×4, first 2 shown]
	ds_bpermute_b32 v13, v8, v12
	v_lshl_add_u64 v[10:11], s[6:7], 0, v[0:1]
	v_cmp_le_i64_e64 s[2:3], s[10:11], v[10:11]
	s_or_b64 s[2:3], s[0:1], s[2:3]
	s_or_b64 s[2:3], s[12:13], s[2:3]
	s_waitcnt lgkmcnt(0)
	v_add_f32_e32 v10, v12, v13
	s_xor_b64 s[4:5], s[2:3], -1
	s_and_saveexec_b64 s[2:3], s[4:5]
	s_cbranch_execz .LBB184_85
; %bb.89:                               ;   in Loop: Header=BB184_86 Depth=1
	v_cvt_f16_f32_e32 v11, v10
	global_store_short v[2:3], v11, off
	s_branch .LBB184_85
.LBB184_90:
	s_endpgm
	.section	.rodata,"a",@progbits
	.p2align	6, 0x0
	.amdhsa_kernel _ZN2at6native12_GLOBAL__N_135GammaBetaBackwardCUDAKernelTemplateIN3c104HalfEfLj32ELj32ELj256ELb0ELb0ELb1EEEvllPKT_S7_PKT0_SA_PS5_SB_
		.amdhsa_group_segment_fixed_size 0
		.amdhsa_private_segment_fixed_size 0
		.amdhsa_kernarg_size 320
		.amdhsa_user_sgpr_count 2
		.amdhsa_user_sgpr_dispatch_ptr 0
		.amdhsa_user_sgpr_queue_ptr 0
		.amdhsa_user_sgpr_kernarg_segment_ptr 1
		.amdhsa_user_sgpr_dispatch_id 0
		.amdhsa_user_sgpr_kernarg_preload_length 0
		.amdhsa_user_sgpr_kernarg_preload_offset 0
		.amdhsa_user_sgpr_private_segment_size 0
		.amdhsa_uses_dynamic_stack 0
		.amdhsa_enable_private_segment 0
		.amdhsa_system_sgpr_workgroup_id_x 1
		.amdhsa_system_sgpr_workgroup_id_y 1
		.amdhsa_system_sgpr_workgroup_id_z 0
		.amdhsa_system_sgpr_workgroup_info 0
		.amdhsa_system_vgpr_workitem_id 1
		.amdhsa_next_free_vgpr 96
		.amdhsa_next_free_sgpr 56
		.amdhsa_accum_offset 96
		.amdhsa_reserve_vcc 1
		.amdhsa_float_round_mode_32 0
		.amdhsa_float_round_mode_16_64 0
		.amdhsa_float_denorm_mode_32 3
		.amdhsa_float_denorm_mode_16_64 3
		.amdhsa_dx10_clamp 1
		.amdhsa_ieee_mode 1
		.amdhsa_fp16_overflow 0
		.amdhsa_tg_split 0
		.amdhsa_exception_fp_ieee_invalid_op 0
		.amdhsa_exception_fp_denorm_src 0
		.amdhsa_exception_fp_ieee_div_zero 0
		.amdhsa_exception_fp_ieee_overflow 0
		.amdhsa_exception_fp_ieee_underflow 0
		.amdhsa_exception_fp_ieee_inexact 0
		.amdhsa_exception_int_div_zero 0
	.end_amdhsa_kernel
	.section	.text._ZN2at6native12_GLOBAL__N_135GammaBetaBackwardCUDAKernelTemplateIN3c104HalfEfLj32ELj32ELj256ELb0ELb0ELb1EEEvllPKT_S7_PKT0_SA_PS5_SB_,"axG",@progbits,_ZN2at6native12_GLOBAL__N_135GammaBetaBackwardCUDAKernelTemplateIN3c104HalfEfLj32ELj32ELj256ELb0ELb0ELb1EEEvllPKT_S7_PKT0_SA_PS5_SB_,comdat
.Lfunc_end184:
	.size	_ZN2at6native12_GLOBAL__N_135GammaBetaBackwardCUDAKernelTemplateIN3c104HalfEfLj32ELj32ELj256ELb0ELb0ELb1EEEvllPKT_S7_PKT0_SA_PS5_SB_, .Lfunc_end184-_ZN2at6native12_GLOBAL__N_135GammaBetaBackwardCUDAKernelTemplateIN3c104HalfEfLj32ELj32ELj256ELb0ELb0ELb1EEEvllPKT_S7_PKT0_SA_PS5_SB_
                                        ; -- End function
	.section	.AMDGPU.csdata,"",@progbits
; Kernel info:
; codeLenInByte = 6684
; NumSgprs: 62
; NumVgprs: 96
; NumAgprs: 0
; TotalNumVgprs: 96
; ScratchSize: 0
; MemoryBound: 0
; FloatMode: 240
; IeeeMode: 1
; LDSByteSize: 0 bytes/workgroup (compile time only)
; SGPRBlocks: 7
; VGPRBlocks: 11
; NumSGPRsForWavesPerEU: 62
; NumVGPRsForWavesPerEU: 96
; AccumOffset: 96
; Occupancy: 5
; WaveLimiterHint : 0
; COMPUTE_PGM_RSRC2:SCRATCH_EN: 0
; COMPUTE_PGM_RSRC2:USER_SGPR: 2
; COMPUTE_PGM_RSRC2:TRAP_HANDLER: 0
; COMPUTE_PGM_RSRC2:TGID_X_EN: 1
; COMPUTE_PGM_RSRC2:TGID_Y_EN: 1
; COMPUTE_PGM_RSRC2:TGID_Z_EN: 0
; COMPUTE_PGM_RSRC2:TIDIG_COMP_CNT: 1
; COMPUTE_PGM_RSRC3_GFX90A:ACCUM_OFFSET: 23
; COMPUTE_PGM_RSRC3_GFX90A:TG_SPLIT: 0
	.section	.text._ZN2at6native12_GLOBAL__N_118cuComputeGradInputIN3c108BFloat16EfLb1EEEvPKT_S7_llPKT0_SA_S7_PS5_,"axG",@progbits,_ZN2at6native12_GLOBAL__N_118cuComputeGradInputIN3c108BFloat16EfLb1EEEvPKT_S7_llPKT0_SA_S7_PS5_,comdat
	.globl	_ZN2at6native12_GLOBAL__N_118cuComputeGradInputIN3c108BFloat16EfLb1EEEvPKT_S7_llPKT0_SA_S7_PS5_ ; -- Begin function _ZN2at6native12_GLOBAL__N_118cuComputeGradInputIN3c108BFloat16EfLb1EEEvPKT_S7_llPKT0_SA_S7_PS5_
	.p2align	8
	.type	_ZN2at6native12_GLOBAL__N_118cuComputeGradInputIN3c108BFloat16EfLb1EEEvPKT_S7_llPKT0_SA_S7_PS5_,@function
_ZN2at6native12_GLOBAL__N_118cuComputeGradInputIN3c108BFloat16EfLb1EEEvPKT_S7_llPKT0_SA_S7_PS5_: ; @_ZN2at6native12_GLOBAL__N_118cuComputeGradInputIN3c108BFloat16EfLb1EEEvPKT_S7_llPKT0_SA_S7_PS5_
; %bb.0:
	s_load_dwordx4 s[16:19], s[0:1], 0x10
	s_mov_b32 s14, s3
	s_ashr_i32 s15, s3, 31
	s_waitcnt lgkmcnt(0)
	v_mov_b64_e32 v[2:3], s[16:17]
	v_cmp_ge_i64_e32 vcc, s[14:15], v[2:3]
	s_cbranch_vccnz .LBB185_49
; %bb.1:
	s_load_dword s8, s[0:1], 0x4c
	s_load_dwordx4 s[20:23], s[0:1], 0x30
	s_load_dword s33, s[0:1], 0x44
	s_load_dwordx4 s[24:27], s[0:1], 0x0
	s_load_dwordx2 s[28:29], s[0:1], 0x28
	s_waitcnt lgkmcnt(0)
	s_lshr_b32 s44, s8, 16
	s_and_b32 s45, s8, 0xffff
	s_cmp_lg_u64 s[20:21], 0
	s_cselect_b64 s[6:7], -1, 0
	s_xor_b32 s1, s18, s19
	s_flbit_i32 s0, s19
	s_ashr_i32 s1, s1, 31
	s_add_i32 s0, s0, -1
	s_add_i32 s1, s1, 32
	s_min_u32 s2, s0, s1
	s_lshl_b64 s[0:1], s[18:19], s2
	s_min_u32 s0, s0, 1
	s_or_b32 s0, s1, s0
	v_cvt_f32_i32_e32 v1, s0
	s_sub_i32 s0, 32, s2
	v_and_b32_e32 v16, 0x3ff, v0
	v_bfe_u32 v17, v0, 10, 10
	v_ldexp_f32 v2, v1, s0
	v_div_scale_f32 v1, s[0:1], v2, v2, 1.0
	v_rcp_f32_e32 v3, v1
	s_mul_i32 s30, s44, s45
	v_mad_u32_u24 v0, v17, s45, v16
	s_ashr_i32 s31, s30, 31
	v_fma_f32 v4, -v1, v3, 1.0
	v_fmac_f32_e32 v3, v4, v3
	v_div_scale_f32 v4, vcc, 1.0, v2, 1.0
	v_mul_f32_e32 v5, v4, v3
	v_fma_f32 v6, -v1, v5, v4
	v_fmac_f32_e32 v5, v6, v3
	v_fma_f32 v1, -v1, v5, v4
	v_div_fmas_f32 v1, v1, v3, v5
	v_add_u32_e32 v3, s30, v0
	v_mbcnt_lo_u32_b32 v7, -1, 0
	v_ashrrev_i32_e32 v5, 31, v3
	v_mov_b32_e32 v6, s31
	v_subrev_co_u32_e32 v4, vcc, s30, v3
	v_cndmask_b32_e64 v3, 0, 1, s[6:7]
	v_cmp_gt_i64_e64 s[6:7], s[18:19], 0
	v_mbcnt_hi_u32_b32 v21, -1, v7
	v_div_fixup_f32 v20, v1, v2, 1.0
	v_mov_b32_e32 v1, 0
	v_subb_co_u32_e32 v5, vcc, v5, v6, vcc
	v_cndmask_b32_e64 v6, 0, 1, s[6:7]
	v_cmp_ne_u32_e64 s[6:7], 1, v3
	v_and_b32_e32 v3, 64, v21
	v_lshl_add_u32 v18, v0, 3, 0
	v_cmp_eq_u32_e64 s[0:1], 0, v17
	v_cmp_ne_u32_e64 s[2:3], 0, v17
	v_lshl_add_u32 v19, v16, 3, 0
	v_cmp_gt_i64_e64 s[4:5], s[18:19], v[0:1]
	v_cmp_gt_u16_e64 s[34:35], s8, 1
	s_movk_i32 s46, 0x7fff
	v_cmp_ne_u32_e64 s[8:9], 1, v6
	v_mov_b64_e32 v[6:7], s[18:19]
	v_mov_b64_e32 v[8:9], s[18:19]
	v_add_u32_e32 v22, 64, v3
	v_cmp_gt_u16_e64 s[36:37], s44, 1
	v_mov_b32_e32 v23, 0x7fc0
	s_branch .LBB185_4
.LBB185_2:                              ;   in Loop: Header=BB185_4 Depth=1
	s_or_b64 exec, exec, s[12:13]
.LBB185_3:                              ;   in Loop: Header=BB185_4 Depth=1
	s_add_i32 s14, s33, s14
	s_ashr_i32 s15, s14, 31
	v_mov_b64_e32 v[10:11], s[16:17]
	v_cmp_ge_i64_e32 vcc, s[14:15], v[10:11]
	s_barrier
	s_cbranch_vccnz .LBB185_49
.LBB185_4:                              ; =>This Loop Header: Depth=1
                                        ;     Child Loop BB185_8 Depth 2
                                        ;     Child Loop BB185_20 Depth 2
	;; [unrolled: 1-line block ×6, first 2 shown]
	s_mul_i32 s10, s14, s19
	s_mul_hi_u32 s11, s14, s18
	s_add_i32 s10, s11, s10
	s_mul_i32 s11, s15, s18
	s_add_i32 s11, s10, s11
	s_lshl_b64 s[12:13], s[14:15], 2
	s_add_u32 s12, s28, s12
	s_mul_i32 s10, s14, s18
	s_addc_u32 s13, s29, s13
	s_load_dword s15, s[12:13], 0x0
	s_lshl_b64 s[42:43], s[10:11], 1
	s_add_u32 s38, s26, s42
	s_addc_u32 s39, s27, s43
	s_add_u32 s40, s24, s42
	s_addc_u32 s41, s25, s43
	s_and_b64 vcc, exec, s[6:7]
	s_cbranch_vccnz .LBB185_14
; %bb.5:                                ;   in Loop: Header=BB185_4 Depth=1
	s_and_b64 vcc, exec, s[8:9]
	s_cbranch_vccnz .LBB185_15
; %bb.6:                                ;   in Loop: Header=BB185_4 Depth=1
	s_mov_b32 s10, 0
	v_mov_b32_e32 v11, 0
	s_branch .LBB185_8
.LBB185_7:                              ;   in Loop: Header=BB185_8 Depth=2
	s_or_b64 exec, exec, s[12:13]
	s_waitcnt vmcnt(0)
	v_lshlrev_b32_e32 v3, 16, v3
	v_lshlrev_b32_e32 v10, 16, v10
	s_add_i32 s10, s10, s30
	v_lshlrev_b32_e32 v12, 16, v14
	v_mul_f32_e32 v3, v3, v10
	s_ashr_i32 s11, s10, 31
	v_mul_f32_e32 v3, v3, v12
	v_cmp_ge_i64_e32 vcc, s[10:11], v[6:7]
	s_waitcnt lgkmcnt(0)
	v_fmac_f32_e32 v11, s15, v3
	s_cbranch_vccnz .LBB185_16
.LBB185_8:                              ;   Parent Loop BB185_4 Depth=1
                                        ; =>  This Inner Loop Header: Depth=2
	v_add_u32_e32 v12, s10, v0
	v_ashrrev_i32_e32 v13, 31, v12
	v_cmp_gt_i64_e32 vcc, s[18:19], v[12:13]
	v_mov_b32_e32 v3, 0
	s_and_saveexec_b64 s[12:13], vcc
	s_cbranch_execz .LBB185_10
; %bb.9:                                ;   in Loop: Header=BB185_8 Depth=2
	v_lshl_add_u64 v[14:15], v[12:13], 1, s[20:21]
	global_load_ushort v3, v[14:15], off
.LBB185_10:                             ;   in Loop: Header=BB185_8 Depth=2
	s_or_b64 exec, exec, s[12:13]
	v_mov_b32_e32 v10, 0
	v_mov_b32_e32 v14, 0
	s_and_saveexec_b64 s[12:13], vcc
	s_cbranch_execz .LBB185_12
; %bb.11:                               ;   in Loop: Header=BB185_8 Depth=2
	v_lshl_add_u64 v[14:15], v[12:13], 1, s[38:39]
	global_load_ushort v14, v[14:15], off
.LBB185_12:                             ;   in Loop: Header=BB185_8 Depth=2
	s_or_b64 exec, exec, s[12:13]
	s_and_saveexec_b64 s[12:13], vcc
	s_cbranch_execz .LBB185_7
; %bb.13:                               ;   in Loop: Header=BB185_8 Depth=2
	v_lshl_add_u64 v[12:13], v[12:13], 1, s[40:41]
	global_load_ushort v10, v[12:13], off
	s_branch .LBB185_7
.LBB185_14:                             ;   in Loop: Header=BB185_4 Depth=1
                                        ; implicit-def: $vgpr11
	s_branch .LBB185_17
.LBB185_15:                             ;   in Loop: Header=BB185_4 Depth=1
	v_mov_b32_e32 v11, 0
.LBB185_16:                             ;   in Loop: Header=BB185_4 Depth=1
	s_cbranch_execnz .LBB185_25
.LBB185_17:                             ;   in Loop: Header=BB185_4 Depth=1
	s_and_b64 vcc, exec, s[8:9]
	s_cbranch_vccnz .LBB185_24
; %bb.18:                               ;   in Loop: Header=BB185_4 Depth=1
	s_mov_b32 s10, 0
	v_mov_b32_e32 v11, 0
	s_branch .LBB185_20
.LBB185_19:                             ;   in Loop: Header=BB185_20 Depth=2
	s_or_b64 exec, exec, s[12:13]
	s_add_i32 s10, s10, s30
	s_waitcnt vmcnt(0)
	v_lshlrev_b32_e32 v3, 16, v3
	v_lshlrev_b32_e32 v10, 16, v10
	s_ashr_i32 s11, s10, 31
	v_mul_f32_e32 v3, v3, v10
	v_cmp_ge_i64_e32 vcc, s[10:11], v[8:9]
	s_waitcnt lgkmcnt(0)
	v_fmac_f32_e32 v11, s15, v3
	s_cbranch_vccnz .LBB185_25
.LBB185_20:                             ;   Parent Loop BB185_4 Depth=1
                                        ; =>  This Inner Loop Header: Depth=2
	v_add_u32_e32 v12, s10, v0
	v_ashrrev_i32_e32 v13, 31, v12
	v_cmp_gt_i64_e32 vcc, s[18:19], v[12:13]
	v_mov_b32_e32 v3, 0
	s_and_saveexec_b64 s[12:13], vcc
	s_cbranch_execz .LBB185_22
; %bb.21:                               ;   in Loop: Header=BB185_20 Depth=2
	v_lshl_add_u64 v[14:15], v[12:13], 1, s[38:39]
	global_load_ushort v3, v[14:15], off
.LBB185_22:                             ;   in Loop: Header=BB185_20 Depth=2
	s_or_b64 exec, exec, s[12:13]
	v_mov_b32_e32 v10, 0
	s_and_saveexec_b64 s[12:13], vcc
	s_cbranch_execz .LBB185_19
; %bb.23:                               ;   in Loop: Header=BB185_20 Depth=2
	v_lshl_add_u64 v[12:13], v[12:13], 1, s[40:41]
	global_load_ushort v10, v[12:13], off
	s_branch .LBB185_19
.LBB185_24:                             ;   in Loop: Header=BB185_4 Depth=1
	v_mov_b32_e32 v11, 0
.LBB185_25:                             ;   in Loop: Header=BB185_4 Depth=1
	s_andn2_b64 vcc, exec, s[34:35]
	s_cbranch_vccnz .LBB185_28
; %bb.26:                               ;   in Loop: Header=BB185_4 Depth=1
	s_mov_b32 s10, s45
.LBB185_27:                             ;   Parent Loop BB185_4 Depth=1
                                        ; =>  This Inner Loop Header: Depth=2
	s_lshr_b32 s11, s10, 1
	v_xor_b32_e32 v3, s11, v21
	v_cmp_lt_i32_e32 vcc, v3, v22
	s_cmp_lt_u32 s10, 4
	s_mov_b32 s10, s11
	v_cndmask_b32_e32 v3, v21, v3, vcc
	v_lshlrev_b32_e32 v3, 2, v3
	ds_bpermute_b32 v3, v3, v11
	s_waitcnt lgkmcnt(0)
	v_add_f32_e32 v11, v11, v3
	s_cbranch_scc0 .LBB185_27
.LBB185_28:                             ;   in Loop: Header=BB185_4 Depth=1
	s_andn2_b64 vcc, exec, s[36:37]
	s_mov_b32 s47, s44
	s_cbranch_vccnz .LBB185_40
.LBB185_29:                             ;   Parent Loop BB185_4 Depth=1
                                        ; =>  This Inner Loop Header: Depth=2
	s_lshr_b32 s48, s47, 1
	s_and_b32 s12, s47, 0xfffe
	v_cmp_le_u32_e64 s[10:11], s48, v17
	v_cmp_gt_u32_e64 s[12:13], s12, v17
	v_cmp_gt_u32_e32 vcc, s48, v17
	s_and_b64 s[12:13], s[10:11], s[12:13]
	s_and_saveexec_b64 s[10:11], s[12:13]
	s_cbranch_execz .LBB185_31
; %bb.30:                               ;   in Loop: Header=BB185_29 Depth=2
	v_subrev_u32_e32 v3, s48, v17
	v_mad_i32_i24 v3, v3, s45, v16
	v_lshl_add_u32 v3, v3, 3, 0
	ds_write_b32 v3, v11 offset:4
.LBB185_31:                             ;   in Loop: Header=BB185_29 Depth=2
	s_or_b64 exec, exec, s[10:11]
	s_waitcnt lgkmcnt(0)
	s_barrier
	s_and_saveexec_b64 s[10:11], vcc
	s_cbranch_execz .LBB185_33
; %bb.32:                               ;   in Loop: Header=BB185_29 Depth=2
	ds_read_b32 v3, v18 offset:4
	s_waitcnt lgkmcnt(0)
	v_add_f32_e32 v11, v11, v3
.LBB185_33:                             ;   in Loop: Header=BB185_29 Depth=2
	s_or_b64 exec, exec, s[10:11]
	s_cmp_lt_u32 s47, 4
	s_barrier
	s_cbranch_scc1 .LBB185_35
; %bb.34:                               ;   in Loop: Header=BB185_29 Depth=2
	s_mov_b32 s47, s48
	s_branch .LBB185_29
.LBB185_35:                             ;   in Loop: Header=BB185_4 Depth=1
	s_and_saveexec_b64 s[10:11], s[0:1]
	s_cbranch_execz .LBB185_37
; %bb.36:                               ;   in Loop: Header=BB185_4 Depth=1
	ds_write_b32 v19, v11 offset:4
.LBB185_37:                             ;   in Loop: Header=BB185_4 Depth=1
	s_or_b64 exec, exec, s[10:11]
	s_waitcnt lgkmcnt(0)
	s_barrier
	s_and_saveexec_b64 s[10:11], s[2:3]
	s_cbranch_execz .LBB185_39
; %bb.38:                               ;   in Loop: Header=BB185_4 Depth=1
	ds_read_b32 v11, v19 offset:4
.LBB185_39:                             ;   in Loop: Header=BB185_4 Depth=1
	s_or_b64 exec, exec, s[10:11]
.LBB185_40:                             ;   in Loop: Header=BB185_4 Depth=1
	s_add_u32 s10, s22, s42
	s_addc_u32 s11, s23, s43
	s_and_b64 vcc, exec, s[6:7]
	s_waitcnt lgkmcnt(0)
	v_mul_f32_e32 v24, s15, v20
	s_cbranch_vccnz .LBB185_45
; %bb.41:                               ;   in Loop: Header=BB185_4 Depth=1
	s_and_saveexec_b64 s[12:13], s[4:5]
	s_cbranch_execz .LBB185_44
; %bb.42:                               ;   in Loop: Header=BB185_4 Depth=1
	v_mov_b32_e32 v3, s15
	s_mov_b64 s[42:43], 0
	v_mov_b64_e32 v[12:13], v[0:1]
.LBB185_43:                             ;   Parent Loop BB185_4 Depth=1
                                        ; =>  This Inner Loop Header: Depth=2
	v_lshlrev_b64 v[14:15], 1, v[12:13]
	v_lshl_add_u64 v[28:29], s[40:41], 0, v[14:15]
	v_lshl_add_u64 v[26:27], s[38:39], 0, v[14:15]
	;; [unrolled: 1-line block ×3, first 2 shown]
	global_load_ushort v25, v[28:29], off
	global_load_ushort v32, v[26:27], off
	;; [unrolled: 1-line block ×3, first 2 shown]
	v_add_u32_e32 v12, s30, v12
	v_ashrrev_i32_e32 v13, 31, v12
	v_cmp_le_i64_e32 vcc, s[18:19], v[12:13]
	s_or_b64 s[42:43], vcc, s[42:43]
	v_lshl_add_u64 v[14:15], s[10:11], 0, v[14:15]
	s_waitcnt vmcnt(2)
	v_lshlrev_b32_e32 v26, 16, v25
	s_waitcnt vmcnt(1)
	v_lshlrev_b32_e32 v27, 16, v32
	;; [unrolled: 2-line block ×3, first 2 shown]
	v_pk_mul_f32 v[26:27], v[2:3], v[26:27]
	s_nop 0
	v_pk_mul_f32 v[26:27], v[26:27], v[10:11]
	s_nop 0
	v_sub_f32_e32 v10, v26, v27
	v_mul_f32_e32 v10, v24, v10
	v_bfe_u32 v25, v10, 16, 1
	v_add3_u32 v25, v10, v25, s46
	v_lshrrev_b32_e32 v25, 16, v25
	v_cmp_o_f32_e32 vcc, v10, v10
	s_nop 1
	v_cndmask_b32_e32 v10, v23, v25, vcc
	global_store_short v[14:15], v10, off
	s_andn2_b64 exec, exec, s[42:43]
	s_cbranch_execnz .LBB185_43
.LBB185_44:                             ;   in Loop: Header=BB185_4 Depth=1
	s_or_b64 exec, exec, s[12:13]
	s_cbranch_execnz .LBB185_3
	s_branch .LBB185_46
.LBB185_45:                             ;   in Loop: Header=BB185_4 Depth=1
.LBB185_46:                             ;   in Loop: Header=BB185_4 Depth=1
	s_and_saveexec_b64 s[12:13], s[4:5]
	s_cbranch_execz .LBB185_2
; %bb.47:                               ;   in Loop: Header=BB185_4 Depth=1
	v_mov_b32_e32 v3, s15
	s_mov_b64 s[42:43], 0
	v_mov_b64_e32 v[12:13], v[4:5]
	v_mov_b64_e32 v[14:15], v[0:1]
.LBB185_48:                             ;   Parent Loop BB185_4 Depth=1
                                        ; =>  This Inner Loop Header: Depth=2
	v_lshlrev_b64 v[14:15], 1, v[14:15]
	v_lshl_add_u64 v[26:27], s[38:39], 0, v[14:15]
	v_lshl_add_u64 v[28:29], s[40:41], 0, v[14:15]
	global_load_ushort v10, v[26:27], off
	global_load_ushort v25, v[28:29], off
	v_lshl_add_u64 v[12:13], v[12:13], 0, s[30:31]
	v_cmp_le_i64_e32 vcc, s[18:19], v[12:13]
	s_or_b64 s[42:43], vcc, s[42:43]
	v_lshl_add_u64 v[26:27], s[10:11], 0, v[14:15]
	v_ashrrev_i32_e32 v15, 31, v12
	v_mov_b32_e32 v14, v12
	s_waitcnt vmcnt(1)
	v_lshlrev_b32_e32 v29, 16, v10
	s_waitcnt vmcnt(0)
	v_lshlrev_b32_e32 v28, 16, v25
	v_pk_mul_f32 v[28:29], v[2:3], v[28:29]
	s_nop 0
	v_fma_f32 v10, -v11, v29, v28
	v_mul_f32_e32 v10, v24, v10
	v_bfe_u32 v25, v10, 16, 1
	v_add3_u32 v25, v10, v25, s46
	v_lshrrev_b32_e32 v25, 16, v25
	v_cmp_o_f32_e32 vcc, v10, v10
	s_nop 1
	v_cndmask_b32_e32 v10, v23, v25, vcc
	global_store_short v[26:27], v10, off
	s_andn2_b64 exec, exec, s[42:43]
	s_cbranch_execnz .LBB185_48
	s_branch .LBB185_2
.LBB185_49:
	s_endpgm
	.section	.rodata,"a",@progbits
	.p2align	6, 0x0
	.amdhsa_kernel _ZN2at6native12_GLOBAL__N_118cuComputeGradInputIN3c108BFloat16EfLb1EEEvPKT_S7_llPKT0_SA_S7_PS5_
		.amdhsa_group_segment_fixed_size 0
		.amdhsa_private_segment_fixed_size 0
		.amdhsa_kernarg_size 320
		.amdhsa_user_sgpr_count 2
		.amdhsa_user_sgpr_dispatch_ptr 0
		.amdhsa_user_sgpr_queue_ptr 0
		.amdhsa_user_sgpr_kernarg_segment_ptr 1
		.amdhsa_user_sgpr_dispatch_id 0
		.amdhsa_user_sgpr_kernarg_preload_length 0
		.amdhsa_user_sgpr_kernarg_preload_offset 0
		.amdhsa_user_sgpr_private_segment_size 0
		.amdhsa_uses_dynamic_stack 0
		.amdhsa_enable_private_segment 0
		.amdhsa_system_sgpr_workgroup_id_x 1
		.amdhsa_system_sgpr_workgroup_id_y 1
		.amdhsa_system_sgpr_workgroup_id_z 0
		.amdhsa_system_sgpr_workgroup_info 0
		.amdhsa_system_vgpr_workitem_id 1
		.amdhsa_next_free_vgpr 33
		.amdhsa_next_free_sgpr 49
		.amdhsa_accum_offset 36
		.amdhsa_reserve_vcc 1
		.amdhsa_float_round_mode_32 0
		.amdhsa_float_round_mode_16_64 0
		.amdhsa_float_denorm_mode_32 3
		.amdhsa_float_denorm_mode_16_64 3
		.amdhsa_dx10_clamp 1
		.amdhsa_ieee_mode 1
		.amdhsa_fp16_overflow 0
		.amdhsa_tg_split 0
		.amdhsa_exception_fp_ieee_invalid_op 0
		.amdhsa_exception_fp_denorm_src 0
		.amdhsa_exception_fp_ieee_div_zero 0
		.amdhsa_exception_fp_ieee_overflow 0
		.amdhsa_exception_fp_ieee_underflow 0
		.amdhsa_exception_fp_ieee_inexact 0
		.amdhsa_exception_int_div_zero 0
	.end_amdhsa_kernel
	.section	.text._ZN2at6native12_GLOBAL__N_118cuComputeGradInputIN3c108BFloat16EfLb1EEEvPKT_S7_llPKT0_SA_S7_PS5_,"axG",@progbits,_ZN2at6native12_GLOBAL__N_118cuComputeGradInputIN3c108BFloat16EfLb1EEEvPKT_S7_llPKT0_SA_S7_PS5_,comdat
.Lfunc_end185:
	.size	_ZN2at6native12_GLOBAL__N_118cuComputeGradInputIN3c108BFloat16EfLb1EEEvPKT_S7_llPKT0_SA_S7_PS5_, .Lfunc_end185-_ZN2at6native12_GLOBAL__N_118cuComputeGradInputIN3c108BFloat16EfLb1EEEvPKT_S7_llPKT0_SA_S7_PS5_
                                        ; -- End function
	.section	.AMDGPU.csdata,"",@progbits
; Kernel info:
; codeLenInByte = 1540
; NumSgprs: 55
; NumVgprs: 33
; NumAgprs: 0
; TotalNumVgprs: 33
; ScratchSize: 0
; MemoryBound: 0
; FloatMode: 240
; IeeeMode: 1
; LDSByteSize: 0 bytes/workgroup (compile time only)
; SGPRBlocks: 6
; VGPRBlocks: 4
; NumSGPRsForWavesPerEU: 55
; NumVGPRsForWavesPerEU: 33
; AccumOffset: 36
; Occupancy: 8
; WaveLimiterHint : 0
; COMPUTE_PGM_RSRC2:SCRATCH_EN: 0
; COMPUTE_PGM_RSRC2:USER_SGPR: 2
; COMPUTE_PGM_RSRC2:TRAP_HANDLER: 0
; COMPUTE_PGM_RSRC2:TGID_X_EN: 1
; COMPUTE_PGM_RSRC2:TGID_Y_EN: 1
; COMPUTE_PGM_RSRC2:TGID_Z_EN: 0
; COMPUTE_PGM_RSRC2:TIDIG_COMP_CNT: 1
; COMPUTE_PGM_RSRC3_GFX90A:ACCUM_OFFSET: 8
; COMPUTE_PGM_RSRC3_GFX90A:TG_SPLIT: 0
	.section	.text._ZN2at6native12_GLOBAL__N_128layer_norm_grad_input_kernelIN3c108BFloat16EfLb1EEEvPKT_S7_PKT0_SA_S7_PS5_i,"axG",@progbits,_ZN2at6native12_GLOBAL__N_128layer_norm_grad_input_kernelIN3c108BFloat16EfLb1EEEvPKT_S7_PKT0_SA_S7_PS5_i,comdat
	.globl	_ZN2at6native12_GLOBAL__N_128layer_norm_grad_input_kernelIN3c108BFloat16EfLb1EEEvPKT_S7_PKT0_SA_S7_PS5_i ; -- Begin function _ZN2at6native12_GLOBAL__N_128layer_norm_grad_input_kernelIN3c108BFloat16EfLb1EEEvPKT_S7_PKT0_SA_S7_PS5_i
	.p2align	8
	.type	_ZN2at6native12_GLOBAL__N_128layer_norm_grad_input_kernelIN3c108BFloat16EfLb1EEEvPKT_S7_PKT0_SA_S7_PS5_i,@function
_ZN2at6native12_GLOBAL__N_128layer_norm_grad_input_kernelIN3c108BFloat16EfLb1EEEvPKT_S7_PKT0_SA_S7_PS5_i: ; @_ZN2at6native12_GLOBAL__N_128layer_norm_grad_input_kernelIN3c108BFloat16EfLb1EEEvPKT_S7_PKT0_SA_S7_PS5_i
; %bb.0:
	s_load_dword s30, s[0:1], 0x30
	s_load_dwordx4 s[8:11], s[0:1], 0x0
	s_load_dwordx4 s[4:7], s[0:1], 0x18
	s_mov_b32 s3, 0
	v_lshlrev_b32_e32 v2, 2, v0
	s_waitcnt lgkmcnt(0)
	s_ashr_i32 s12, s30, 31
	s_mul_hi_u32 s13, s30, s2
	s_mul_i32 s12, s12, s2
	s_add_i32 s17, s13, s12
	s_mul_i32 s16, s30, s2
	s_lshl_b64 s[2:3], s[2:3], 2
	s_add_u32 s2, s4, s2
	s_addc_u32 s3, s5, s3
	s_load_dword s31, s[2:3], 0x0
	s_lshl_b64 s[14:15], s[16:17], 1
	s_add_u32 s4, s10, s14
	s_addc_u32 s5, s11, s15
	s_add_u32 s12, s8, s14
	v_or_b32_e32 v1, 3, v2
	s_addc_u32 s13, s9, s15
	v_cmp_gt_u32_e32 vcc, s30, v1
	v_mov_b32_e32 v1, 0
	s_and_saveexec_b64 s[18:19], vcc
	s_cbranch_execz .LBB186_12
; %bb.1:
	s_load_dword s2, s[0:1], 0x44
	s_cmp_lg_u64 s[6:7], 0
	s_cselect_b64 s[22:23], -1, 0
	v_cndmask_b32_e64 v1, 0, 1, s[22:23]
	s_mov_b64 s[20:21], 0
	s_waitcnt lgkmcnt(0)
	s_and_b32 s2, s2, 0xffff
	s_lshl_b32 s33, s2, 2
	s_add_u32 s24, s6, 2
	s_addc_u32 s25, s7, 0
	s_add_u32 s26, s6, 4
	s_addc_u32 s27, s7, 0
	s_add_u32 s28, s6, 6
	v_mov_b32_e32 v3, 0
	s_addc_u32 s29, s7, 0
	v_cmp_ne_u32_e64 s[2:3], 1, v1
	v_mov_b32_e32 v1, 0
	s_branch .LBB186_3
.LBB186_2:                              ;   in Loop: Header=BB186_3 Depth=1
	global_load_ushort v18, v[4:5], off offset:6
	global_load_ushort v19, v[6:7], off offset:6
	s_waitcnt vmcnt(6)
	v_lshlrev_b32_e32 v5, 16, v12
	v_lshlrev_b32_e32 v4, 16, v11
	s_waitcnt vmcnt(4)
	v_lshlrev_b32_e32 v7, 16, v15
	v_mul_f32_e32 v5, v9, v5
	v_lshlrev_b32_e32 v6, 16, v14
	v_mul_f32_e32 v7, v8, v7
	v_mul_f32_e32 v4, v5, v4
	s_waitcnt vmcnt(2)
	v_lshlrev_b32_e32 v12, 16, v17
	v_mul_f32_e32 v5, v7, v6
	v_fmac_f32_e32 v1, s31, v4
	v_lshlrev_b32_e32 v11, 16, v16
	v_add_u32_e32 v2, s33, v2
	v_mul_f32_e32 v8, v13, v12
	v_fmac_f32_e32 v1, s31, v5
	v_add_u32_e32 v9, 3, v2
	v_mul_f32_e32 v6, v8, v11
	v_cmp_le_u32_e32 vcc, s30, v9
	v_fmac_f32_e32 v1, s31, v6
	s_or_b64 s[20:21], vcc, s[20:21]
	s_waitcnt vmcnt(1)
	v_lshlrev_b32_e32 v4, 16, v18
	s_waitcnt vmcnt(0)
	v_lshlrev_b32_e32 v5, 16, v19
	v_mul_f32_e32 v5, v10, v5
	v_mul_f32_e32 v4, v5, v4
	v_fmac_f32_e32 v1, s31, v4
	s_andn2_b64 exec, exec, s[20:21]
	s_cbranch_execz .LBB186_11
.LBB186_3:                              ; =>This Inner Loop Header: Depth=1
	s_and_b64 vcc, exec, s[22:23]
	v_mov_b32_e32 v8, 1.0
	v_mov_b32_e32 v9, 1.0
	s_cbranch_vccz .LBB186_5
; %bb.4:                                ;   in Loop: Header=BB186_3 Depth=1
	v_lshl_add_u64 v[4:5], v[2:3], 1, s[6:7]
	global_load_ushort v4, v[4:5], off
	s_waitcnt vmcnt(0)
	v_lshlrev_b32_e32 v9, 16, v4
.LBB186_5:                              ;   in Loop: Header=BB186_3 Depth=1
	v_lshlrev_b64 v[6:7], 1, v[2:3]
	v_lshl_add_u64 v[4:5], s[4:5], 0, v[6:7]
	v_lshl_add_u64 v[6:7], s[12:13], 0, v[6:7]
	global_load_ushort v11, v[4:5], off
	global_load_ushort v12, v[6:7], off
	s_and_b64 vcc, exec, s[2:3]
	s_cbranch_vccnz .LBB186_7
; %bb.6:                                ;   in Loop: Header=BB186_3 Depth=1
	v_lshl_add_u64 v[14:15], v[2:3], 1, s[24:25]
	global_load_ushort v8, v[14:15], off
	s_waitcnt vmcnt(0)
	v_lshlrev_b32_e32 v8, 16, v8
.LBB186_7:                              ;   in Loop: Header=BB186_3 Depth=1
	global_load_ushort v14, v[4:5], off offset:2
	global_load_ushort v15, v[6:7], off offset:2
	s_and_b64 vcc, exec, s[2:3]
	v_mov_b32_e32 v10, 1.0
	v_mov_b32_e32 v13, 1.0
	s_cbranch_vccnz .LBB186_9
; %bb.8:                                ;   in Loop: Header=BB186_3 Depth=1
	v_lshl_add_u64 v[16:17], v[2:3], 1, s[26:27]
	global_load_ushort v13, v[16:17], off
	s_waitcnt vmcnt(0)
	v_lshlrev_b32_e32 v13, 16, v13
.LBB186_9:                              ;   in Loop: Header=BB186_3 Depth=1
	global_load_ushort v16, v[4:5], off offset:4
	global_load_ushort v17, v[6:7], off offset:4
	s_and_b64 vcc, exec, s[2:3]
	s_cbranch_vccnz .LBB186_2
; %bb.10:                               ;   in Loop: Header=BB186_3 Depth=1
	v_lshl_add_u64 v[18:19], v[2:3], 1, s[28:29]
	global_load_ushort v10, v[18:19], off
	s_waitcnt vmcnt(0)
	v_lshlrev_b32_e32 v10, 16, v10
	s_branch .LBB186_2
.LBB186_11:
	s_or_b64 exec, exec, s[20:21]
.LBB186_12:
	s_or_b64 exec, exec, s[18:19]
	v_cmp_gt_u32_e32 vcc, s30, v2
	s_and_saveexec_b64 s[18:19], vcc
	s_cbranch_execz .LBB186_19
; %bb.13:
	s_cmp_lg_u64 s[6:7], 0
	v_mov_b32_e32 v3, 0
	v_lshlrev_b64 v[6:7], 1, v[2:3]
	s_cselect_b64 s[2:3], -1, 0
	v_lshl_add_u64 v[8:9], s[16:17], 1, v[6:7]
	v_cndmask_b32_e64 v3, 0, 1, s[2:3]
	s_mov_b64 s[20:21], 0
	v_lshl_add_u64 v[4:5], s[6:7], 0, v[6:7]
	v_lshl_add_u64 v[6:7], s[10:11], 0, v[8:9]
	v_lshl_add_u64 v[8:9], s[8:9], 0, v[8:9]
	v_cmp_ne_u32_e64 s[2:3], 1, v3
	s_branch .LBB186_16
.LBB186_14:                             ;   in Loop: Header=BB186_16 Depth=1
	global_load_ushort v3, v[4:5], off
	s_waitcnt vmcnt(0)
	v_lshlrev_b32_e32 v3, 16, v3
.LBB186_15:                             ;   in Loop: Header=BB186_16 Depth=1
	global_load_ushort v10, v[6:7], off
	global_load_ushort v11, v[8:9], off
	v_add_u32_e32 v2, 1, v2
	v_cmp_le_u32_e32 vcc, s30, v2
	v_lshl_add_u64 v[4:5], v[4:5], 0, 2
	v_lshl_add_u64 v[6:7], v[6:7], 0, 2
	s_or_b64 s[20:21], vcc, s[20:21]
	v_lshl_add_u64 v[8:9], v[8:9], 0, 2
	s_waitcnt vmcnt(1)
	v_lshlrev_b32_e32 v10, 16, v10
	s_waitcnt vmcnt(0)
	v_lshlrev_b32_e32 v11, 16, v11
	v_mul_f32_e32 v3, v3, v11
	v_mul_f32_e32 v3, v3, v10
	s_waitcnt lgkmcnt(0)
	v_fmac_f32_e32 v1, s31, v3
	s_andn2_b64 exec, exec, s[20:21]
	s_cbranch_execz .LBB186_18
.LBB186_16:                             ; =>This Inner Loop Header: Depth=1
	s_and_b64 vcc, exec, s[2:3]
	s_cbranch_vccz .LBB186_14
; %bb.17:                               ;   in Loop: Header=BB186_16 Depth=1
	v_mov_b32_e32 v3, 1.0
	s_branch .LBB186_15
.LBB186_18:
	s_or_b64 exec, exec, s[20:21]
.LBB186_19:
	s_or_b64 exec, exec, s[18:19]
	v_mbcnt_lo_u32_b32 v2, -1, 0
	v_mbcnt_hi_u32_b32 v6, -1, v2
	v_and_b32_e32 v9, 63, v6
	v_cmp_gt_u32_e32 vcc, 32, v9
	s_waitcnt lgkmcnt(0)
	s_barrier
	v_cndmask_b32_e64 v2, 0, 1, vcc
	v_lshlrev_b32_e32 v2, 5, v2
	v_add_lshl_u32 v2, v2, v6, 2
	ds_bpermute_b32 v3, v2, v1
	v_cmp_gt_u32_e32 vcc, 48, v9
	s_waitcnt lgkmcnt(0)
	v_add_f32_e32 v3, v1, v3
	v_cndmask_b32_e64 v4, 0, 1, vcc
	v_lshlrev_b32_e32 v4, 4, v4
	v_add_lshl_u32 v1, v4, v6, 2
	ds_bpermute_b32 v4, v1, v3
	v_cmp_gt_u32_e32 vcc, 56, v9
	s_waitcnt lgkmcnt(0)
	v_add_f32_e32 v4, v3, v4
	;; [unrolled: 7-line block ×4, first 2 shown]
	v_cndmask_b32_e64 v8, 0, 1, vcc
	v_lshlrev_b32_e32 v8, 1, v8
	v_add_lshl_u32 v5, v8, v6, 2
	ds_bpermute_b32 v8, v5, v10
	v_cmp_ne_u32_e32 vcc, 63, v9
	v_and_b32_e32 v7, 63, v0
	s_waitcnt lgkmcnt(0)
	v_add_f32_e32 v8, v10, v8
	v_addc_co_u32_e32 v6, vcc, 0, v6, vcc
	v_lshlrev_b32_e32 v6, 2, v6
	ds_bpermute_b32 v9, v6, v8
	v_cmp_eq_u32_e32 vcc, 0, v7
	s_and_saveexec_b64 s[2:3], vcc
	s_cbranch_execz .LBB186_21
; %bb.20:
	v_lshrrev_b32_e32 v10, 4, v0
	v_add_u32_e32 v10, 0, v10
	s_waitcnt lgkmcnt(0)
	v_add_f32_e32 v8, v8, v9
	ds_write_b32 v10, v8
.LBB186_21:
	s_or_b64 exec, exec, s[2:3]
	s_waitcnt lgkmcnt(0)
	s_barrier
	s_load_dword s8, s[0:1], 0x44
	v_mov_b32_e32 v8, 0
	s_waitcnt lgkmcnt(0)
	s_bfe_u32 s2, s8, 0xa0006
	v_cmp_gt_u32_e32 vcc, s2, v0
	s_and_saveexec_b64 s[2:3], vcc
	s_cbranch_execnz .LBB186_32
; %bb.22:
	s_or_b64 exec, exec, s[2:3]
	v_cmp_gt_u32_e32 vcc, 64, v0
	s_and_saveexec_b64 s[2:3], vcc
	s_cbranch_execnz .LBB186_33
.LBB186_23:
	s_or_b64 exec, exec, s[2:3]
	v_cmp_eq_u32_e32 vcc, 0, v0
	s_and_saveexec_b64 s[2:3], vcc
	s_cbranch_execz .LBB186_25
.LBB186_24:
	v_mov_b32_e32 v1, 0
	s_waitcnt lgkmcnt(0)
	ds_write_b32 v1, v8 offset:4
.LBB186_25:
	s_or_b64 exec, exec, s[2:3]
	v_cmp_gt_i32_e32 vcc, s30, v0
	s_waitcnt lgkmcnt(0)
	s_barrier
	s_and_saveexec_b64 s[2:3], vcc
	s_cbranch_execz .LBB186_31
; %bb.26:
	v_cvt_f32_i32_e32 v2, s30
	s_load_dwordx2 s[0:1], s[0:1], 0x28
	v_mov_b32_e32 v1, 0
	ds_read_b32 v3, v1 offset:4
	v_div_scale_f32 v4, s[2:3], v2, v2, 1.0
	v_rcp_f32_e32 v5, v4
	v_div_scale_f32 v1, vcc, 1.0, v2, 1.0
	s_and_b32 s10, s8, 0xffff
	v_fma_f32 v6, -v4, v5, 1.0
	v_fmac_f32_e32 v5, v6, v5
	v_mul_f32_e32 v6, v1, v5
	v_fma_f32 v7, -v4, v6, v1
	v_fmac_f32_e32 v6, v7, v5
	s_waitcnt lgkmcnt(0)
	s_add_u32 s2, s0, s14
	v_fma_f32 v1, -v4, v6, v1
	s_addc_u32 s3, s1, s15
	v_div_fmas_f32 v1, v1, v5, v6
	s_cmp_lg_u64 s[6:7], 0
	v_div_fixup_f32 v1, v1, v2, 1.0
	s_cselect_b64 s[0:1], -1, 0
	v_mul_f32_e32 v4, s31, v1
	v_cndmask_b32_e64 v1, 0, 1, s[0:1]
	s_mov_b64 s[8:9], 0
	v_cmp_ne_u32_e64 s[0:1], 1, v1
	s_movk_i32 s11, 0x7fff
	v_mov_b32_e32 v5, 0x7fc0
	s_branch .LBB186_29
.LBB186_27:                             ;   in Loop: Header=BB186_29 Depth=1
	v_lshl_add_u64 v[8:9], v[0:1], 1, s[6:7]
	global_load_ushort v8, v[8:9], off
	s_waitcnt vmcnt(0)
	v_lshlrev_b32_e32 v8, 16, v8
.LBB186_28:                             ;   in Loop: Header=BB186_29 Depth=1
	s_waitcnt vmcnt(1)
	v_lshlrev_b32_e32 v6, 16, v6
	v_mul_f32_e32 v6, s31, v6
	v_mul_f32_e32 v8, v8, v2
	s_waitcnt vmcnt(0)
	v_lshlrev_b32_e32 v7, 16, v7
	v_mul_f32_e32 v6, v3, v6
	v_fma_f32 v6, v8, v7, -v6
	v_mul_f32_e32 v6, v4, v6
	v_bfe_u32 v7, v6, 16, 1
	v_add3_u32 v7, v6, v7, s11
	v_lshrrev_b32_e32 v7, 16, v7
	v_cmp_o_f32_e32 vcc, v6, v6
	s_nop 1
	v_cndmask_b32_e32 v8, v5, v7, vcc
	v_lshl_add_u64 v[6:7], v[0:1], 1, s[2:3]
	v_add_u32_e32 v0, s10, v0
	v_cmp_le_i32_e32 vcc, s30, v0
	s_or_b64 s[8:9], vcc, s[8:9]
	global_store_short v[6:7], v8, off
	s_andn2_b64 exec, exec, s[8:9]
	s_cbranch_execz .LBB186_31
.LBB186_29:                             ; =>This Inner Loop Header: Depth=1
	v_ashrrev_i32_e32 v1, 31, v0
	v_lshlrev_b64 v[8:9], 1, v[0:1]
	v_lshl_add_u64 v[6:7], s[4:5], 0, v[8:9]
	v_lshl_add_u64 v[8:9], s[12:13], 0, v[8:9]
	global_load_ushort v6, v[6:7], off
	s_and_b64 vcc, exec, s[0:1]
	global_load_ushort v7, v[8:9], off
	s_cbranch_vccz .LBB186_27
; %bb.30:                               ;   in Loop: Header=BB186_29 Depth=1
	v_mov_b32_e32 v8, 1.0
	s_branch .LBB186_28
.LBB186_31:
	s_endpgm
.LBB186_32:
	v_lshl_add_u32 v7, v7, 2, 0
	ds_read_b32 v8, v7
	s_or_b64 exec, exec, s[2:3]
	v_cmp_gt_u32_e32 vcc, 64, v0
	s_and_saveexec_b64 s[2:3], vcc
	s_cbranch_execz .LBB186_23
.LBB186_33:
	s_waitcnt lgkmcnt(0)
	ds_bpermute_b32 v2, v2, v8
	s_waitcnt lgkmcnt(0)
	v_add_f32_e32 v2, v8, v2
	ds_bpermute_b32 v1, v1, v2
	s_waitcnt lgkmcnt(0)
	v_add_f32_e32 v1, v2, v1
	;; [unrolled: 3-line block ×6, first 2 shown]
	s_or_b64 exec, exec, s[2:3]
	v_cmp_eq_u32_e32 vcc, 0, v0
	s_and_saveexec_b64 s[2:3], vcc
	s_cbranch_execnz .LBB186_24
	s_branch .LBB186_25
	.section	.rodata,"a",@progbits
	.p2align	6, 0x0
	.amdhsa_kernel _ZN2at6native12_GLOBAL__N_128layer_norm_grad_input_kernelIN3c108BFloat16EfLb1EEEvPKT_S7_PKT0_SA_S7_PS5_i
		.amdhsa_group_segment_fixed_size 0
		.amdhsa_private_segment_fixed_size 0
		.amdhsa_kernarg_size 312
		.amdhsa_user_sgpr_count 2
		.amdhsa_user_sgpr_dispatch_ptr 0
		.amdhsa_user_sgpr_queue_ptr 0
		.amdhsa_user_sgpr_kernarg_segment_ptr 1
		.amdhsa_user_sgpr_dispatch_id 0
		.amdhsa_user_sgpr_kernarg_preload_length 0
		.amdhsa_user_sgpr_kernarg_preload_offset 0
		.amdhsa_user_sgpr_private_segment_size 0
		.amdhsa_uses_dynamic_stack 0
		.amdhsa_enable_private_segment 0
		.amdhsa_system_sgpr_workgroup_id_x 1
		.amdhsa_system_sgpr_workgroup_id_y 0
		.amdhsa_system_sgpr_workgroup_id_z 0
		.amdhsa_system_sgpr_workgroup_info 0
		.amdhsa_system_vgpr_workitem_id 0
		.amdhsa_next_free_vgpr 20
		.amdhsa_next_free_sgpr 34
		.amdhsa_accum_offset 20
		.amdhsa_reserve_vcc 1
		.amdhsa_float_round_mode_32 0
		.amdhsa_float_round_mode_16_64 0
		.amdhsa_float_denorm_mode_32 3
		.amdhsa_float_denorm_mode_16_64 3
		.amdhsa_dx10_clamp 1
		.amdhsa_ieee_mode 1
		.amdhsa_fp16_overflow 0
		.amdhsa_tg_split 0
		.amdhsa_exception_fp_ieee_invalid_op 0
		.amdhsa_exception_fp_denorm_src 0
		.amdhsa_exception_fp_ieee_div_zero 0
		.amdhsa_exception_fp_ieee_overflow 0
		.amdhsa_exception_fp_ieee_underflow 0
		.amdhsa_exception_fp_ieee_inexact 0
		.amdhsa_exception_int_div_zero 0
	.end_amdhsa_kernel
	.section	.text._ZN2at6native12_GLOBAL__N_128layer_norm_grad_input_kernelIN3c108BFloat16EfLb1EEEvPKT_S7_PKT0_SA_S7_PS5_i,"axG",@progbits,_ZN2at6native12_GLOBAL__N_128layer_norm_grad_input_kernelIN3c108BFloat16EfLb1EEEvPKT_S7_PKT0_SA_S7_PS5_i,comdat
.Lfunc_end186:
	.size	_ZN2at6native12_GLOBAL__N_128layer_norm_grad_input_kernelIN3c108BFloat16EfLb1EEEvPKT_S7_PKT0_SA_S7_PS5_i, .Lfunc_end186-_ZN2at6native12_GLOBAL__N_128layer_norm_grad_input_kernelIN3c108BFloat16EfLb1EEEvPKT_S7_PKT0_SA_S7_PS5_i
                                        ; -- End function
	.section	.AMDGPU.csdata,"",@progbits
; Kernel info:
; codeLenInByte = 1712
; NumSgprs: 40
; NumVgprs: 20
; NumAgprs: 0
; TotalNumVgprs: 20
; ScratchSize: 0
; MemoryBound: 0
; FloatMode: 240
; IeeeMode: 1
; LDSByteSize: 0 bytes/workgroup (compile time only)
; SGPRBlocks: 4
; VGPRBlocks: 2
; NumSGPRsForWavesPerEU: 40
; NumVGPRsForWavesPerEU: 20
; AccumOffset: 20
; Occupancy: 8
; WaveLimiterHint : 0
; COMPUTE_PGM_RSRC2:SCRATCH_EN: 0
; COMPUTE_PGM_RSRC2:USER_SGPR: 2
; COMPUTE_PGM_RSRC2:TRAP_HANDLER: 0
; COMPUTE_PGM_RSRC2:TGID_X_EN: 1
; COMPUTE_PGM_RSRC2:TGID_Y_EN: 0
; COMPUTE_PGM_RSRC2:TGID_Z_EN: 0
; COMPUTE_PGM_RSRC2:TIDIG_COMP_CNT: 0
; COMPUTE_PGM_RSRC3_GFX90A:ACCUM_OFFSET: 4
; COMPUTE_PGM_RSRC3_GFX90A:TG_SPLIT: 0
	.section	.text._ZN2at6native12_GLOBAL__N_133GammaBetaBackwardSimpleCUDAKernelIN3c108BFloat16EfLb1EEEvllPKT_S7_PKT0_SA_PS5_SB_,"axG",@progbits,_ZN2at6native12_GLOBAL__N_133GammaBetaBackwardSimpleCUDAKernelIN3c108BFloat16EfLb1EEEvllPKT_S7_PKT0_SA_PS5_SB_,comdat
	.globl	_ZN2at6native12_GLOBAL__N_133GammaBetaBackwardSimpleCUDAKernelIN3c108BFloat16EfLb1EEEvllPKT_S7_PKT0_SA_PS5_SB_ ; -- Begin function _ZN2at6native12_GLOBAL__N_133GammaBetaBackwardSimpleCUDAKernelIN3c108BFloat16EfLb1EEEvllPKT_S7_PKT0_SA_PS5_SB_
	.p2align	8
	.type	_ZN2at6native12_GLOBAL__N_133GammaBetaBackwardSimpleCUDAKernelIN3c108BFloat16EfLb1EEEvllPKT_S7_PKT0_SA_PS5_SB_,@function
_ZN2at6native12_GLOBAL__N_133GammaBetaBackwardSimpleCUDAKernelIN3c108BFloat16EfLb1EEEvllPKT_S7_PKT0_SA_PS5_SB_: ; @_ZN2at6native12_GLOBAL__N_133GammaBetaBackwardSimpleCUDAKernelIN3c108BFloat16EfLb1EEEvllPKT_S7_PKT0_SA_PS5_SB_
; %bb.0:
	s_load_dword s3, s[0:1], 0x4c
	s_load_dwordx8 s[4:11], s[0:1], 0x0
	v_mov_b32_e32 v1, 0
	v_mov_b32_e32 v2, s2
	s_waitcnt lgkmcnt(0)
	s_and_b32 s3, s3, 0xffff
	v_mad_u64_u32 v[2:3], s[2:3], s3, v2, v[0:1]
	v_cmp_gt_i64_e32 vcc, s[6:7], v[2:3]
	s_and_saveexec_b64 s[2:3], vcc
	s_cbranch_execz .LBB187_8
; %bb.1:
	s_load_dwordx4 s[12:15], s[0:1], 0x28
	v_cmp_lt_i64_e64 s[0:1], s[4:5], 1
	s_and_b64 vcc, exec, s[0:1]
	s_cbranch_vccnz .LBB187_6
; %bb.2:
	s_waitcnt lgkmcnt(0)
	s_cmp_lg_u64 s[14:15], 0
	s_cselect_b64 s[0:1], -1, 0
	v_cndmask_b32_e64 v0, 0, 1, s[0:1]
	v_lshlrev_b64 v[4:5], 1, v[2:3]
	s_lshl_b64 s[2:3], s[6:7], 1
	v_mov_b32_e32 v1, 0
	v_cmp_ne_u32_e64 s[0:1], 1, v0
	s_branch .LBB187_4
.LBB187_3:                              ;   in Loop: Header=BB187_4 Depth=1
	s_add_u32 s4, s4, -1
	s_addc_u32 s5, s5, -1
	s_add_u32 s12, s12, 4
	s_addc_u32 s13, s13, 0
	v_add_f32_e32 v1, v1, v0
	s_cmp_eq_u64 s[4:5], 0
	v_lshl_add_u64 v[4:5], v[4:5], 0, s[2:3]
	s_cbranch_scc1 .LBB187_6
.LBB187_4:                              ; =>This Inner Loop Header: Depth=1
	s_and_b64 vcc, exec, s[0:1]
	v_mov_b32_e32 v0, 0
	s_cbranch_vccnz .LBB187_3
; %bb.5:                                ;   in Loop: Header=BB187_4 Depth=1
	v_lshl_add_u64 v[6:7], s[8:9], 0, v[4:5]
	v_lshl_add_u64 v[8:9], s[10:11], 0, v[4:5]
	global_load_ushort v0, v[6:7], off
	global_load_ushort v10, v[8:9], off
	s_load_dword s6, s[12:13], 0x0
	s_waitcnt vmcnt(1)
	v_lshlrev_b32_e32 v0, 16, v0
	s_waitcnt vmcnt(0)
	v_lshlrev_b32_e32 v6, 16, v10
	v_mul_f32_e32 v0, v6, v0
	s_waitcnt lgkmcnt(0)
	v_mul_f32_e32 v0, s6, v0
	s_branch .LBB187_3
.LBB187_6:
	s_waitcnt lgkmcnt(0)
	s_cmp_lg_u64 s[14:15], 0
	s_cbranch_scc0 .LBB187_8
; %bb.7:
	v_bfe_u32 v0, v1, 16, 1
	s_movk_i32 s0, 0x7fff
	v_add3_u32 v0, v1, v0, s0
	v_lshrrev_b32_e32 v0, 16, v0
	v_mov_b32_e32 v4, 0x7fc0
	v_cmp_o_f32_e32 vcc, v1, v1
	s_nop 1
	v_cndmask_b32_e32 v4, v4, v0, vcc
	v_lshl_add_u64 v[0:1], v[2:3], 1, s[14:15]
	global_store_short v[0:1], v4, off
.LBB187_8:
	s_endpgm
	.section	.rodata,"a",@progbits
	.p2align	6, 0x0
	.amdhsa_kernel _ZN2at6native12_GLOBAL__N_133GammaBetaBackwardSimpleCUDAKernelIN3c108BFloat16EfLb1EEEvllPKT_S7_PKT0_SA_PS5_SB_
		.amdhsa_group_segment_fixed_size 0
		.amdhsa_private_segment_fixed_size 0
		.amdhsa_kernarg_size 320
		.amdhsa_user_sgpr_count 2
		.amdhsa_user_sgpr_dispatch_ptr 0
		.amdhsa_user_sgpr_queue_ptr 0
		.amdhsa_user_sgpr_kernarg_segment_ptr 1
		.amdhsa_user_sgpr_dispatch_id 0
		.amdhsa_user_sgpr_kernarg_preload_length 0
		.amdhsa_user_sgpr_kernarg_preload_offset 0
		.amdhsa_user_sgpr_private_segment_size 0
		.amdhsa_uses_dynamic_stack 0
		.amdhsa_enable_private_segment 0
		.amdhsa_system_sgpr_workgroup_id_x 1
		.amdhsa_system_sgpr_workgroup_id_y 0
		.amdhsa_system_sgpr_workgroup_id_z 0
		.amdhsa_system_sgpr_workgroup_info 0
		.amdhsa_system_vgpr_workitem_id 0
		.amdhsa_next_free_vgpr 11
		.amdhsa_next_free_sgpr 16
		.amdhsa_accum_offset 12
		.amdhsa_reserve_vcc 1
		.amdhsa_float_round_mode_32 0
		.amdhsa_float_round_mode_16_64 0
		.amdhsa_float_denorm_mode_32 3
		.amdhsa_float_denorm_mode_16_64 3
		.amdhsa_dx10_clamp 1
		.amdhsa_ieee_mode 1
		.amdhsa_fp16_overflow 0
		.amdhsa_tg_split 0
		.amdhsa_exception_fp_ieee_invalid_op 0
		.amdhsa_exception_fp_denorm_src 0
		.amdhsa_exception_fp_ieee_div_zero 0
		.amdhsa_exception_fp_ieee_overflow 0
		.amdhsa_exception_fp_ieee_underflow 0
		.amdhsa_exception_fp_ieee_inexact 0
		.amdhsa_exception_int_div_zero 0
	.end_amdhsa_kernel
	.section	.text._ZN2at6native12_GLOBAL__N_133GammaBetaBackwardSimpleCUDAKernelIN3c108BFloat16EfLb1EEEvllPKT_S7_PKT0_SA_PS5_SB_,"axG",@progbits,_ZN2at6native12_GLOBAL__N_133GammaBetaBackwardSimpleCUDAKernelIN3c108BFloat16EfLb1EEEvllPKT_S7_PKT0_SA_PS5_SB_,comdat
.Lfunc_end187:
	.size	_ZN2at6native12_GLOBAL__N_133GammaBetaBackwardSimpleCUDAKernelIN3c108BFloat16EfLb1EEEvllPKT_S7_PKT0_SA_PS5_SB_, .Lfunc_end187-_ZN2at6native12_GLOBAL__N_133GammaBetaBackwardSimpleCUDAKernelIN3c108BFloat16EfLb1EEEvllPKT_S7_PKT0_SA_PS5_SB_
                                        ; -- End function
	.section	.AMDGPU.csdata,"",@progbits
; Kernel info:
; codeLenInByte = 324
; NumSgprs: 22
; NumVgprs: 11
; NumAgprs: 0
; TotalNumVgprs: 11
; ScratchSize: 0
; MemoryBound: 0
; FloatMode: 240
; IeeeMode: 1
; LDSByteSize: 0 bytes/workgroup (compile time only)
; SGPRBlocks: 2
; VGPRBlocks: 1
; NumSGPRsForWavesPerEU: 22
; NumVGPRsForWavesPerEU: 11
; AccumOffset: 12
; Occupancy: 8
; WaveLimiterHint : 0
; COMPUTE_PGM_RSRC2:SCRATCH_EN: 0
; COMPUTE_PGM_RSRC2:USER_SGPR: 2
; COMPUTE_PGM_RSRC2:TRAP_HANDLER: 0
; COMPUTE_PGM_RSRC2:TGID_X_EN: 1
; COMPUTE_PGM_RSRC2:TGID_Y_EN: 0
; COMPUTE_PGM_RSRC2:TGID_Z_EN: 0
; COMPUTE_PGM_RSRC2:TIDIG_COMP_CNT: 0
; COMPUTE_PGM_RSRC3_GFX90A:ACCUM_OFFSET: 2
; COMPUTE_PGM_RSRC3_GFX90A:TG_SPLIT: 0
	.section	.text._ZN2at6native12_GLOBAL__N_135GammaBetaBackwardCUDAKernelTemplateIN3c108BFloat16EfLj64ELj1ELj32ELb1ELb1ELb1EEEvllPKT_S7_PKT0_SA_PS5_SB_,"axG",@progbits,_ZN2at6native12_GLOBAL__N_135GammaBetaBackwardCUDAKernelTemplateIN3c108BFloat16EfLj64ELj1ELj32ELb1ELb1ELb1EEEvllPKT_S7_PKT0_SA_PS5_SB_,comdat
	.globl	_ZN2at6native12_GLOBAL__N_135GammaBetaBackwardCUDAKernelTemplateIN3c108BFloat16EfLj64ELj1ELj32ELb1ELb1ELb1EEEvllPKT_S7_PKT0_SA_PS5_SB_ ; -- Begin function _ZN2at6native12_GLOBAL__N_135GammaBetaBackwardCUDAKernelTemplateIN3c108BFloat16EfLj64ELj1ELj32ELb1ELb1ELb1EEEvllPKT_S7_PKT0_SA_PS5_SB_
	.p2align	8
	.type	_ZN2at6native12_GLOBAL__N_135GammaBetaBackwardCUDAKernelTemplateIN3c108BFloat16EfLj64ELj1ELj32ELb1ELb1ELb1EEEvllPKT_S7_PKT0_SA_PS5_SB_,@function
_ZN2at6native12_GLOBAL__N_135GammaBetaBackwardCUDAKernelTemplateIN3c108BFloat16EfLj64ELj1ELj32ELb1ELb1ELb1EEEvllPKT_S7_PKT0_SA_PS5_SB_: ; @_ZN2at6native12_GLOBAL__N_135GammaBetaBackwardCUDAKernelTemplateIN3c108BFloat16EfLj64ELj1ELj32ELb1ELb1ELb1EEEvllPKT_S7_PKT0_SA_PS5_SB_
; %bb.0:
	s_load_dwordx4 s[8:11], s[0:1], 0x0
	s_load_dwordx2 s[16:17], s[0:1], 0x30
	s_lshl_b32 s18, s3, 5
	s_mov_b32 s19, 0
	s_mov_b32 s6, s3
	s_waitcnt lgkmcnt(0)
	v_mov_b64_e32 v[2:3], s[8:9]
	v_cmp_ge_i64_e32 vcc, s[18:19], v[2:3]
	v_mov_b32_e32 v13, 0
	v_bfe_u32 v2, v0, 10, 10
	s_cbranch_vccnz .LBB188_7
; %bb.1:
	s_load_dword s3, s[0:1], 0x4c
	s_load_dword s7, s[0:1], 0x44
	s_load_dwordx4 s[12:15], s[0:1], 0x10
	s_load_dwordx2 s[22:23], s[0:1], 0x28
	v_and_b32_e32 v1, 0x3ff, v0
	s_waitcnt lgkmcnt(0)
	s_and_b32 s3, s3, 0xffff
	v_mad_u32_u24 v3, v2, s3, v1
	v_lshlrev_b32_e32 v12, 5, v2
	v_mov_b32_e32 v13, 0
	v_lshl_or_b32 v8, s2, 6, v1
	v_mbcnt_lo_u32_b32 v1, -1, 0
	v_and_b32_e32 v4, 63, v3
	v_mov_b32_e32 v5, v13
	v_mbcnt_hi_u32_b32 v1, -1, v1
	s_lshl_b32 s20, s7, 5
	v_lshl_add_u64 v[10:11], v[12:13], 0, s[18:19]
	v_cmp_gt_u32_e64 s[4:5], 32, v4
	v_mov_b32_e32 v9, v13
	v_lshlrev_b32_e32 v1, 2, v1
	v_lshl_add_u64 v[4:5], v[10:11], 0, v[4:5]
	v_mul_lo_u32 v12, s11, v10
	v_mul_lo_u32 v44, s10, v11
	v_mad_u64_u32 v[10:11], s[24:25], s10, v10, 0
	s_mul_i32 s3, s11, s20
	s_mul_hi_u32 s7, s10, s20
	v_and_b32_e32 v1, 0x100, v1
	s_mov_b32 s21, s19
	v_add3_u32 v11, v11, v44, v12
	v_lshlrev_b64 v[8:9], 1, v[8:9]
	s_add_i32 s25, s7, s3
	s_mul_i32 s24, s10, s20
	v_or_b32_e32 v3, 4, v1
	v_or_b32_e32 v14, 8, v1
	;; [unrolled: 1-line block ×31, first 2 shown]
	v_lshl_add_u64 v[6:7], v[4:5], 2, s[22:23]
	s_lshl_b64 s[22:23], s[20:21], 2
	v_lshl_add_u64 v[8:9], v[10:11], 1, v[8:9]
	s_lshl_b64 s[24:25], s[24:25], 1
	s_lshl_b64 s[26:27], s[10:11], 1
	v_mov_b64_e32 v[10:11], s[8:9]
	s_branch .LBB188_4
.LBB188_2:                              ;   in Loop: Header=BB188_4 Depth=1
	s_or_b64 exec, exec, s[30:31]
.LBB188_3:                              ;   in Loop: Header=BB188_4 Depth=1
	s_or_b64 exec, exec, s[28:29]
	v_lshl_add_u64 v[44:45], s[12:13], 0, v[8:9]
	v_lshl_add_u64 v[46:47], s[14:15], 0, v[8:9]
	global_load_ushort v48, v[44:45], off
	global_load_ushort v49, v[46:47], off
	v_lshl_add_u64 v[44:45], v[44:45], 0, s[26:27]
	v_lshl_add_u64 v[46:47], v[46:47], 0, s[26:27]
	global_load_ushort v50, v[44:45], off
	global_load_ushort v51, v[46:47], off
	;; [unrolled: 4-line block ×6, first 2 shown]
	s_waitcnt vmcnt(12)
	ds_bpermute_b32 v60, v1, v12
	v_lshl_add_u64 v[44:45], v[44:45], 0, s[26:27]
	v_lshl_add_u64 v[46:47], v[46:47], 0, s[26:27]
	s_add_u32 s18, s18, s20
	s_addc_u32 s19, s19, 0
	v_cmp_lt_i64_e32 vcc, s[18:19], v[10:11]
	v_lshl_add_u64 v[6:7], v[6:7], 0, s[22:23]
	v_lshl_add_u64 v[4:5], v[4:5], 0, s[20:21]
	v_lshl_add_u64 v[8:9], v[8:9], 0, s[24:25]
	s_and_b64 vcc, exec, vcc
	s_waitcnt vmcnt(11)
	v_lshlrev_b32_e32 v48, 16, v48
	s_waitcnt vmcnt(10)
	v_lshlrev_b32_e32 v49, 16, v49
	v_mul_f32_e32 v48, v48, v49
	ds_bpermute_b32 v49, v3, v12
	s_waitcnt vmcnt(9)
	v_lshlrev_b32_e32 v50, 16, v50
	s_waitcnt vmcnt(8)
	v_lshlrev_b32_e32 v51, 16, v51
	s_waitcnt lgkmcnt(1)
	v_fmac_f32_e32 v13, v48, v60
	v_mul_f32_e32 v50, v50, v51
	global_load_ushort v51, v[44:45], off
	s_waitcnt lgkmcnt(0)
	v_fmac_f32_e32 v13, v50, v49
	global_load_ushort v49, v[46:47], off
	ds_bpermute_b32 v48, v14, v12
	ds_bpermute_b32 v60, v15, v12
	v_lshl_add_u64 v[44:45], v[44:45], 0, s[26:27]
	v_lshl_add_u64 v[46:47], v[46:47], 0, s[26:27]
	s_waitcnt vmcnt(9)
	v_lshlrev_b32_e32 v52, 16, v52
	s_waitcnt vmcnt(8)
	v_lshlrev_b32_e32 v53, 16, v53
	global_load_ushort v50, v[44:45], off
	v_mul_f32_e32 v52, v52, v53
	global_load_ushort v53, v[46:47], off
	s_waitcnt vmcnt(9)
	v_lshlrev_b32_e32 v54, 16, v54
	s_waitcnt vmcnt(8)
	v_lshlrev_b32_e32 v55, 16, v55
	s_waitcnt lgkmcnt(1)
	v_fmac_f32_e32 v13, v52, v48
	v_mul_f32_e32 v54, v54, v55
	v_lshl_add_u64 v[44:45], v[44:45], 0, s[26:27]
	s_waitcnt lgkmcnt(0)
	v_fmac_f32_e32 v13, v54, v60
	ds_bpermute_b32 v60, v16, v12
	v_lshl_add_u64 v[46:47], v[46:47], 0, s[26:27]
	global_load_ushort v48, v[44:45], off
	global_load_ushort v52, v[46:47], off
	v_lshl_add_u64 v[44:45], v[44:45], 0, s[26:27]
	s_waitcnt vmcnt(9)
	v_lshlrev_b32_e32 v56, 16, v56
	s_waitcnt vmcnt(8)
	v_lshlrev_b32_e32 v57, 16, v57
	v_lshl_add_u64 v[46:47], v[46:47], 0, s[26:27]
	global_load_ushort v55, v[44:45], off
	v_mul_f32_e32 v56, v56, v57
	v_lshl_add_u64 v[44:45], v[44:45], 0, s[26:27]
	global_load_ushort v54, v[46:47], off
	v_lshl_add_u64 v[46:47], v[46:47], 0, s[26:27]
	s_waitcnt lgkmcnt(0)
	v_fmac_f32_e32 v13, v56, v60
	global_load_ushort v56, v[44:45], off
	global_load_ushort v60, v[46:47], off
	ds_bpermute_b32 v57, v17, v12
	s_waitcnt vmcnt(11)
	v_lshlrev_b32_e32 v58, 16, v58
	s_waitcnt vmcnt(10)
	v_lshlrev_b32_e32 v59, 16, v59
	v_lshl_add_u64 v[44:45], v[44:45], 0, s[26:27]
	v_lshl_add_u64 v[46:47], v[46:47], 0, s[26:27]
	v_mul_f32_e32 v58, v58, v59
	global_load_ushort v59, v[44:45], off
	s_waitcnt lgkmcnt(0)
	v_fmac_f32_e32 v13, v58, v57
	global_load_ushort v57, v[46:47], off
	ds_bpermute_b32 v58, v18, v12
	v_lshl_add_u64 v[44:45], v[44:45], 0, s[26:27]
	v_lshl_add_u64 v[46:47], v[46:47], 0, s[26:27]
	s_waitcnt vmcnt(11)
	v_lshlrev_b32_e32 v51, 16, v51
	s_waitcnt vmcnt(10)
	v_lshlrev_b32_e32 v49, 16, v49
	v_mul_f32_e32 v49, v51, v49
	s_waitcnt lgkmcnt(0)
	v_fmac_f32_e32 v13, v49, v58
	ds_bpermute_b32 v58, v19, v12
	global_load_ushort v51, v[44:45], off
	global_load_ushort v49, v[46:47], off
	v_lshl_add_u64 v[44:45], v[44:45], 0, s[26:27]
	s_waitcnt vmcnt(11)
	v_lshlrev_b32_e32 v50, 16, v50
	v_lshl_add_u64 v[46:47], v[46:47], 0, s[26:27]
	s_waitcnt vmcnt(10)
	v_lshlrev_b32_e32 v53, 16, v53
	v_mul_f32_e32 v50, v50, v53
	s_waitcnt lgkmcnt(0)
	v_fmac_f32_e32 v13, v50, v58
	ds_bpermute_b32 v58, v20, v12
	global_load_ushort v53, v[44:45], off
	global_load_ushort v50, v[46:47], off
	v_lshl_add_u64 v[44:45], v[44:45], 0, s[26:27]
	v_lshl_add_u64 v[46:47], v[46:47], 0, s[26:27]
	s_waitcnt vmcnt(11)
	v_lshlrev_b32_e32 v48, 16, v48
	s_waitcnt vmcnt(10)
	v_lshlrev_b32_e32 v52, 16, v52
	v_mul_f32_e32 v48, v48, v52
	s_waitcnt lgkmcnt(0)
	v_fmac_f32_e32 v13, v48, v58
	ds_bpermute_b32 v58, v21, v12
	global_load_ushort v52, v[44:45], off
	s_waitcnt vmcnt(10)
	v_lshlrev_b32_e32 v55, 16, v55
	global_load_ushort v48, v[46:47], off
	v_lshl_add_u64 v[44:45], v[44:45], 0, s[26:27]
	s_waitcnt vmcnt(10)
	v_lshlrev_b32_e32 v54, 16, v54
	v_mul_f32_e32 v54, v55, v54
	s_waitcnt vmcnt(9)
	v_lshlrev_b32_e32 v56, 16, v56
	s_waitcnt vmcnt(8)
	v_lshlrev_b32_e32 v60, 16, v60
	v_mul_f32_e32 v56, v56, v60
	ds_bpermute_b32 v60, v22, v12
	v_lshl_add_u64 v[46:47], v[46:47], 0, s[26:27]
	global_load_ushort v55, v[44:45], off
	s_waitcnt lgkmcnt(1)
	v_fmac_f32_e32 v13, v54, v58
	global_load_ushort v54, v[46:47], off
	v_lshl_add_u64 v[44:45], v[44:45], 0, s[26:27]
	global_load_ushort v58, v[44:45], off
	s_waitcnt vmcnt(10)
	v_lshlrev_b32_e32 v59, 16, v59
	s_waitcnt vmcnt(9)
	v_lshlrev_b32_e32 v57, 16, v57
	v_lshl_add_u64 v[46:47], v[46:47], 0, s[26:27]
	s_waitcnt lgkmcnt(0)
	v_fmac_f32_e32 v13, v56, v60
	ds_bpermute_b32 v60, v23, v12
	v_lshl_add_u64 v[44:45], v[44:45], 0, s[26:27]
	global_load_ushort v56, v[46:47], off
	v_mul_f32_e32 v57, v59, v57
	global_load_ushort v59, v[44:45], off
	v_lshl_add_u64 v[46:47], v[46:47], 0, s[26:27]
	s_waitcnt lgkmcnt(0)
	v_fmac_f32_e32 v13, v57, v60
	global_load_ushort v57, v[46:47], off
	ds_bpermute_b32 v60, v24, v12
	v_lshl_add_u64 v[46:47], v[46:47], 0, s[26:27]
	v_lshl_add_u64 v[44:45], v[44:45], 0, s[26:27]
	global_load_ushort v61, v[44:45], off
	v_lshl_add_u64 v[44:45], v[44:45], 0, s[26:27]
	s_waitcnt vmcnt(12)
	v_lshlrev_b32_e32 v51, 16, v51
	s_waitcnt vmcnt(11)
	v_lshlrev_b32_e32 v49, 16, v49
	v_mul_f32_e32 v49, v51, v49
	s_waitcnt lgkmcnt(0)
	v_fmac_f32_e32 v13, v49, v60
	ds_bpermute_b32 v49, v25, v12
	global_load_ushort v60, v[46:47], off
	v_lshl_add_u64 v[46:47], v[46:47], 0, s[26:27]
	global_load_ushort v62, v[46:47], off
	v_lshl_add_u64 v[46:47], v[46:47], 0, s[26:27]
	s_waitcnt vmcnt(12)
	v_lshlrev_b32_e32 v53, 16, v53
	s_waitcnt vmcnt(11)
	v_lshlrev_b32_e32 v50, 16, v50
	v_mul_f32_e32 v50, v53, v50
	s_waitcnt lgkmcnt(0)
	v_fmac_f32_e32 v13, v50, v49
	ds_bpermute_b32 v49, v26, v12
	ds_bpermute_b32 v50, v27, v12
	global_load_ushort v53, v[44:45], off
	v_lshl_add_u64 v[44:45], v[44:45], 0, s[26:27]
	s_waitcnt vmcnt(11)
	v_lshlrev_b32_e32 v52, 16, v52
	s_waitcnt vmcnt(10)
	v_lshlrev_b32_e32 v48, 16, v48
	v_mul_f32_e32 v48, v52, v48
	s_waitcnt lgkmcnt(1)
	v_fmac_f32_e32 v13, v48, v49
	v_lshl_add_u64 v[48:49], v[44:45], 0, s[26:27]
	s_waitcnt vmcnt(9)
	v_lshlrev_b32_e32 v55, 16, v55
	s_waitcnt vmcnt(8)
	v_lshlrev_b32_e32 v54, 16, v54
	v_mul_f32_e32 v51, v55, v54
	s_waitcnt lgkmcnt(0)
	v_fmac_f32_e32 v13, v51, v50
	v_lshl_add_u64 v[50:51], v[46:47], 0, s[26:27]
	global_load_ushort v52, v[44:45], off
	global_load_ushort v54, v[48:49], off
	;; [unrolled: 1-line block ×4, first 2 shown]
	s_waitcnt vmcnt(11)
	v_lshlrev_b32_e32 v58, 16, v58
	v_lshl_add_u64 v[44:45], v[48:49], 0, s[26:27]
	s_waitcnt vmcnt(10)
	v_lshlrev_b32_e32 v46, 16, v56
	v_mul_f32_e32 v48, v58, v46
	s_waitcnt vmcnt(9)
	v_lshlrev_b32_e32 v56, 16, v59
	ds_bpermute_b32 v59, v28, v12
	ds_bpermute_b32 v58, v29, v12
	s_waitcnt vmcnt(8)
	v_lshlrev_b32_e32 v57, 16, v57
	v_lshl_add_u64 v[46:47], v[50:51], 0, s[26:27]
	v_mul_f32_e32 v50, v56, v57
	s_waitcnt lgkmcnt(1)
	v_fmac_f32_e32 v13, v48, v59
	v_lshl_add_u64 v[48:49], v[44:45], 0, s[26:27]
	s_waitcnt lgkmcnt(0)
	v_fmac_f32_e32 v13, v50, v58
	v_lshl_add_u64 v[50:51], v[46:47], 0, s[26:27]
	global_load_ushort v58, v[44:45], off
	global_load_ushort v59, v[48:49], off
	;; [unrolled: 1-line block ×4, first 2 shown]
	ds_bpermute_b32 v57, v30, v12
	s_waitcnt vmcnt(11)
	v_lshlrev_b32_e32 v46, 16, v61
	v_lshl_add_u64 v[44:45], v[48:49], 0, s[26:27]
	s_waitcnt vmcnt(10)
	v_lshlrev_b32_e32 v47, 16, v60
	ds_bpermute_b32 v60, v31, v12
	s_waitcnt vmcnt(9)
	v_lshlrev_b32_e32 v56, 16, v62
	v_mul_f32_e32 v48, v46, v47
	v_lshl_add_u64 v[46:47], v[50:51], 0, s[26:27]
	s_waitcnt lgkmcnt(1)
	v_fmac_f32_e32 v13, v48, v57
	v_lshl_add_u64 v[48:49], v[44:45], 0, s[26:27]
	ds_bpermute_b32 v51, v33, v12
	s_waitcnt vmcnt(8)
	v_lshlrev_b32_e32 v53, 16, v53
	v_mul_f32_e32 v50, v53, v56
	s_waitcnt lgkmcnt(1)
	v_fmac_f32_e32 v13, v50, v60
	ds_bpermute_b32 v50, v32, v12
	global_load_ushort v60, v[48:49], off
	global_load_ushort v61, v[44:45], off
	s_waitcnt vmcnt(9)
	v_lshlrev_b32_e32 v52, 16, v52
	s_waitcnt vmcnt(8)
	v_lshlrev_b32_e32 v53, 16, v54
	s_waitcnt vmcnt(7)
	v_lshlrev_b32_e32 v54, 16, v55
	s_waitcnt vmcnt(6)
	v_lshlrev_b32_e32 v55, 16, v63
	v_pk_mul_f32 v[52:53], v[52:53], v[54:55]
	v_lshl_add_u64 v[54:55], v[46:47], 0, s[26:27]
	global_load_ushort v62, v[54:55], off
	global_load_ushort v63, v[46:47], off
	s_waitcnt lgkmcnt(0)
	v_pk_mul_f32 v[50:51], v[52:53], v[50:51]
	v_lshl_add_u64 v[52:53], v[48:49], 0, s[26:27]
	v_add_f32_e32 v13, v13, v50
	v_lshl_add_u64 v[56:57], v[54:55], 0, s[26:27]
	v_lshl_add_u64 v[44:45], v[52:53], 0, s[26:27]
	;; [unrolled: 1-line block ×3, first 2 shown]
	v_add_f32_e32 v13, v13, v51
	v_lshl_add_u64 v[54:55], v[44:45], 0, s[26:27]
	s_waitcnt vmcnt(7)
	v_lshlrev_b32_e32 v48, 16, v58
	s_waitcnt vmcnt(6)
	v_lshlrev_b32_e32 v49, 16, v59
	;; [unrolled: 2-line block ×4, first 2 shown]
	v_pk_mul_f32 v[48:49], v[48:49], v[50:51]
	ds_bpermute_b32 v50, v34, v12
	ds_bpermute_b32 v51, v35, v12
	global_load_ushort v58, v[44:45], off
	global_load_ushort v59, v[52:53], off
	s_nop 0
	global_load_ushort v52, v[46:47], off
	global_load_ushort v53, v[56:57], off
	v_lshl_add_u64 v[44:45], v[46:47], 0, s[26:27]
	v_lshl_add_u64 v[46:47], v[54:55], 0, s[26:27]
	s_waitcnt lgkmcnt(0)
	v_pk_mul_f32 v[48:49], v[48:49], v[50:51]
	v_lshl_add_u64 v[50:51], v[46:47], 0, s[26:27]
	global_load_ushort v56, v[46:47], off
	global_load_ushort v57, v[54:55], off
	v_lshl_add_u64 v[46:47], v[50:51], 0, s[26:27]
	global_load_ushort v54, v[46:47], off
	global_load_ushort v55, v[44:45], off
	;; [unrolled: 3-line block ×3, first 2 shown]
	v_lshl_add_u64 v[44:45], v[44:45], 0, s[26:27]
	global_load_ushort v50, v[44:45], off
	v_lshl_add_u64 v[44:45], v[44:45], 0, s[26:27]
	global_load_ushort v51, v[44:45], off
	v_add_f32_e32 v13, v13, v48
	v_add_f32_e32 v13, v13, v49
	ds_bpermute_b32 v48, v36, v12
	ds_bpermute_b32 v49, v37, v12
	s_waitcnt vmcnt(15)
	v_lshlrev_b32_e32 v45, 16, v60
	s_waitcnt vmcnt(14)
	v_lshlrev_b32_e32 v44, 16, v61
	;; [unrolled: 2-line block ×4, first 2 shown]
	v_pk_mul_f32 v[44:45], v[44:45], v[46:47]
	s_waitcnt vmcnt(11)
	v_lshlrev_b32_e32 v47, 16, v58
	s_waitcnt lgkmcnt(0)
	v_pk_mul_f32 v[44:45], v[44:45], v[48:49]
	s_waitcnt vmcnt(10)
	v_lshlrev_b32_e32 v46, 16, v59
	v_add_f32_e32 v13, v13, v44
	v_add_f32_e32 v13, v13, v45
	ds_bpermute_b32 v44, v38, v12
	ds_bpermute_b32 v45, v39, v12
	s_waitcnt vmcnt(8)
	v_lshlrev_b32_e32 v48, 16, v53
	v_lshlrev_b32_e32 v49, 16, v52
	v_pk_mul_f32 v[46:47], v[46:47], v[48:49]
	s_waitcnt vmcnt(4)
	v_lshlrev_b32_e32 v48, 16, v55
	s_waitcnt lgkmcnt(0)
	v_pk_mul_f32 v[44:45], v[46:47], v[44:45]
	v_lshlrev_b32_e32 v46, 16, v57
	v_add_f32_e32 v13, v13, v44
	v_add_f32_e32 v13, v13, v45
	ds_bpermute_b32 v44, v40, v12
	ds_bpermute_b32 v45, v41, v12
	v_lshlrev_b32_e32 v47, 16, v56
	s_waitcnt vmcnt(2)
	v_lshlrev_b32_e32 v49, 16, v65
	v_pk_mul_f32 v[46:47], v[46:47], v[48:49]
	s_waitcnt lgkmcnt(0)
	v_pk_mul_f32 v[44:45], v[46:47], v[44:45]
	s_waitcnt vmcnt(1)
	v_lshlrev_b32_e32 v46, 16, v50
	v_add_f32_e32 v13, v13, v44
	v_add_f32_e32 v48, v13, v45
	ds_bpermute_b32 v44, v42, v12
	ds_bpermute_b32 v45, v43, v12
	v_lshlrev_b32_e32 v12, 16, v64
	v_lshlrev_b32_e32 v13, 16, v54
	s_waitcnt vmcnt(0)
	v_lshlrev_b32_e32 v47, 16, v51
	v_pk_mul_f32 v[12:13], v[12:13], v[46:47]
	s_waitcnt lgkmcnt(0)
	v_pk_mul_f32 v[12:13], v[12:13], v[44:45]
	s_nop 0
	v_add_f32_e32 v12, v48, v12
	v_add_f32_e32 v13, v12, v13
	s_cbranch_vccz .LBB188_7
.LBB188_4:                              ; =>This Inner Loop Header: Depth=1
	v_mov_b32_e32 v12, 0
	s_and_saveexec_b64 s[28:29], s[4:5]
	s_cbranch_execz .LBB188_3
; %bb.5:                                ;   in Loop: Header=BB188_4 Depth=1
	v_cmp_gt_i64_e32 vcc, s[8:9], v[4:5]
	v_mov_b32_e32 v12, 0
	s_and_saveexec_b64 s[30:31], vcc
	s_cbranch_execz .LBB188_2
; %bb.6:                                ;   in Loop: Header=BB188_4 Depth=1
	global_load_dword v12, v[6:7], off
	s_branch .LBB188_2
.LBB188_7:
	s_cmp_eq_u64 s[16:17], 0
	s_cbranch_scc1 .LBB188_9
; %bb.8:
	s_load_dword s0, s[0:1], 0x4c
	v_mov_b32_e32 v3, 0
	v_mov_b32_e32 v1, s6
	v_cmp_o_f32_e32 vcc, v13, v13
	s_mov_b32 s3, 0
	s_waitcnt lgkmcnt(0)
	s_lshr_b32 s0, s0, 16
	v_mad_u64_u32 v[4:5], s[0:1], s0, v1, v[2:3]
	v_bfe_u32 v1, v13, 16, 1
	s_movk_i32 s0, 0x7fff
	v_add3_u32 v1, v13, v1, s0
	v_lshrrev_b32_e32 v1, 16, v1
	v_mov_b32_e32 v2, 0x7fc0
	v_cndmask_b32_e32 v6, v2, v1, vcc
	v_mul_lo_u32 v1, v5, s10
	v_mul_lo_u32 v2, v4, s11
	v_mad_u64_u32 v[4:5], s[0:1], v4, s10, 0
	s_lshl_b64 s[0:1], s[2:3], 7
	s_add_u32 s0, s0, s16
	v_add3_u32 v5, v5, v2, v1
	s_addc_u32 s1, s1, s17
	v_and_b32_e32 v0, 0x3ff, v0
	v_lshl_add_u64 v[4:5], v[4:5], 1, s[0:1]
	v_lshlrev_b32_e32 v2, 1, v0
	v_lshl_add_u64 v[0:1], v[4:5], 0, v[2:3]
	global_store_short v[0:1], v6, off
.LBB188_9:
	s_endpgm
	.section	.rodata,"a",@progbits
	.p2align	6, 0x0
	.amdhsa_kernel _ZN2at6native12_GLOBAL__N_135GammaBetaBackwardCUDAKernelTemplateIN3c108BFloat16EfLj64ELj1ELj32ELb1ELb1ELb1EEEvllPKT_S7_PKT0_SA_PS5_SB_
		.amdhsa_group_segment_fixed_size 0
		.amdhsa_private_segment_fixed_size 0
		.amdhsa_kernarg_size 320
		.amdhsa_user_sgpr_count 2
		.amdhsa_user_sgpr_dispatch_ptr 0
		.amdhsa_user_sgpr_queue_ptr 0
		.amdhsa_user_sgpr_kernarg_segment_ptr 1
		.amdhsa_user_sgpr_dispatch_id 0
		.amdhsa_user_sgpr_kernarg_preload_length 0
		.amdhsa_user_sgpr_kernarg_preload_offset 0
		.amdhsa_user_sgpr_private_segment_size 0
		.amdhsa_uses_dynamic_stack 0
		.amdhsa_enable_private_segment 0
		.amdhsa_system_sgpr_workgroup_id_x 1
		.amdhsa_system_sgpr_workgroup_id_y 1
		.amdhsa_system_sgpr_workgroup_id_z 0
		.amdhsa_system_sgpr_workgroup_info 0
		.amdhsa_system_vgpr_workitem_id 1
		.amdhsa_next_free_vgpr 66
		.amdhsa_next_free_sgpr 32
		.amdhsa_accum_offset 68
		.amdhsa_reserve_vcc 1
		.amdhsa_float_round_mode_32 0
		.amdhsa_float_round_mode_16_64 0
		.amdhsa_float_denorm_mode_32 3
		.amdhsa_float_denorm_mode_16_64 3
		.amdhsa_dx10_clamp 1
		.amdhsa_ieee_mode 1
		.amdhsa_fp16_overflow 0
		.amdhsa_tg_split 0
		.amdhsa_exception_fp_ieee_invalid_op 0
		.amdhsa_exception_fp_denorm_src 0
		.amdhsa_exception_fp_ieee_div_zero 0
		.amdhsa_exception_fp_ieee_overflow 0
		.amdhsa_exception_fp_ieee_underflow 0
		.amdhsa_exception_fp_ieee_inexact 0
		.amdhsa_exception_int_div_zero 0
	.end_amdhsa_kernel
	.section	.text._ZN2at6native12_GLOBAL__N_135GammaBetaBackwardCUDAKernelTemplateIN3c108BFloat16EfLj64ELj1ELj32ELb1ELb1ELb1EEEvllPKT_S7_PKT0_SA_PS5_SB_,"axG",@progbits,_ZN2at6native12_GLOBAL__N_135GammaBetaBackwardCUDAKernelTemplateIN3c108BFloat16EfLj64ELj1ELj32ELb1ELb1ELb1EEEvllPKT_S7_PKT0_SA_PS5_SB_,comdat
.Lfunc_end188:
	.size	_ZN2at6native12_GLOBAL__N_135GammaBetaBackwardCUDAKernelTemplateIN3c108BFloat16EfLj64ELj1ELj32ELb1ELb1ELb1EEEvllPKT_S7_PKT0_SA_PS5_SB_, .Lfunc_end188-_ZN2at6native12_GLOBAL__N_135GammaBetaBackwardCUDAKernelTemplateIN3c108BFloat16EfLj64ELj1ELj32ELb1ELb1ELb1EEEvllPKT_S7_PKT0_SA_PS5_SB_
                                        ; -- End function
	.section	.AMDGPU.csdata,"",@progbits
; Kernel info:
; codeLenInByte = 2932
; NumSgprs: 38
; NumVgprs: 66
; NumAgprs: 0
; TotalNumVgprs: 66
; ScratchSize: 0
; MemoryBound: 0
; FloatMode: 240
; IeeeMode: 1
; LDSByteSize: 0 bytes/workgroup (compile time only)
; SGPRBlocks: 4
; VGPRBlocks: 8
; NumSGPRsForWavesPerEU: 38
; NumVGPRsForWavesPerEU: 66
; AccumOffset: 68
; Occupancy: 7
; WaveLimiterHint : 0
; COMPUTE_PGM_RSRC2:SCRATCH_EN: 0
; COMPUTE_PGM_RSRC2:USER_SGPR: 2
; COMPUTE_PGM_RSRC2:TRAP_HANDLER: 0
; COMPUTE_PGM_RSRC2:TGID_X_EN: 1
; COMPUTE_PGM_RSRC2:TGID_Y_EN: 1
; COMPUTE_PGM_RSRC2:TGID_Z_EN: 0
; COMPUTE_PGM_RSRC2:TIDIG_COMP_CNT: 1
; COMPUTE_PGM_RSRC3_GFX90A:ACCUM_OFFSET: 16
; COMPUTE_PGM_RSRC3_GFX90A:TG_SPLIT: 0
	.section	.text._ZN2at6native12_GLOBAL__N_135GammaBetaBackwardCUDAKernelTemplateIN3c108BFloat16EfLj64ELj1ELj32ELb1ELb0ELb1EEEvllPKT_S7_PKT0_SA_PS5_SB_,"axG",@progbits,_ZN2at6native12_GLOBAL__N_135GammaBetaBackwardCUDAKernelTemplateIN3c108BFloat16EfLj64ELj1ELj32ELb1ELb0ELb1EEEvllPKT_S7_PKT0_SA_PS5_SB_,comdat
	.globl	_ZN2at6native12_GLOBAL__N_135GammaBetaBackwardCUDAKernelTemplateIN3c108BFloat16EfLj64ELj1ELj32ELb1ELb0ELb1EEEvllPKT_S7_PKT0_SA_PS5_SB_ ; -- Begin function _ZN2at6native12_GLOBAL__N_135GammaBetaBackwardCUDAKernelTemplateIN3c108BFloat16EfLj64ELj1ELj32ELb1ELb0ELb1EEEvllPKT_S7_PKT0_SA_PS5_SB_
	.p2align	8
	.type	_ZN2at6native12_GLOBAL__N_135GammaBetaBackwardCUDAKernelTemplateIN3c108BFloat16EfLj64ELj1ELj32ELb1ELb0ELb1EEEvllPKT_S7_PKT0_SA_PS5_SB_,@function
_ZN2at6native12_GLOBAL__N_135GammaBetaBackwardCUDAKernelTemplateIN3c108BFloat16EfLj64ELj1ELj32ELb1ELb0ELb1EEEvllPKT_S7_PKT0_SA_PS5_SB_: ; @_ZN2at6native12_GLOBAL__N_135GammaBetaBackwardCUDAKernelTemplateIN3c108BFloat16EfLj64ELj1ELj32ELb1ELb0ELb1EEEvllPKT_S7_PKT0_SA_PS5_SB_
; %bb.0:
	s_load_dwordx8 s[12:19], s[0:1], 0x0
	s_load_dwordx2 s[10:11], s[0:1], 0x28
	s_mov_b32 s8, s3
	s_lshl_b32 s3, s2, 6
	s_or_b32 s20, s3, 63
	s_mov_b32 s21, 0
	s_waitcnt lgkmcnt(0)
	v_mov_b64_e32 v[2:3], s[14:15]
	v_cmp_ge_i64_e32 vcc, s[20:21], v[2:3]
	s_lshl_b32 s20, s8, 5
	v_mov_b64_e32 v[2:3], s[12:13]
	v_cmp_lt_i64_e64 s[4:5], s[20:21], v[2:3]
	s_nop 1
	v_cndmask_b32_e64 v1, 0, 1, s[4:5]
	v_cmp_ne_u32_e64 s[4:5], 1, v1
	s_cbranch_vccz .LBB189_145
; %bb.1:
	s_and_b64 vcc, exec, s[4:5]
	v_mov_b32_e32 v31, 0
	s_cbranch_vccnz .LBB189_147
; %bb.2:
	v_mov_b32_e32 v3, 0
	v_bfe_u32 v161, v0, 10, 10
	v_lshlrev_b32_e32 v4, 5, v161
	v_mov_b32_e32 v5, v3
	v_and_b32_e32 v160, 0x3ff, v0
	v_lshl_add_u64 v[130:131], v[4:5], 0, s[20:21]
	v_add_u32_e32 v2, s3, v160
	v_mov_b32_e32 v208, v0
	v_lshl_add_u64 v[0:1], v[130:131], 0, 31
	v_cmp_gt_i64_e64 s[6:7], s[14:15], v[2:3]
	v_lshlrev_b64 v[6:7], 1, v[2:3]
	v_mul_lo_u32 v2, s15, v0
	v_mul_lo_u32 v8, s14, v1
	v_mad_u64_u32 v[0:1], s[28:29], s14, v0, 0
	v_add3_u32 v1, v1, v8, v2
	v_lshlrev_b64 v[0:1], 1, v[0:1]
	v_lshl_add_u64 v[8:9], s[16:17], 0, v[0:1]
	v_lshl_add_u64 v[10:11], s[18:19], 0, v[0:1]
	v_lshl_add_u64 v[0:1], v[130:131], 0, 30
	v_mul_lo_u32 v2, s15, v0
	v_mul_lo_u32 v12, s14, v1
	v_mad_u64_u32 v[0:1], s[30:31], s14, v0, 0
	v_add3_u32 v1, v1, v12, v2
	v_lshlrev_b64 v[0:1], 1, v[0:1]
	v_lshl_add_u64 v[12:13], s[16:17], 0, v[0:1]
	v_lshl_add_u64 v[14:15], s[18:19], 0, v[0:1]
	v_lshl_add_u64 v[0:1], v[130:131], 0, 29
	;; [unrolled: 8-line block ×29, first 2 shown]
	v_mul_lo_u32 v2, s15, v30
	v_mul_lo_u32 v122, s14, v31
	v_mad_u64_u32 v[30:31], s[30:31], s14, v30, 0
	v_add3_u32 v31, v31, v122, v2
	v_lshlrev_b64 v[30:31], 1, v[30:31]
	s_load_dword s9, s[0:1], 0x44
	v_lshl_add_u64 v[122:123], s[16:17], 0, v[30:31]
	v_lshl_add_u64 v[124:125], s[18:19], 0, v[30:31]
	v_mov_b64_e32 v[30:31], s[14:15]
	v_mad_u64_u32 v[30:31], s[30:31], s14, v130, v[30:31]
	v_mul_lo_u32 v2, s14, v131
	v_mul_lo_u32 v131, s15, v130
	v_add3_u32 v31, v131, v31, v2
	v_lshlrev_b64 v[30:31], 1, v[30:31]
	s_add_u32 s24, s0, 64
	v_lshl_add_u64 v[126:127], s[16:17], 0, v[30:31]
	v_lshl_add_u64 v[128:129], s[18:19], 0, v[30:31]
	v_mad_u64_u32 v[30:31], s[30:31], s14, v130, 0
	s_addc_u32 s25, s1, 0
	s_waitcnt lgkmcnt(0)
	s_lshl_b32 s22, s9, 5
	v_add3_u32 v31, v31, v2, v131
	v_mbcnt_lo_u32_b32 v2, -1, 0
	s_mul_i32 s9, s15, s22
	s_mul_hi_u32 s28, s14, s22
	v_mbcnt_hi_u32_b32 v2, -1, v2
	s_add_i32 s29, s28, s9
	s_mul_i32 s28, s14, s22
	v_lshlrev_b64 v[30:31], 1, v[30:31]
	v_lshlrev_b32_e32 v2, 2, v2
	s_mov_b32 s23, 0
	s_mov_b64 s[26:27], 31
	s_lshl_b64 s[28:29], s[28:29], 1
	v_lshl_add_u64 v[130:131], s[16:17], 0, v[30:31]
	v_lshl_add_u64 v[132:133], s[18:19], 0, v[30:31]
	v_and_b32_e32 v162, 0x100, v2
	s_mov_b64 s[30:31], s[20:21]
	v_mov_b32_e32 v163, 0
.LBB189_3:                              ; =>This Inner Loop Header: Depth=1
	s_add_u32 s34, s20, s26
	s_addc_u32 s35, 0, s27
	v_mov_b64_e32 v[30:31], s[12:13]
	v_cmp_ge_i64_e32 vcc, s[34:35], v[30:31]
	v_lshl_add_u64 v[134:135], s[20:21], 0, v[4:5]
	s_cbranch_vccz .LBB189_73
; %bb.4:                                ;   in Loop: Header=BB189_3 Depth=1
	s_load_dword s9, s[24:25], 0xc
	v_mov_b32_e32 v165, 0
	v_mov_b32_e32 v164, 0
	s_waitcnt lgkmcnt(0)
	s_and_b32 s9, s9, 0xffff
	v_mad_u32_u24 v2, v161, s9, v160
	v_and_b32_e32 v2, 63, v2
	v_cmp_gt_u32_e32 vcc, 32, v2
	s_and_saveexec_b64 s[34:35], vcc
	s_cbranch_execz .LBB189_8
; %bb.5:                                ;   in Loop: Header=BB189_3 Depth=1
	v_lshl_add_u64 v[136:137], v[134:135], 0, v[2:3]
	v_cmp_gt_i64_e32 vcc, s[12:13], v[136:137]
	v_mov_b32_e32 v164, 0
	s_and_saveexec_b64 s[36:37], vcc
	s_cbranch_execz .LBB189_7
; %bb.6:                                ;   in Loop: Header=BB189_3 Depth=1
	v_lshl_add_u64 v[30:31], v[136:137], 2, s[10:11]
	global_load_dword v164, v[30:31], off
.LBB189_7:                              ;   in Loop: Header=BB189_3 Depth=1
	s_or_b64 exec, exec, s[36:37]
.LBB189_8:                              ;   in Loop: Header=BB189_3 Depth=1
	s_or_b64 exec, exec, s[34:35]
	v_cmp_gt_i64_e32 vcc, s[12:13], v[134:135]
	s_and_b64 s[36:37], s[6:7], vcc
	v_mov_b32_e32 v2, 0
	s_and_saveexec_b64 s[34:35], s[36:37]
	s_cbranch_execz .LBB189_10
; %bb.9:                                ;   in Loop: Header=BB189_3 Depth=1
	v_lshl_add_u64 v[30:31], v[130:131], 0, v[6:7]
	v_lshl_add_u64 v[136:137], v[132:133], 0, v[6:7]
	global_load_ushort v2, v[30:31], off
	s_nop 0
	global_load_ushort v30, v[136:137], off
	s_waitcnt vmcnt(1)
	v_lshlrev_b32_e32 v165, 16, v2
	s_waitcnt vmcnt(0)
	v_lshlrev_b32_e32 v2, 16, v30
.LBB189_10:                             ;   in Loop: Header=BB189_3 Depth=1
	s_or_b64 exec, exec, s[34:35]
	v_lshl_add_u64 v[30:31], v[134:135], 0, 1
	v_cmp_gt_i64_e32 vcc, s[12:13], v[30:31]
	s_and_b64 s[36:37], s[6:7], vcc
	v_mov_b32_e32 v166, 0
	v_mov_b32_e32 v167, 0
	v_mov_b32_e32 v168, 0
	s_and_saveexec_b64 s[34:35], s[36:37]
	s_cbranch_execz .LBB189_12
; %bb.11:                               ;   in Loop: Header=BB189_3 Depth=1
	v_lshl_add_u64 v[30:31], v[126:127], 0, v[6:7]
	v_lshl_add_u64 v[136:137], v[128:129], 0, v[6:7]
	global_load_ushort v30, v[30:31], off
	s_nop 0
	global_load_ushort v31, v[136:137], off
	s_waitcnt vmcnt(1)
	v_lshlrev_b32_e32 v167, 16, v30
	s_waitcnt vmcnt(0)
	v_lshlrev_b32_e32 v168, 16, v31
.LBB189_12:                             ;   in Loop: Header=BB189_3 Depth=1
	s_or_b64 exec, exec, s[34:35]
	v_lshl_add_u64 v[30:31], v[134:135], 0, 2
	v_cmp_gt_i64_e32 vcc, s[12:13], v[30:31]
	s_and_b64 s[36:37], s[6:7], vcc
	v_mov_b32_e32 v169, 0
	s_and_saveexec_b64 s[34:35], s[36:37]
	s_cbranch_execz .LBB189_14
; %bb.13:                               ;   in Loop: Header=BB189_3 Depth=1
	v_lshl_add_u64 v[30:31], v[122:123], 0, v[6:7]
	v_lshl_add_u64 v[136:137], v[124:125], 0, v[6:7]
	global_load_ushort v30, v[30:31], off
	s_nop 0
	global_load_ushort v31, v[136:137], off
	s_waitcnt vmcnt(1)
	v_lshlrev_b32_e32 v166, 16, v30
	s_waitcnt vmcnt(0)
	v_lshlrev_b32_e32 v169, 16, v31
.LBB189_14:                             ;   in Loop: Header=BB189_3 Depth=1
	s_or_b64 exec, exec, s[34:35]
	v_lshl_add_u64 v[30:31], v[134:135], 0, 3
	v_cmp_gt_i64_e32 vcc, s[12:13], v[30:31]
	s_and_b64 s[36:37], s[6:7], vcc
	v_mov_b32_e32 v170, 0
	v_mov_b32_e32 v171, 0
	v_mov_b32_e32 v172, 0
	s_and_saveexec_b64 s[34:35], s[36:37]
	s_cbranch_execz .LBB189_16
; %bb.15:                               ;   in Loop: Header=BB189_3 Depth=1
	v_lshl_add_u64 v[30:31], v[118:119], 0, v[6:7]
	v_lshl_add_u64 v[136:137], v[120:121], 0, v[6:7]
	global_load_ushort v30, v[30:31], off
	s_nop 0
	global_load_ushort v31, v[136:137], off
	s_waitcnt vmcnt(1)
	v_lshlrev_b32_e32 v171, 16, v30
	s_waitcnt vmcnt(0)
	v_lshlrev_b32_e32 v172, 16, v31
.LBB189_16:                             ;   in Loop: Header=BB189_3 Depth=1
	s_or_b64 exec, exec, s[34:35]
	v_lshl_add_u64 v[30:31], v[134:135], 0, 4
	v_cmp_gt_i64_e32 vcc, s[12:13], v[30:31]
	s_and_b64 s[36:37], s[6:7], vcc
	v_mov_b32_e32 v173, 0
	s_and_saveexec_b64 s[34:35], s[36:37]
	s_cbranch_execz .LBB189_18
; %bb.17:                               ;   in Loop: Header=BB189_3 Depth=1
	v_lshl_add_u64 v[30:31], v[114:115], 0, v[6:7]
	v_lshl_add_u64 v[136:137], v[116:117], 0, v[6:7]
	global_load_ushort v30, v[30:31], off
	s_nop 0
	global_load_ushort v31, v[136:137], off
	s_waitcnt vmcnt(1)
	v_lshlrev_b32_e32 v170, 16, v30
	s_waitcnt vmcnt(0)
	v_lshlrev_b32_e32 v173, 16, v31
.LBB189_18:                             ;   in Loop: Header=BB189_3 Depth=1
	;; [unrolled: 38-line block ×9, first 2 shown]
	s_or_b64 exec, exec, s[34:35]
	v_lshl_add_u64 v[136:137], v[134:135], 0, 19
	v_cmp_gt_i64_e32 vcc, s[12:13], v[136:137]
	s_and_b64 s[36:37], s[6:7], vcc
	v_mov_b32_e32 v137, 0
	v_mov_b32_e32 v136, 0
	v_mov_b32_e32 v138, 0
	s_and_saveexec_b64 s[34:35], s[36:37]
	s_cbranch_execz .LBB189_48
; %bb.47:                               ;   in Loop: Header=BB189_3 Depth=1
	v_lshl_add_u64 v[138:139], v[54:55], 0, v[6:7]
	v_lshl_add_u64 v[140:141], v[56:57], 0, v[6:7]
	global_load_ushort v136, v[138:139], off
	s_nop 0
	global_load_ushort v138, v[140:141], off
	s_waitcnt vmcnt(1)
	v_lshlrev_b32_e32 v136, 16, v136
	s_waitcnt vmcnt(0)
	v_lshlrev_b32_e32 v138, 16, v138
.LBB189_48:                             ;   in Loop: Header=BB189_3 Depth=1
	s_or_b64 exec, exec, s[34:35]
	v_lshl_add_u64 v[140:141], v[134:135], 0, 20
	v_cmp_gt_i64_e32 vcc, s[12:13], v[140:141]
	s_and_b64 s[36:37], s[6:7], vcc
	v_mov_b32_e32 v139, 0
	s_and_saveexec_b64 s[34:35], s[36:37]
	s_cbranch_execz .LBB189_50
; %bb.49:                               ;   in Loop: Header=BB189_3 Depth=1
	v_lshl_add_u64 v[140:141], v[0:1], 0, v[6:7]
	v_lshl_add_u64 v[142:143], v[52:53], 0, v[6:7]
	global_load_ushort v137, v[140:141], off
	global_load_ushort v139, v[142:143], off
	s_waitcnt vmcnt(1)
	v_lshlrev_b32_e32 v137, 16, v137
	s_waitcnt vmcnt(0)
	v_lshlrev_b32_e32 v139, 16, v139
.LBB189_50:                             ;   in Loop: Header=BB189_3 Depth=1
	s_or_b64 exec, exec, s[34:35]
	v_lshl_add_u64 v[140:141], v[134:135], 0, 21
	v_cmp_gt_i64_e32 vcc, s[12:13], v[140:141]
	s_and_b64 s[36:37], s[6:7], vcc
	v_mov_b32_e32 v141, 0
	v_mov_b32_e32 v140, 0
	v_mov_b32_e32 v142, 0
	s_and_saveexec_b64 s[34:35], s[36:37]
	s_cbranch_execz .LBB189_52
; %bb.51:                               ;   in Loop: Header=BB189_3 Depth=1
	v_lshl_add_u64 v[142:143], v[48:49], 0, v[6:7]
	v_lshl_add_u64 v[144:145], v[50:51], 0, v[6:7]
	global_load_ushort v140, v[142:143], off
	s_nop 0
	global_load_ushort v142, v[144:145], off
	s_waitcnt vmcnt(1)
	v_lshlrev_b32_e32 v140, 16, v140
	s_waitcnt vmcnt(0)
	v_lshlrev_b32_e32 v142, 16, v142
.LBB189_52:                             ;   in Loop: Header=BB189_3 Depth=1
	s_or_b64 exec, exec, s[34:35]
	v_lshl_add_u64 v[144:145], v[134:135], 0, 22
	v_cmp_gt_i64_e32 vcc, s[12:13], v[144:145]
	s_and_b64 s[36:37], s[6:7], vcc
	v_mov_b32_e32 v143, 0
	s_and_saveexec_b64 s[34:35], s[36:37]
	s_cbranch_execz .LBB189_54
; %bb.53:                               ;   in Loop: Header=BB189_3 Depth=1
	v_lshl_add_u64 v[144:145], v[44:45], 0, v[6:7]
	v_lshl_add_u64 v[146:147], v[46:47], 0, v[6:7]
	global_load_ushort v141, v[144:145], off
	global_load_ushort v143, v[146:147], off
	s_waitcnt vmcnt(1)
	v_lshlrev_b32_e32 v141, 16, v141
	s_waitcnt vmcnt(0)
	v_lshlrev_b32_e32 v143, 16, v143
.LBB189_54:                             ;   in Loop: Header=BB189_3 Depth=1
	;; [unrolled: 37-line block ×6, first 2 shown]
	s_or_b64 exec, exec, s[34:35]
	v_lshl_add_u64 v[204:205], v[134:135], 0, 31
	v_cmp_gt_i64_e32 vcc, s[12:13], v[204:205]
	s_and_b64 s[36:37], s[6:7], vcc
	v_mov_b32_e32 v199, 0
	s_and_saveexec_b64 s[34:35], s[36:37]
	s_cbranch_execz .LBB189_72
; %bb.71:                               ;   in Loop: Header=BB189_3 Depth=1
	v_lshl_add_u64 v[204:205], v[8:9], 0, v[6:7]
	v_lshl_add_u64 v[206:207], v[10:11], 0, v[6:7]
	global_load_ushort v199, v[204:205], off
	global_load_ushort v203, v[206:207], off
	s_waitcnt vmcnt(1)
	v_lshlrev_b32_e32 v199, 16, v199
	s_waitcnt vmcnt(0)
	v_lshlrev_b32_e32 v203, 16, v203
	v_mul_f32_e32 v199, v203, v199
.LBB189_72:                             ;   in Loop: Header=BB189_3 Depth=1
	s_or_b64 exec, exec, s[34:35]
	s_waitcnt vmcnt(0)
	ds_bpermute_b32 v203, v162, v164
	ds_bpermute_b32 v204, v162, v164 offset:4
	v_mul_f32_e32 v2, v165, v2
	v_mul_f32_e32 v165, v167, v168
	ds_bpermute_b32 v167, v162, v164 offset:8
	s_waitcnt lgkmcnt(2)
	v_fma_f32 v2, v2, v203, v163
	s_waitcnt lgkmcnt(1)
	v_fmac_f32_e32 v2, v165, v204
	ds_bpermute_b32 v165, v162, v164 offset:12
	v_mul_f32_e32 v166, v166, v169
	s_waitcnt lgkmcnt(1)
	v_fmac_f32_e32 v2, v166, v167
	ds_bpermute_b32 v166, v162, v164 offset:16
	v_mul_f32_e32 v167, v171, v172
	;; [unrolled: 4-line block ×11, first 2 shown]
	s_waitcnt lgkmcnt(1)
	v_fmac_f32_e32 v2, v165, v30
	v_mul_f32_e32 v30, v191, v192
	ds_bpermute_b32 v165, v162, v164 offset:56
	s_waitcnt lgkmcnt(1)
	v_fmac_f32_e32 v2, v30, v31
	ds_bpermute_b32 v30, v162, v164 offset:60
	ds_bpermute_b32 v166, v162, v164 offset:64
	v_mul_f32_e32 v31, v190, v193
	s_waitcnt lgkmcnt(2)
	v_fmac_f32_e32 v2, v31, v165
	v_mul_f32_e32 v31, v195, v196
	s_waitcnt lgkmcnt(1)
	v_fmac_f32_e32 v2, v31, v30
	;; [unrolled: 3-line block ×3, first 2 shown]
	ds_bpermute_b32 v30, v162, v164 offset:76
	ds_bpermute_b32 v31, v162, v164 offset:80
	;; [unrolled: 1-line block ×4, first 2 shown]
	v_pk_mul_f32 v[136:137], v[136:137], v[138:139]
	v_mul_f32_e32 v166, v200, v201
	s_waitcnt lgkmcnt(2)
	v_pk_mul_f32 v[30:31], v[136:137], v[30:31]
	ds_bpermute_b32 v136, v162, v164 offset:84
	ds_bpermute_b32 v137, v162, v164 offset:88
	s_waitcnt lgkmcnt(3)
	v_fmac_f32_e32 v2, v166, v165
	v_mul_f32_e32 v165, v198, v202
	s_waitcnt lgkmcnt(2)
	v_fmac_f32_e32 v2, v165, v167
	v_add_f32_e32 v2, v2, v30
	ds_bpermute_b32 v138, v162, v164 offset:92
	ds_bpermute_b32 v139, v162, v164 offset:96
	v_add_f32_e32 v2, v2, v31
	v_pk_mul_f32 v[30:31], v[140:141], v[142:143]
	s_waitcnt lgkmcnt(2)
	v_pk_mul_f32 v[30:31], v[30:31], v[136:137]
	ds_bpermute_b32 v136, v162, v164 offset:100
	v_add_f32_e32 v2, v2, v30
	ds_bpermute_b32 v137, v162, v164 offset:104
	v_add_f32_e32 v2, v2, v31
	v_pk_mul_f32 v[30:31], v[144:145], v[146:147]
	s_waitcnt lgkmcnt(2)
	v_pk_mul_f32 v[30:31], v[30:31], v[138:139]
	ds_bpermute_b32 v138, v162, v164 offset:108
	v_add_f32_e32 v2, v2, v30
	;; [unrolled: 7-line block ×3, first 2 shown]
	v_add_f32_e32 v2, v2, v31
	v_pk_mul_f32 v[30:31], v[152:153], v[154:155]
	ds_bpermute_b32 v137, v162, v164 offset:120
	s_waitcnt lgkmcnt(2)
	v_pk_mul_f32 v[30:31], v[30:31], v[138:139]
	s_nop 0
	v_add_f32_e32 v2, v2, v30
	v_add_f32_e32 v138, v2, v31
	ds_bpermute_b32 v2, v162, v164 offset:124
	v_pk_mul_f32 v[30:31], v[156:157], v[158:159]
	s_waitcnt lgkmcnt(1)
	v_pk_mul_f32 v[30:31], v[30:31], v[136:137]
	s_nop 0
	v_add_f32_e32 v30, v138, v30
	v_add_f32_e32 v31, v30, v31
	s_branch .LBB189_141
.LBB189_73:                             ;   in Loop: Header=BB189_3 Depth=1
                                        ; implicit-def: $vgpr31
                                        ; implicit-def: $vgpr199
                                        ; implicit-def: $vgpr2
	s_cbranch_execz .LBB189_141
; %bb.74:                               ;   in Loop: Header=BB189_3 Depth=1
	s_load_dword s9, s[24:25], 0x0
	v_mov_b32_e32 v159, 0
	v_mov_b32_e32 v158, 0
	s_waitcnt lgkmcnt(0)
	s_cmp_lt_u32 s2, s9
	s_cselect_b32 s9, 12, 18
	s_add_u32 s34, s24, s9
	s_addc_u32 s35, s25, 0
	global_load_ushort v2, v3, s[34:35]
	s_waitcnt vmcnt(0)
	v_mad_u32_u24 v2, v161, v2, v160
	v_and_b32_e32 v2, 63, v2
	v_cmp_gt_u32_e32 vcc, 32, v2
	s_and_saveexec_b64 s[34:35], vcc
	s_cbranch_execz .LBB189_78
; %bb.75:                               ;   in Loop: Header=BB189_3 Depth=1
	v_lshl_add_u64 v[134:135], v[134:135], 0, v[2:3]
	v_cmp_gt_i64_e32 vcc, s[12:13], v[134:135]
	v_mov_b32_e32 v158, 0
	s_and_saveexec_b64 s[36:37], vcc
	s_cbranch_execz .LBB189_77
; %bb.76:                               ;   in Loop: Header=BB189_3 Depth=1
	v_lshl_add_u64 v[30:31], v[134:135], 2, s[10:11]
	global_load_dword v158, v[30:31], off
.LBB189_77:                             ;   in Loop: Header=BB189_3 Depth=1
	s_or_b64 exec, exec, s[36:37]
.LBB189_78:                             ;   in Loop: Header=BB189_3 Depth=1
	s_or_b64 exec, exec, s[34:35]
	v_mov_b32_e32 v2, 0
	s_and_saveexec_b64 s[34:35], s[6:7]
	s_cbranch_execz .LBB189_80
; %bb.79:                               ;   in Loop: Header=BB189_3 Depth=1
	v_lshl_add_u64 v[30:31], v[130:131], 0, v[6:7]
	v_lshl_add_u64 v[134:135], v[132:133], 0, v[6:7]
	global_load_ushort v2, v[30:31], off
	s_nop 0
	global_load_ushort v30, v[134:135], off
	s_waitcnt vmcnt(1)
	v_lshlrev_b32_e32 v159, 16, v2
	s_waitcnt vmcnt(0)
	v_lshlrev_b32_e32 v2, 16, v30
.LBB189_80:                             ;   in Loop: Header=BB189_3 Depth=1
	s_or_b64 exec, exec, s[34:35]
	v_mov_b32_e32 v30, 0
	v_mov_b32_e32 v31, 0
	v_mov_b32_e32 v164, 0
	s_and_saveexec_b64 s[34:35], s[6:7]
	s_cbranch_execz .LBB189_82
; %bb.81:                               ;   in Loop: Header=BB189_3 Depth=1
	v_lshl_add_u64 v[134:135], v[126:127], 0, v[6:7]
	v_lshl_add_u64 v[136:137], v[128:129], 0, v[6:7]
	global_load_ushort v31, v[134:135], off
	s_nop 0
	global_load_ushort v134, v[136:137], off
	s_waitcnt vmcnt(1)
	v_lshlrev_b32_e32 v31, 16, v31
	s_waitcnt vmcnt(0)
	v_lshlrev_b32_e32 v164, 16, v134
.LBB189_82:                             ;   in Loop: Header=BB189_3 Depth=1
	s_or_b64 exec, exec, s[34:35]
	v_mov_b32_e32 v165, 0
	s_and_saveexec_b64 s[34:35], s[6:7]
	s_cbranch_execz .LBB189_84
; %bb.83:                               ;   in Loop: Header=BB189_3 Depth=1
	v_lshl_add_u64 v[134:135], v[122:123], 0, v[6:7]
	v_lshl_add_u64 v[136:137], v[124:125], 0, v[6:7]
	global_load_ushort v30, v[134:135], off
	s_nop 0
	global_load_ushort v134, v[136:137], off
	s_waitcnt vmcnt(1)
	v_lshlrev_b32_e32 v30, 16, v30
	s_waitcnt vmcnt(0)
	v_lshlrev_b32_e32 v165, 16, v134
.LBB189_84:                             ;   in Loop: Header=BB189_3 Depth=1
	s_or_b64 exec, exec, s[34:35]
	v_mov_b32_e32 v166, 0
	v_mov_b32_e32 v167, 0
	v_mov_b32_e32 v168, 0
	s_and_saveexec_b64 s[34:35], s[6:7]
	s_cbranch_execz .LBB189_86
; %bb.85:                               ;   in Loop: Header=BB189_3 Depth=1
	v_lshl_add_u64 v[134:135], v[118:119], 0, v[6:7]
	v_lshl_add_u64 v[136:137], v[120:121], 0, v[6:7]
	global_load_ushort v134, v[134:135], off
	s_nop 0
	global_load_ushort v135, v[136:137], off
	s_waitcnt vmcnt(1)
	v_lshlrev_b32_e32 v167, 16, v134
	s_waitcnt vmcnt(0)
	v_lshlrev_b32_e32 v168, 16, v135
.LBB189_86:                             ;   in Loop: Header=BB189_3 Depth=1
	;; [unrolled: 32-line block ×5, first 2 shown]
	s_or_b64 exec, exec, s[34:35]
	v_mov_b32_e32 v183, 0
	s_and_saveexec_b64 s[34:35], s[6:7]
	s_cbranch_execz .LBB189_100
; %bb.99:                               ;   in Loop: Header=BB189_3 Depth=1
	v_lshl_add_u64 v[134:135], v[90:91], 0, v[6:7]
	v_lshl_add_u64 v[136:137], v[92:93], 0, v[6:7]
	global_load_ushort v134, v[134:135], off
	s_nop 0
	global_load_ushort v135, v[136:137], off
	s_waitcnt vmcnt(1)
	v_lshlrev_b32_e32 v180, 16, v134
	s_waitcnt vmcnt(0)
	v_lshlrev_b32_e32 v183, 16, v135
.LBB189_100:                            ;   in Loop: Header=BB189_3 Depth=1
	s_or_b64 exec, exec, s[34:35]
	v_mov_b32_e32 v184, 0
	v_mov_b32_e32 v185, 0
	v_mov_b32_e32 v186, 0
	s_and_saveexec_b64 s[34:35], s[6:7]
	s_cbranch_execz .LBB189_102
; %bb.101:                              ;   in Loop: Header=BB189_3 Depth=1
	v_lshl_add_u64 v[134:135], v[86:87], 0, v[6:7]
	v_lshl_add_u64 v[136:137], v[88:89], 0, v[6:7]
	global_load_ushort v134, v[134:135], off
	s_nop 0
	global_load_ushort v135, v[136:137], off
	s_waitcnt vmcnt(1)
	v_lshlrev_b32_e32 v185, 16, v134
	s_waitcnt vmcnt(0)
	v_lshlrev_b32_e32 v186, 16, v135
.LBB189_102:                            ;   in Loop: Header=BB189_3 Depth=1
	s_or_b64 exec, exec, s[34:35]
	v_mov_b32_e32 v187, 0
	s_and_saveexec_b64 s[34:35], s[6:7]
	s_cbranch_execz .LBB189_104
; %bb.103:                              ;   in Loop: Header=BB189_3 Depth=1
	v_lshl_add_u64 v[134:135], v[82:83], 0, v[6:7]
	v_lshl_add_u64 v[136:137], v[84:85], 0, v[6:7]
	global_load_ushort v134, v[134:135], off
	s_nop 0
	global_load_ushort v135, v[136:137], off
	s_waitcnt vmcnt(1)
	v_lshlrev_b32_e32 v184, 16, v134
	s_waitcnt vmcnt(0)
	v_lshlrev_b32_e32 v187, 16, v135
.LBB189_104:                            ;   in Loop: Header=BB189_3 Depth=1
	s_or_b64 exec, exec, s[34:35]
	v_mov_b32_e32 v188, 0
	v_mov_b32_e32 v189, 0
	v_mov_b32_e32 v190, 0
	s_and_saveexec_b64 s[34:35], s[6:7]
	s_cbranch_execz .LBB189_106
; %bb.105:                              ;   in Loop: Header=BB189_3 Depth=1
	v_lshl_add_u64 v[134:135], v[78:79], 0, v[6:7]
	v_lshl_add_u64 v[136:137], v[80:81], 0, v[6:7]
	global_load_ushort v134, v[134:135], off
	s_nop 0
	global_load_ushort v135, v[136:137], off
	s_waitcnt vmcnt(1)
	v_lshlrev_b32_e32 v189, 16, v134
	s_waitcnt vmcnt(0)
	v_lshlrev_b32_e32 v190, 16, v135
.LBB189_106:                            ;   in Loop: Header=BB189_3 Depth=1
	s_or_b64 exec, exec, s[34:35]
	v_mov_b32_e32 v191, 0
	s_and_saveexec_b64 s[34:35], s[6:7]
	s_cbranch_execz .LBB189_108
; %bb.107:                              ;   in Loop: Header=BB189_3 Depth=1
	v_lshl_add_u64 v[134:135], v[74:75], 0, v[6:7]
	v_lshl_add_u64 v[136:137], v[76:77], 0, v[6:7]
	global_load_ushort v134, v[134:135], off
	s_nop 0
	global_load_ushort v135, v[136:137], off
	s_waitcnt vmcnt(1)
	v_lshlrev_b32_e32 v188, 16, v134
	s_waitcnt vmcnt(0)
	v_lshlrev_b32_e32 v191, 16, v135
.LBB189_108:                            ;   in Loop: Header=BB189_3 Depth=1
	;; [unrolled: 32-line block ×4, first 2 shown]
	s_or_b64 exec, exec, s[34:35]
	v_mov_b32_e32 v135, 0
	v_mov_b32_e32 v134, 0
	v_mov_b32_e32 v136, 0
	s_and_saveexec_b64 s[34:35], s[6:7]
	s_cbranch_execz .LBB189_118
; %bb.117:                              ;   in Loop: Header=BB189_3 Depth=1
	v_lshl_add_u64 v[136:137], v[54:55], 0, v[6:7]
	v_lshl_add_u64 v[138:139], v[56:57], 0, v[6:7]
	global_load_ushort v134, v[136:137], off
	s_nop 0
	global_load_ushort v136, v[138:139], off
	s_waitcnt vmcnt(1)
	v_lshlrev_b32_e32 v134, 16, v134
	s_waitcnt vmcnt(0)
	v_lshlrev_b32_e32 v136, 16, v136
.LBB189_118:                            ;   in Loop: Header=BB189_3 Depth=1
	s_or_b64 exec, exec, s[34:35]
	v_mov_b32_e32 v137, 0
	s_and_saveexec_b64 s[34:35], s[6:7]
	s_cbranch_execz .LBB189_120
; %bb.119:                              ;   in Loop: Header=BB189_3 Depth=1
	v_lshl_add_u64 v[138:139], v[0:1], 0, v[6:7]
	v_lshl_add_u64 v[140:141], v[52:53], 0, v[6:7]
	global_load_ushort v135, v[138:139], off
	global_load_ushort v137, v[140:141], off
	s_waitcnt vmcnt(1)
	v_lshlrev_b32_e32 v135, 16, v135
	s_waitcnt vmcnt(0)
	v_lshlrev_b32_e32 v137, 16, v137
.LBB189_120:                            ;   in Loop: Header=BB189_3 Depth=1
	s_or_b64 exec, exec, s[34:35]
	v_mov_b32_e32 v139, 0
	v_mov_b32_e32 v138, 0
	v_mov_b32_e32 v140, 0
	s_and_saveexec_b64 s[34:35], s[6:7]
	s_cbranch_execz .LBB189_122
; %bb.121:                              ;   in Loop: Header=BB189_3 Depth=1
	v_lshl_add_u64 v[140:141], v[48:49], 0, v[6:7]
	v_lshl_add_u64 v[142:143], v[50:51], 0, v[6:7]
	global_load_ushort v138, v[140:141], off
	s_nop 0
	global_load_ushort v140, v[142:143], off
	s_waitcnt vmcnt(1)
	v_lshlrev_b32_e32 v138, 16, v138
	s_waitcnt vmcnt(0)
	v_lshlrev_b32_e32 v140, 16, v140
.LBB189_122:                            ;   in Loop: Header=BB189_3 Depth=1
	s_or_b64 exec, exec, s[34:35]
	v_mov_b32_e32 v141, 0
	s_and_saveexec_b64 s[34:35], s[6:7]
	s_cbranch_execz .LBB189_124
; %bb.123:                              ;   in Loop: Header=BB189_3 Depth=1
	v_lshl_add_u64 v[142:143], v[44:45], 0, v[6:7]
	v_lshl_add_u64 v[144:145], v[46:47], 0, v[6:7]
	global_load_ushort v139, v[142:143], off
	global_load_ushort v141, v[144:145], off
	s_waitcnt vmcnt(1)
	v_lshlrev_b32_e32 v139, 16, v139
	s_waitcnt vmcnt(0)
	v_lshlrev_b32_e32 v141, 16, v141
.LBB189_124:                            ;   in Loop: Header=BB189_3 Depth=1
	;; [unrolled: 31-line block ×5, first 2 shown]
	s_or_b64 exec, exec, s[34:35]
	v_mov_b32_e32 v155, 0
	v_mov_b32_e32 v154, 0
	;; [unrolled: 1-line block ×3, first 2 shown]
	s_and_saveexec_b64 s[34:35], s[6:7]
	s_cbranch_execnz .LBB189_143
; %bb.137:                              ;   in Loop: Header=BB189_3 Depth=1
	s_or_b64 exec, exec, s[34:35]
	v_mov_b32_e32 v157, 0
	s_and_saveexec_b64 s[34:35], s[6:7]
	s_cbranch_execnz .LBB189_144
.LBB189_138:                            ;   in Loop: Header=BB189_3 Depth=1
	s_or_b64 exec, exec, s[34:35]
	v_mov_b32_e32 v199, 0
	s_and_saveexec_b64 s[34:35], s[6:7]
	s_cbranch_execz .LBB189_140
.LBB189_139:                            ;   in Loop: Header=BB189_3 Depth=1
	v_lshl_add_u64 v[202:203], v[8:9], 0, v[6:7]
	v_lshl_add_u64 v[204:205], v[10:11], 0, v[6:7]
	global_load_ushort v199, v[202:203], off
	global_load_ushort v201, v[204:205], off
	s_waitcnt vmcnt(1)
	v_lshlrev_b32_e32 v199, 16, v199
	s_waitcnt vmcnt(0)
	v_lshlrev_b32_e32 v201, 16, v201
	v_mul_f32_e32 v199, v201, v199
.LBB189_140:                            ;   in Loop: Header=BB189_3 Depth=1
	s_or_b64 exec, exec, s[34:35]
	s_waitcnt vmcnt(0)
	ds_bpermute_b32 v201, v162, v158
	ds_bpermute_b32 v202, v162, v158 offset:4
	v_mul_f32_e32 v2, v159, v2
	ds_bpermute_b32 v159, v162, v158 offset:8
	v_mul_f32_e32 v31, v31, v164
	s_waitcnt lgkmcnt(2)
	v_fmac_f32_e32 v163, v2, v201
	ds_bpermute_b32 v2, v162, v158 offset:12
	s_waitcnt lgkmcnt(2)
	v_fmac_f32_e32 v163, v31, v202
	v_mul_f32_e32 v30, v30, v165
	s_waitcnt lgkmcnt(1)
	v_fmac_f32_e32 v163, v30, v159
	ds_bpermute_b32 v30, v162, v158 offset:16
	v_mul_f32_e32 v31, v167, v168
	s_waitcnt lgkmcnt(1)
	v_fmac_f32_e32 v163, v31, v2
	ds_bpermute_b32 v2, v162, v158 offset:20
	;; [unrolled: 4-line block ×10, first 2 shown]
	v_mul_f32_e32 v31, v184, v187
	s_waitcnt lgkmcnt(1)
	v_fmac_f32_e32 v163, v31, v30
	v_mul_f32_e32 v30, v189, v190
	ds_bpermute_b32 v31, v162, v158 offset:56
	s_waitcnt lgkmcnt(1)
	v_fmac_f32_e32 v163, v30, v2
	ds_bpermute_b32 v2, v162, v158 offset:60
	ds_bpermute_b32 v159, v162, v158 offset:64
	v_mul_f32_e32 v30, v188, v191
	s_waitcnt lgkmcnt(2)
	v_fmac_f32_e32 v163, v30, v31
	v_mul_f32_e32 v30, v193, v194
	s_waitcnt lgkmcnt(1)
	v_fmac_f32_e32 v163, v30, v2
	v_mul_f32_e32 v2, v192, v195
	ds_bpermute_b32 v30, v162, v158 offset:76
	ds_bpermute_b32 v31, v162, v158 offset:80
	s_waitcnt lgkmcnt(2)
	v_fmac_f32_e32 v163, v2, v159
	ds_bpermute_b32 v2, v162, v158 offset:68
	ds_bpermute_b32 v164, v162, v158 offset:72
	v_pk_mul_f32 v[134:135], v[134:135], v[136:137]
	v_mul_f32_e32 v159, v197, v198
	s_waitcnt lgkmcnt(2)
	v_pk_mul_f32 v[30:31], v[134:135], v[30:31]
	ds_bpermute_b32 v134, v162, v158 offset:84
	ds_bpermute_b32 v135, v162, v158 offset:88
	s_waitcnt lgkmcnt(3)
	v_fmac_f32_e32 v163, v159, v2
	v_mul_f32_e32 v2, v196, v200
	s_waitcnt lgkmcnt(2)
	v_fmac_f32_e32 v163, v2, v164
	v_add_f32_e32 v2, v163, v30
	ds_bpermute_b32 v136, v162, v158 offset:92
	ds_bpermute_b32 v137, v162, v158 offset:96
	v_add_f32_e32 v2, v2, v31
	v_pk_mul_f32 v[30:31], v[138:139], v[140:141]
	s_waitcnt lgkmcnt(2)
	v_pk_mul_f32 v[30:31], v[30:31], v[134:135]
	ds_bpermute_b32 v134, v162, v158 offset:100
	v_add_f32_e32 v2, v2, v30
	ds_bpermute_b32 v135, v162, v158 offset:104
	v_add_f32_e32 v2, v2, v31
	v_pk_mul_f32 v[30:31], v[142:143], v[144:145]
	s_waitcnt lgkmcnt(2)
	v_pk_mul_f32 v[30:31], v[30:31], v[136:137]
	ds_bpermute_b32 v136, v162, v158 offset:108
	v_add_f32_e32 v2, v2, v30
	;; [unrolled: 7-line block ×3, first 2 shown]
	ds_bpermute_b32 v135, v162, v158 offset:120
	v_add_f32_e32 v2, v2, v31
	v_pk_mul_f32 v[30:31], v[150:151], v[152:153]
	s_waitcnt lgkmcnt(2)
	v_pk_mul_f32 v[30:31], v[30:31], v[136:137]
	s_nop 0
	v_add_f32_e32 v2, v2, v30
	v_add_f32_e32 v136, v2, v31
	v_pk_mul_f32 v[30:31], v[154:155], v[156:157]
	ds_bpermute_b32 v2, v162, v158 offset:124
	s_waitcnt lgkmcnt(1)
	v_pk_mul_f32 v[30:31], v[30:31], v[134:135]
	s_nop 0
	v_add_f32_e32 v30, v136, v30
	v_add_f32_e32 v31, v30, v31
.LBB189_141:                            ;   in Loop: Header=BB189_3 Depth=1
	s_add_u32 s30, s30, s22
	s_addc_u32 s31, s31, 0
	v_mov_b64_e32 v[134:135], s[12:13]
	s_add_u32 s26, s26, s22
	v_cmp_lt_i64_e32 vcc, s[30:31], v[134:135]
	s_waitcnt lgkmcnt(0)
	v_fmac_f32_e32 v31, v199, v2
	v_lshl_add_u64 v[8:9], v[8:9], 0, s[28:29]
	v_lshl_add_u64 v[10:11], v[10:11], 0, s[28:29]
	v_lshl_add_u64 v[12:13], v[12:13], 0, s[28:29]
	v_lshl_add_u64 v[14:15], v[14:15], 0, s[28:29]
	v_lshl_add_u64 v[16:17], v[16:17], 0, s[28:29]
	v_lshl_add_u64 v[18:19], v[18:19], 0, s[28:29]
	v_lshl_add_u64 v[20:21], v[20:21], 0, s[28:29]
	v_lshl_add_u64 v[22:23], v[22:23], 0, s[28:29]
	v_lshl_add_u64 v[24:25], v[24:25], 0, s[28:29]
	v_lshl_add_u64 v[26:27], v[26:27], 0, s[28:29]
	v_lshl_add_u64 v[28:29], v[28:29], 0, s[28:29]
	v_lshl_add_u64 v[178:179], v[178:179], 0, s[28:29]
	v_lshl_add_u64 v[32:33], v[32:33], 0, s[28:29]
	v_lshl_add_u64 v[34:35], v[34:35], 0, s[28:29]
	v_lshl_add_u64 v[36:37], v[36:37], 0, s[28:29]
	v_lshl_add_u64 v[38:39], v[38:39], 0, s[28:29]
	v_lshl_add_u64 v[40:41], v[40:41], 0, s[28:29]
	v_lshl_add_u64 v[42:43], v[42:43], 0, s[28:29]
	v_lshl_add_u64 v[44:45], v[44:45], 0, s[28:29]
	v_lshl_add_u64 v[46:47], v[46:47], 0, s[28:29]
	v_lshl_add_u64 v[48:49], v[48:49], 0, s[28:29]
	v_lshl_add_u64 v[50:51], v[50:51], 0, s[28:29]
	v_lshl_add_u64 v[0:1], v[0:1], 0, s[28:29]
	v_lshl_add_u64 v[52:53], v[52:53], 0, s[28:29]
	v_lshl_add_u64 v[54:55], v[54:55], 0, s[28:29]
	v_lshl_add_u64 v[56:57], v[56:57], 0, s[28:29]
	v_lshl_add_u64 v[58:59], v[58:59], 0, s[28:29]
	v_lshl_add_u64 v[60:61], v[60:61], 0, s[28:29]
	v_lshl_add_u64 v[62:63], v[62:63], 0, s[28:29]
	v_lshl_add_u64 v[64:65], v[64:65], 0, s[28:29]
	v_lshl_add_u64 v[66:67], v[66:67], 0, s[28:29]
	v_lshl_add_u64 v[68:69], v[68:69], 0, s[28:29]
	v_lshl_add_u64 v[70:71], v[70:71], 0, s[28:29]
	v_lshl_add_u64 v[72:73], v[72:73], 0, s[28:29]
	v_lshl_add_u64 v[74:75], v[74:75], 0, s[28:29]
	v_lshl_add_u64 v[76:77], v[76:77], 0, s[28:29]
	v_lshl_add_u64 v[78:79], v[78:79], 0, s[28:29]
	v_lshl_add_u64 v[80:81], v[80:81], 0, s[28:29]
	v_lshl_add_u64 v[82:83], v[82:83], 0, s[28:29]
	v_lshl_add_u64 v[84:85], v[84:85], 0, s[28:29]
	v_lshl_add_u64 v[86:87], v[86:87], 0, s[28:29]
	v_lshl_add_u64 v[88:89], v[88:89], 0, s[28:29]
	v_lshl_add_u64 v[90:91], v[90:91], 0, s[28:29]
	v_lshl_add_u64 v[92:93], v[92:93], 0, s[28:29]
	v_lshl_add_u64 v[94:95], v[94:95], 0, s[28:29]
	v_lshl_add_u64 v[96:97], v[96:97], 0, s[28:29]
	v_lshl_add_u64 v[98:99], v[98:99], 0, s[28:29]
	v_lshl_add_u64 v[100:101], v[100:101], 0, s[28:29]
	v_lshl_add_u64 v[102:103], v[102:103], 0, s[28:29]
	v_lshl_add_u64 v[104:105], v[104:105], 0, s[28:29]
	v_lshl_add_u64 v[106:107], v[106:107], 0, s[28:29]
	v_lshl_add_u64 v[108:109], v[108:109], 0, s[28:29]
	v_lshl_add_u64 v[110:111], v[110:111], 0, s[28:29]
	v_lshl_add_u64 v[112:113], v[112:113], 0, s[28:29]
	v_lshl_add_u64 v[114:115], v[114:115], 0, s[28:29]
	v_lshl_add_u64 v[116:117], v[116:117], 0, s[28:29]
	v_lshl_add_u64 v[118:119], v[118:119], 0, s[28:29]
	v_lshl_add_u64 v[120:121], v[120:121], 0, s[28:29]
	v_lshl_add_u64 v[122:123], v[122:123], 0, s[28:29]
	v_lshl_add_u64 v[124:125], v[124:125], 0, s[28:29]
	v_lshl_add_u64 v[126:127], v[126:127], 0, s[28:29]
	v_lshl_add_u64 v[128:129], v[128:129], 0, s[28:29]
	v_lshl_add_u64 v[4:5], v[4:5], 0, s[22:23]
	v_lshl_add_u64 v[130:131], v[130:131], 0, s[28:29]
	v_lshl_add_u64 v[132:133], v[132:133], 0, s[28:29]
	s_addc_u32 s27, s27, 0
	s_cbranch_vccz .LBB189_146
; %bb.142:                              ;   in Loop: Header=BB189_3 Depth=1
	v_mov_b32_e32 v163, v31
	s_branch .LBB189_3
.LBB189_143:                            ;   in Loop: Header=BB189_3 Depth=1
	v_lshl_add_u64 v[156:157], v[16:17], 0, v[6:7]
	v_lshl_add_u64 v[202:203], v[18:19], 0, v[6:7]
	global_load_ushort v154, v[156:157], off
	s_nop 0
	global_load_ushort v156, v[202:203], off
	s_waitcnt vmcnt(1)
	v_lshlrev_b32_e32 v154, 16, v154
	s_waitcnt vmcnt(0)
	v_lshlrev_b32_e32 v156, 16, v156
	s_or_b64 exec, exec, s[34:35]
	v_mov_b32_e32 v157, 0
	s_and_saveexec_b64 s[34:35], s[6:7]
	s_cbranch_execz .LBB189_138
.LBB189_144:                            ;   in Loop: Header=BB189_3 Depth=1
	v_lshl_add_u64 v[202:203], v[12:13], 0, v[6:7]
	v_lshl_add_u64 v[204:205], v[14:15], 0, v[6:7]
	global_load_ushort v155, v[202:203], off
	global_load_ushort v157, v[204:205], off
	s_waitcnt vmcnt(1)
	v_lshlrev_b32_e32 v155, 16, v155
	s_waitcnt vmcnt(0)
	v_lshlrev_b32_e32 v157, 16, v157
	s_or_b64 exec, exec, s[34:35]
	v_mov_b32_e32 v199, 0
	s_and_saveexec_b64 s[34:35], s[6:7]
	s_cbranch_execnz .LBB189_139
	s_branch .LBB189_140
.LBB189_145:
                                        ; implicit-def: $vgpr31
	s_load_dwordx2 s[6:7], s[0:1], 0x30
	s_branch .LBB189_148
.LBB189_146:
	v_mov_b32_e32 v0, v208
.LBB189_147:
	s_load_dwordx2 s[6:7], s[0:1], 0x30
	s_cbranch_execnz .LBB189_229
.LBB189_148:
	s_and_b64 vcc, exec, s[4:5]
	v_mov_b32_e32 v31, 0
	s_cbranch_vccnz .LBB189_229
; %bb.149:
	v_and_b32_e32 v1, 0x3ff, v0
	v_add_u32_e32 v130, s3, v1
	v_mov_b32_e32 v131, 0
	v_bfe_u32 v31, v0, 10, 10
	v_lshlrev_b64 v[4:5], 1, v[130:131]
	v_lshlrev_b32_e32 v130, 6, v31
	v_accvgpr_write_b32 a0, v1
	v_accvgpr_write_b32 a76, v0
	v_lshl_add_u64 v[0:1], s[20:21], 1, v[130:131]
	v_lshl_add_u64 v[6:7], v[0:1], 0, 2
	v_mov_b64_e32 v[2:3], s[16:17]
	v_mov_b64_e32 v[8:9], s[18:19]
	v_mad_u64_u32 v[40:41], s[4:5], s14, v6, v[2:3]
	v_mul_lo_u32 v7, s14, v7
	v_mul_lo_u32 v24, s15, v6
	v_lshl_add_u64 v[10:11], v[0:1], 0, 4
	v_lshl_add_u64 v[16:17], v[0:1], 0, 10
	v_mad_u64_u32 v[56:57], s[4:5], s14, v6, v[8:9]
	v_add3_u32 v41, v24, v41, v7
	v_mad_u64_u32 v[42:43], s[4:5], s14, v10, v[2:3]
	v_mul_lo_u32 v11, s14, v11
	v_mul_lo_u32 v25, s15, v10
	v_lshl_add_u64 v[12:13], v[0:1], 0, 6
	v_lshl_add_u64 v[14:15], v[0:1], 0, 8
	v_mad_u64_u32 v[48:49], s[4:5], s14, v16, v[2:3]
	v_mul_lo_u32 v17, s14, v17
	v_mul_lo_u32 v28, s15, v16
	v_lshl_add_u64 v[18:19], v[0:1], 0, 12
	v_add3_u32 v57, v24, v57, v7
	v_mad_u64_u32 v[58:59], s[4:5], s14, v10, v[8:9]
	v_lshl_add_u64 v[6:7], v[0:1], 0, 18
	v_mad_u64_u32 v[66:67], s[4:5], s14, v16, v[8:9]
	v_add3_u32 v43, v25, v43, v11
	v_mad_u64_u32 v[44:45], s[4:5], s14, v12, v[2:3]
	v_mul_lo_u32 v13, s14, v13
	v_mul_lo_u32 v26, s15, v12
	v_mad_u64_u32 v[46:47], s[4:5], s14, v14, v[2:3]
	v_mul_lo_u32 v15, s14, v15
	v_mul_lo_u32 v27, s15, v14
	v_add3_u32 v49, v28, v49, v17
	v_mad_u64_u32 v[50:51], s[4:5], s14, v18, v[2:3]
	v_mul_lo_u32 v19, s14, v19
	v_mul_lo_u32 v29, s15, v18
	v_add3_u32 v59, v25, v59, v11
	v_mad_u64_u32 v[60:61], s[4:5], s14, v12, v[8:9]
	v_mul_lo_u32 v7, s14, v7
	v_mad_u64_u32 v[64:65], s[4:5], s14, v14, v[8:9]
	v_mul_lo_u32 v14, s15, v6
	v_add3_u32 v67, v28, v67, v17
	v_lshl_add_u64 v[10:11], v[0:1], 0, 20
	v_mad_u64_u32 v[68:69], s[4:5], s14, v18, v[8:9]
	v_mad_u64_u32 v[16:17], s[4:5], s14, v6, v[8:9]
	v_add3_u32 v45, v26, v45, v13
	v_add3_u32 v47, v27, v47, v15
	;; [unrolled: 1-line block ×4, first 2 shown]
	v_mad_u64_u32 v[62:63], s[4:5], s14, v6, v[2:3]
	v_add3_u32 v65, v27, v65, v15
	v_add3_u32 v69, v29, v69, v19
	v_mad_u64_u32 v[70:71], s[4:5], s14, v10, v[2:3]
	v_mul_lo_u32 v11, s14, v11
	v_mul_lo_u32 v15, s15, v10
	v_lshl_add_u64 v[12:13], v[0:1], 0, 22
	v_add3_u32 v17, v14, v17, v7
	v_mad_u64_u32 v[18:19], s[4:5], s14, v10, v[8:9]
	v_add3_u32 v63, v14, v63, v7
	v_add3_u32 v71, v15, v71, v11
	v_accvgpr_write_b32 a41, v17
	v_mul_lo_u32 v6, s14, v13
	v_add3_u32 v19, v15, v19, v11
	v_mul_lo_u32 v7, s15, v12
	v_mad_u64_u32 v[10:11], s[4:5], s14, v12, v[8:9]
	v_accvgpr_write_b32 a40, v16
	v_mad_u64_u32 v[16:17], s[4:5], s14, v12, v[2:3]
	v_add3_u32 v11, v7, v11, v6
	v_add3_u32 v17, v7, v17, v6
	v_accvgpr_write_b32 a47, v11
	v_lshl_add_u64 v[6:7], v[0:1], 0, 24
	v_accvgpr_write_b32 a46, v10
	v_mul_lo_u32 v7, s14, v7
	v_mul_lo_u32 v10, s15, v6
	v_mad_u64_u32 v[12:13], s[4:5], s14, v6, v[2:3]
	v_add3_u32 v13, v10, v13, v7
	v_accvgpr_write_b32 a49, v13
	v_accvgpr_write_b32 a48, v12
	v_mad_u64_u32 v[12:13], s[4:5], s14, v6, v[8:9]
	v_add3_u32 v13, v10, v13, v7
	v_accvgpr_write_b32 a51, v13
	v_lshl_add_u64 v[6:7], v[0:1], 0, 26
	v_accvgpr_write_b32 a50, v12
	v_mul_lo_u32 v7, s14, v7
	v_mul_lo_u32 v10, s15, v6
	v_mad_u64_u32 v[12:13], s[4:5], s14, v6, v[2:3]
	v_add3_u32 v13, v10, v13, v7
	v_accvgpr_write_b32 a53, v13
	v_accvgpr_write_b32 a52, v12
	v_mad_u64_u32 v[12:13], s[4:5], s14, v6, v[8:9]
	;; [unrolled: 11-line block ×7, first 2 shown]
	v_add3_u32 v13, v10, v13, v7
	v_lshl_add_u64 v[6:7], v[0:1], 0, 38
	v_mul_lo_u32 v7, s14, v7
	v_mul_lo_u32 v10, s15, v6
	v_mad_u64_u32 v[78:79], s[4:5], s14, v6, v[2:3]
	v_mad_u64_u32 v[80:81], s[4:5], s14, v6, v[8:9]
	v_add3_u32 v79, v10, v79, v7
	v_add3_u32 v81, v10, v81, v7
	v_lshl_add_u64 v[6:7], v[0:1], 0, 40
	v_mul_lo_u32 v7, s14, v7
	v_mul_lo_u32 v10, s15, v6
	v_mad_u64_u32 v[82:83], s[4:5], s14, v6, v[2:3]
	v_mad_u64_u32 v[84:85], s[4:5], s14, v6, v[8:9]
	v_add3_u32 v83, v10, v83, v7
	;; [unrolled: 7-line block ×11, first 2 shown]
	v_add3_u32 v121, v10, v121, v7
	v_lshl_add_u64 v[6:7], v[0:1], 0, 60
	v_lshl_add_u64 v[20:21], v[0:1], 0, 14
	;; [unrolled: 1-line block ×3, first 2 shown]
	v_mul_lo_u32 v7, s14, v7
	v_mul_lo_u32 v10, s15, v6
	v_mad_u64_u32 v[122:123], s[4:5], s14, v6, v[2:3]
	v_mad_u64_u32 v[124:125], s[4:5], s14, v6, v[8:9]
	v_lshl_add_u64 v[0:1], v[0:1], 0, 62
	v_lshlrev_b32_e32 v130, 5, v31
	v_add3_u32 v123, v10, v123, v7
	v_add3_u32 v125, v10, v125, v7
	v_mad_u64_u32 v[126:127], s[4:5], s14, v0, v[2:3]
	v_mad_u64_u32 v[128:129], s[4:5], s14, v0, v[8:9]
	v_mul_lo_u32 v1, s14, v1
	v_mul_lo_u32 v0, s15, v0
	v_lshl_add_u64 v[6:7], v[130:131], 0, s[20:21]
	v_add3_u32 v127, v0, v127, v1
	v_add3_u32 v129, v0, v129, v1
	v_lshl_add_u64 v[0:1], v[6:7], 0, 31
	v_mad_u64_u32 v[52:53], s[4:5], s14, v20, v[2:3]
	v_mad_u64_u32 v[54:55], s[4:5], s14, v22, v[2:3]
	v_mul_lo_u32 v2, s15, v0
	v_mul_lo_u32 v1, s14, v1
	v_mad_u64_u32 v[136:137], s[4:5], s14, v0, 0
	v_add3_u32 v137, v137, v1, v2
	v_lshl_add_u64 v[2:3], v[6:7], 0, 30
	v_mad_u64_u32 v[72:73], s[4:5], s14, v20, v[8:9]
	v_mad_u64_u32 v[74:75], s[4:5], s14, v22, v[8:9]
	v_mul_lo_u32 v0, s15, v2
	v_mul_lo_u32 v1, s14, v3
	v_mad_u64_u32 v[2:3], s[4:5], s14, v2, 0
	v_lshl_add_u64 v[8:9], v[6:7], 0, 29
	v_accvgpr_write_b32 a75, v13
	v_add3_u32 v3, v3, v1, v0
	v_mul_lo_u32 v0, s15, v8
	v_mul_lo_u32 v1, s14, v9
	v_mad_u64_u32 v[8:9], s[4:5], s14, v8, 0
	v_lshl_add_u64 v[10:11], v[6:7], 0, 28
	v_accvgpr_write_b32 a74, v12
	v_add3_u32 v9, v9, v1, v0
	;; [unrolled: 6-line block ×3, first 2 shown]
	v_mul_lo_u32 v0, s15, v12
	v_mul_lo_u32 v1, s14, v13
	v_mad_u64_u32 v[12:13], s[4:5], s14, v12, 0
	v_lshl_add_u64 v[14:15], v[6:7], 0, 26
	v_accvgpr_write_b32 a45, v19
	v_accvgpr_write_b32 a42, v16
	v_add3_u32 v13, v13, v1, v0
	v_mul_lo_u32 v0, s15, v14
	v_mul_lo_u32 v1, s14, v15
	v_mad_u64_u32 v[14:15], s[4:5], s14, v14, 0
	v_lshl_add_u64 v[16:17], v[6:7], 0, 25
	v_mul_lo_u32 v21, s14, v21
	v_mul_lo_u32 v30, s15, v20
	v_accvgpr_write_b32 a44, v18
	v_add3_u32 v15, v15, v1, v0
	v_mul_lo_u32 v0, s15, v16
	v_mul_lo_u32 v1, s14, v17
	v_mad_u64_u32 v[16:17], s[4:5], s14, v16, 0
	v_lshl_add_u64 v[18:19], v[6:7], 0, 24
	v_add3_u32 v53, v30, v53, v21
	v_mul_lo_u32 v23, s14, v23
	v_mul_lo_u32 v24, s15, v22
	v_add3_u32 v73, v30, v73, v21
	v_add3_u32 v17, v17, v1, v0
	v_mul_lo_u32 v0, s15, v18
	v_mul_lo_u32 v1, s14, v19
	v_mad_u64_u32 v[18:19], s[4:5], s14, v18, 0
	v_lshl_add_u64 v[20:21], v[6:7], 0, 23
	v_add3_u32 v55, v24, v55, v23
	v_add3_u32 v75, v24, v75, v23
	;; [unrolled: 1-line block ×3, first 2 shown]
	v_mul_lo_u32 v0, s15, v20
	v_mul_lo_u32 v1, s14, v21
	v_mad_u64_u32 v[20:21], s[4:5], s14, v20, 0
	v_lshl_add_u64 v[22:23], v[6:7], 0, 22
	v_lshlrev_b64 v[2:3], 1, v[2:3]
	v_add3_u32 v21, v21, v1, v0
	v_mul_lo_u32 v0, s15, v22
	v_mul_lo_u32 v1, s14, v23
	v_mad_u64_u32 v[22:23], s[4:5], s14, v22, 0
	v_lshl_add_u64 v[24:25], v[6:7], 0, 21
	v_lshl_add_u64 v[140:141], s[16:17], 0, v[2:3]
	v_lshl_add_u64 v[142:143], s[18:19], 0, v[2:3]
	v_lshlrev_b64 v[2:3], 1, v[8:9]
	v_add3_u32 v23, v23, v1, v0
	v_mul_lo_u32 v0, s15, v24
	v_mul_lo_u32 v1, s14, v25
	v_mad_u64_u32 v[24:25], s[4:5], s14, v24, 0
	v_lshl_add_u64 v[26:27], v[6:7], 0, 20
	v_lshl_add_u64 v[144:145], s[16:17], 0, v[2:3]
	;; [unrolled: 8-line block ×3, first 2 shown]
	v_lshl_add_u64 v[150:151], s[18:19], 0, v[2:3]
	v_lshlrev_b64 v[2:3], 1, v[12:13]
	v_accvgpr_write_b32 a1, v31
	v_add3_u32 v27, v27, v1, v0
	v_mul_lo_u32 v0, s15, v28
	v_mul_lo_u32 v1, s14, v29
	v_mad_u64_u32 v[28:29], s[4:5], s14, v28, 0
	v_lshl_add_u64 v[30:31], v[6:7], 0, 18
	v_lshl_add_u64 v[152:153], s[16:17], 0, v[2:3]
	v_lshl_add_u64 v[154:155], s[18:19], 0, v[2:3]
	v_lshlrev_b64 v[2:3], 1, v[14:15]
	v_add3_u32 v29, v29, v1, v0
	v_mul_lo_u32 v0, s15, v30
	v_mul_lo_u32 v1, s14, v31
	v_mad_u64_u32 v[30:31], s[4:5], s14, v30, 0
	v_lshl_add_u64 v[32:33], v[6:7], 0, 17
	v_lshl_add_u64 v[156:157], s[16:17], 0, v[2:3]
	v_lshl_add_u64 v[158:159], s[18:19], 0, v[2:3]
	v_lshlrev_b64 v[2:3], 1, v[16:17]
	;; [unrolled: 8-line block ×17, first 2 shown]
	v_add3_u32 v249, v249, v1, v0
	v_mul_lo_u32 v0, s15, v132
	v_mul_lo_u32 v1, s14, v133
	v_mad_u64_u32 v[252:253], s[4:5], s14, v132, 0
	v_mov_b64_e32 v[132:133], s[14:15]
	s_load_dword s3, s[0:1], 0x44
	v_lshl_add_u64 v[220:221], s[16:17], 0, v[2:3]
	v_lshl_add_u64 v[222:223], s[18:19], 0, v[2:3]
	v_lshlrev_b64 v[2:3], 1, v[224:225]
	v_add3_u32 v253, v253, v1, v0
	v_mad_u64_u32 v[0:1], s[4:5], s14, v6, v[132:133]
	v_mul_lo_u32 v36, s15, v6
	v_mul_lo_u32 v37, s14, v7
	v_mad_u64_u32 v[6:7], s[4:5], s14, v6, 0
	v_lshl_add_u64 v[224:225], s[16:17], 0, v[2:3]
	v_lshl_add_u64 v[226:227], s[18:19], 0, v[2:3]
	v_lshlrev_b64 v[2:3], 1, v[228:229]
	v_add3_u32 v7, v7, v37, v36
	v_lshl_add_u64 v[228:229], s[16:17], 0, v[2:3]
	v_lshl_add_u64 v[230:231], s[18:19], 0, v[2:3]
	v_lshlrev_b64 v[2:3], 1, v[232:233]
	v_lshlrev_b64 v[6:7], 1, v[6:7]
	v_lshl_add_u64 v[232:233], s[16:17], 0, v[2:3]
	v_lshl_add_u64 v[234:235], s[18:19], 0, v[2:3]
	v_lshlrev_b64 v[2:3], 1, v[236:237]
	s_add_u32 s22, s0, 64
	v_lshl_add_u64 v[132:133], s[16:17], 0, v[6:7]
	v_lshl_add_u64 v[134:135], s[18:19], 0, v[6:7]
	v_lshlrev_b64 v[6:7], 1, v[136:137]
	v_lshl_add_u64 v[236:237], s[16:17], 0, v[2:3]
	v_lshl_add_u64 v[238:239], s[18:19], 0, v[2:3]
	v_lshlrev_b64 v[2:3], 1, v[240:241]
	s_addc_u32 s23, s1, 0
	s_waitcnt lgkmcnt(0)
	s_lshl_b32 s4, s3, 5
	v_lshl_add_u64 v[136:137], s[16:17], 0, v[6:7]
	v_lshl_add_u64 v[138:139], s[18:19], 0, v[6:7]
	;; [unrolled: 1-line block ×4, first 2 shown]
	v_lshlrev_b64 v[2:3], 1, v[244:245]
	v_mbcnt_lo_u32_b32 v6, -1, 0
	v_add3_u32 v1, v36, v1, v37
	s_mul_i32 s3, s15, s4
	s_mul_hi_u32 s9, s14, s4
	v_lshl_add_u64 v[244:245], s[16:17], 0, v[2:3]
	v_lshl_add_u64 v[246:247], s[18:19], 0, v[2:3]
	v_lshlrev_b64 v[2:3], 1, v[248:249]
	v_mbcnt_hi_u32_b32 v6, -1, v6
	s_add_i32 s25, s9, s3
	s_mul_i32 s24, s14, s4
	v_lshl_add_u64 v[248:249], s[16:17], 0, v[2:3]
	v_lshl_add_u64 v[250:251], s[18:19], 0, v[2:3]
	v_lshlrev_b64 v[2:3], 1, v[252:253]
	v_lshlrev_b64 v[0:1], 1, v[0:1]
	v_lshlrev_b32_e32 v6, 2, v6
	v_accvgpr_write_b32 a3, v131
	s_mov_b32 s5, 0
	s_lshl_b64 s[24:25], s[24:25], 1
	s_mov_b64 s[26:27], 31
	v_lshl_add_u64 v[252:253], s[16:17], 0, v[2:3]
	v_lshl_add_u64 v[254:255], s[18:19], 0, v[2:3]
	;; [unrolled: 1-line block ×4, first 2 shown]
	v_and_b32_e32 v27, 0x100, v6
	s_mov_b64 s[16:17], s[20:21]
	v_mov_b32_e32 v33, 0
.LBB189_150:                            ; =>This Inner Loop Header: Depth=1
	s_add_u32 s18, s20, s26
	s_addc_u32 s19, 0, s27
	v_mov_b64_e32 v[6:7], s[12:13]
	v_cmp_ge_i64_e32 vcc, s[18:19], v[6:7]
	v_lshl_add_u64 v[6:7], s[20:21], 0, v[130:131]
	s_cbranch_vccz .LBB189_220
; %bb.151:                              ;   in Loop: Header=BB189_150 Depth=1
	s_load_dword s3, s[22:23], 0xc
	v_mov_b32_e32 v8, 0
	v_accvgpr_write_b32 a96, v8             ;  Reload Reuse
	v_accvgpr_read_b32 v8, a0
	v_accvgpr_read_b32 v9, a1
	s_waitcnt lgkmcnt(0)
	s_and_b32 s3, s3, 0xffff
	v_mad_u32_u24 v8, v9, s3, v8
	v_and_b32_e32 v8, 63, v8
	v_accvgpr_read_b32 v9, a3
	v_accvgpr_write_b32 a2, v8
	v_accvgpr_write_b32 a3, v9
	v_cmp_gt_u32_e32 vcc, 32, v8
	v_mov_b32_e32 v32, 0
	s_and_saveexec_b64 s[18:19], vcc
	s_cbranch_execz .LBB189_155
; %bb.152:                              ;   in Loop: Header=BB189_150 Depth=1
	v_accvgpr_read_b32 v9, a3
	v_accvgpr_read_b32 v8, a2
	v_lshl_add_u64 v[8:9], v[6:7], 0, v[8:9]
	v_cmp_gt_i64_e32 vcc, s[12:13], v[8:9]
	v_mov_b32_e32 v32, 0
	s_and_saveexec_b64 s[28:29], vcc
	s_cbranch_execz .LBB189_154
; %bb.153:                              ;   in Loop: Header=BB189_150 Depth=1
	v_lshl_add_u64 v[8:9], v[8:9], 2, s[10:11]
	global_load_dword v32, v[8:9], off
.LBB189_154:                            ;   in Loop: Header=BB189_150 Depth=1
	s_or_b64 exec, exec, s[28:29]
.LBB189_155:                            ;   in Loop: Header=BB189_150 Depth=1
	s_or_b64 exec, exec, s[18:19]
	v_cmp_gt_i64_e32 vcc, s[12:13], v[6:7]
	v_mov_b32_e32 v77, 0
	s_and_saveexec_b64 s[18:19], vcc
	s_cbranch_execz .LBB189_157
; %bb.156:                              ;   in Loop: Header=BB189_150 Depth=1
	v_lshl_add_u64 v[8:9], v[132:133], 0, v[4:5]
	v_lshl_add_u64 v[10:11], v[134:135], 0, v[4:5]
	global_load_ushort v8, v[8:9], off
	s_nop 0
	global_load_ushort v9, v[10:11], off
	s_waitcnt vmcnt(1)
	v_lshlrev_b32_e32 v8, 16, v8
	v_accvgpr_write_b32 a96, v8             ;  Reload Reuse
	s_waitcnt vmcnt(0)
	v_lshlrev_b32_e32 v77, 16, v9
.LBB189_157:                            ;   in Loop: Header=BB189_150 Depth=1
	s_or_b64 exec, exec, s[18:19]
	v_lshl_add_u64 v[8:9], v[6:7], 0, 1
	v_cmp_gt_i64_e32 vcc, s[12:13], v[8:9]
	v_mov_b32_e32 v26, 0
	v_mov_b32_e32 v30, 0
	;; [unrolled: 1-line block ×3, first 2 shown]
	s_and_saveexec_b64 s[18:19], vcc
	s_cbranch_execz .LBB189_159
; %bb.158:                              ;   in Loop: Header=BB189_150 Depth=1
	v_lshl_add_u64 v[8:9], v[2:3], 0, v[4:5]
	v_lshl_add_u64 v[10:11], v[0:1], 0, v[4:5]
	global_load_ushort v8, v[8:9], off
	s_nop 0
	global_load_ushort v9, v[10:11], off
	s_waitcnt vmcnt(1)
	v_lshlrev_b32_e32 v30, 16, v8
	s_waitcnt vmcnt(0)
	v_lshlrev_b32_e32 v35, 16, v9
.LBB189_159:                            ;   in Loop: Header=BB189_150 Depth=1
	s_or_b64 exec, exec, s[18:19]
	v_lshl_add_u64 v[8:9], v[6:7], 0, 2
	v_cmp_gt_i64_e32 vcc, s[12:13], v[8:9]
	v_mov_b32_e32 v39, 0
	s_and_saveexec_b64 s[18:19], vcc
	s_cbranch_execz .LBB189_161
; %bb.160:                              ;   in Loop: Header=BB189_150 Depth=1
	v_lshl_add_u64 v[8:9], v[252:253], 0, v[4:5]
	v_lshl_add_u64 v[10:11], v[254:255], 0, v[4:5]
	global_load_ushort v8, v[8:9], off
	s_nop 0
	global_load_ushort v9, v[10:11], off
	s_waitcnt vmcnt(1)
	v_lshlrev_b32_e32 v26, 16, v8
	s_waitcnt vmcnt(0)
	v_lshlrev_b32_e32 v39, 16, v9
.LBB189_161:                            ;   in Loop: Header=BB189_150 Depth=1
	s_or_b64 exec, exec, s[18:19]
	v_lshl_add_u64 v[8:9], v[6:7], 0, 3
	v_cmp_gt_i64_e32 vcc, s[12:13], v[8:9]
	v_mov_b32_e32 v8, 0
	v_accvgpr_write_b32 a97, v8             ;  Reload Reuse
	v_mov_b32_e32 v8, 0
	v_mov_b32_e32 v38, 0
	v_accvgpr_write_b32 a98, v8             ;  Reload Reuse
	s_and_saveexec_b64 s[18:19], vcc
	s_cbranch_execz .LBB189_163
; %bb.162:                              ;   in Loop: Header=BB189_150 Depth=1
	v_lshl_add_u64 v[8:9], v[248:249], 0, v[4:5]
	v_lshl_add_u64 v[10:11], v[250:251], 0, v[4:5]
	global_load_ushort v8, v[8:9], off
	s_nop 0
	global_load_ushort v9, v[10:11], off
	s_waitcnt vmcnt(1)
	v_lshlrev_b32_e32 v8, 16, v8
	v_accvgpr_write_b32 a97, v8             ;  Reload Reuse
	s_waitcnt vmcnt(0)
	v_lshlrev_b32_e32 v8, 16, v9
	v_accvgpr_write_b32 a98, v8             ;  Reload Reuse
.LBB189_163:                            ;   in Loop: Header=BB189_150 Depth=1
	s_or_b64 exec, exec, s[18:19]
	v_lshl_add_u64 v[8:9], v[6:7], 0, 4
	v_cmp_gt_i64_e32 vcc, s[12:13], v[8:9]
	v_mov_b32_e32 v8, 0
	v_accvgpr_write_b32 a99, v8             ;  Reload Reuse
	s_and_saveexec_b64 s[18:19], vcc
	s_cbranch_execz .LBB189_165
; %bb.164:                              ;   in Loop: Header=BB189_150 Depth=1
	v_lshl_add_u64 v[8:9], v[244:245], 0, v[4:5]
	v_lshl_add_u64 v[10:11], v[246:247], 0, v[4:5]
	global_load_ushort v8, v[8:9], off
	s_nop 0
	global_load_ushort v9, v[10:11], off
	s_waitcnt vmcnt(1)
	v_lshlrev_b32_e32 v38, 16, v8
	s_waitcnt vmcnt(0)
	v_lshlrev_b32_e32 v8, 16, v9
	v_accvgpr_write_b32 a99, v8             ;  Reload Reuse
.LBB189_165:                            ;   in Loop: Header=BB189_150 Depth=1
	s_or_b64 exec, exec, s[18:19]
	v_lshl_add_u64 v[8:9], v[6:7], 0, 5
	v_cmp_gt_i64_e32 vcc, s[12:13], v[8:9]
	v_mov_b32_e32 v8, 0
	v_accvgpr_write_b32 a100, v8            ;  Reload Reuse
	v_mov_b32_e32 v8, 0
	v_mov_b32_e32 v76, 0
	v_accvgpr_write_b32 a101, v8            ;  Reload Reuse
	s_and_saveexec_b64 s[18:19], vcc
	s_cbranch_execz .LBB189_167
; %bb.166:                              ;   in Loop: Header=BB189_150 Depth=1
	v_lshl_add_u64 v[8:9], v[240:241], 0, v[4:5]
	v_lshl_add_u64 v[10:11], v[242:243], 0, v[4:5]
	global_load_ushort v8, v[8:9], off
	s_nop 0
	global_load_ushort v9, v[10:11], off
	s_waitcnt vmcnt(1)
	v_lshlrev_b32_e32 v8, 16, v8
	v_accvgpr_write_b32 a100, v8            ;  Reload Reuse
	s_waitcnt vmcnt(0)
	v_lshlrev_b32_e32 v8, 16, v9
	v_accvgpr_write_b32 a101, v8            ;  Reload Reuse
.LBB189_167:                            ;   in Loop: Header=BB189_150 Depth=1
	s_or_b64 exec, exec, s[18:19]
	v_lshl_add_u64 v[8:9], v[6:7], 0, 6
	v_cmp_gt_i64_e32 vcc, s[12:13], v[8:9]
	v_mov_b32_e32 v8, 0
	v_accvgpr_write_b32 a102, v8            ;  Reload Reuse
	s_and_saveexec_b64 s[18:19], vcc
	s_cbranch_execz .LBB189_169
; %bb.168:                              ;   in Loop: Header=BB189_150 Depth=1
	v_lshl_add_u64 v[8:9], v[236:237], 0, v[4:5]
	v_lshl_add_u64 v[10:11], v[238:239], 0, v[4:5]
	global_load_ushort v8, v[8:9], off
	s_nop 0
	global_load_ushort v9, v[10:11], off
	s_waitcnt vmcnt(1)
	v_lshlrev_b32_e32 v76, 16, v8
	s_waitcnt vmcnt(0)
	v_lshlrev_b32_e32 v8, 16, v9
	v_accvgpr_write_b32 a102, v8            ;  Reload Reuse
.LBB189_169:                            ;   in Loop: Header=BB189_150 Depth=1
	s_or_b64 exec, exec, s[18:19]
	v_lshl_add_u64 v[8:9], v[6:7], 0, 7
	v_cmp_gt_i64_e32 vcc, s[12:13], v[8:9]
	v_mov_b32_e32 v8, 0
	v_accvgpr_write_b32 a103, v8            ;  Reload Reuse
	v_mov_b32_e32 v8, 0
	v_accvgpr_write_b32 a104, v8            ;  Reload Reuse
	v_mov_b32_e32 v8, 0
	v_accvgpr_write_b32 a105, v8            ;  Reload Reuse
	s_and_saveexec_b64 s[18:19], vcc
	s_cbranch_execz .LBB189_171
; %bb.170:                              ;   in Loop: Header=BB189_150 Depth=1
	v_lshl_add_u64 v[8:9], v[232:233], 0, v[4:5]
	v_lshl_add_u64 v[10:11], v[234:235], 0, v[4:5]
	global_load_ushort v8, v[8:9], off
	s_nop 0
	global_load_ushort v9, v[10:11], off
	s_waitcnt vmcnt(1)
	v_lshlrev_b32_e32 v8, 16, v8
	v_accvgpr_write_b32 a104, v8            ;  Reload Reuse
	s_waitcnt vmcnt(0)
	v_lshlrev_b32_e32 v8, 16, v9
	v_accvgpr_write_b32 a105, v8            ;  Reload Reuse
.LBB189_171:                            ;   in Loop: Header=BB189_150 Depth=1
	s_or_b64 exec, exec, s[18:19]
	v_lshl_add_u64 v[8:9], v[6:7], 0, 8
	v_cmp_gt_i64_e32 vcc, s[12:13], v[8:9]
	v_mov_b32_e32 v8, 0
	v_accvgpr_write_b32 a106, v8            ;  Reload Reuse
	s_and_saveexec_b64 s[18:19], vcc
	s_cbranch_execz .LBB189_173
; %bb.172:                              ;   in Loop: Header=BB189_150 Depth=1
	v_lshl_add_u64 v[8:9], v[228:229], 0, v[4:5]
	v_lshl_add_u64 v[10:11], v[230:231], 0, v[4:5]
	global_load_ushort v8, v[8:9], off
	s_nop 0
	global_load_ushort v9, v[10:11], off
	s_waitcnt vmcnt(1)
	v_lshlrev_b32_e32 v8, 16, v8
	v_accvgpr_write_b32 a103, v8            ;  Reload Reuse
	s_waitcnt vmcnt(0)
	v_lshlrev_b32_e32 v8, 16, v9
	v_accvgpr_write_b32 a106, v8            ;  Reload Reuse
.LBB189_173:                            ;   in Loop: Header=BB189_150 Depth=1
	s_or_b64 exec, exec, s[18:19]
	v_lshl_add_u64 v[8:9], v[6:7], 0, 9
	v_cmp_gt_i64_e32 vcc, s[12:13], v[8:9]
	v_mov_b32_e32 v8, 0
	v_accvgpr_write_b32 a107, v8            ;  Reload Reuse
	v_mov_b32_e32 v8, 0
	v_accvgpr_write_b32 a108, v8            ;  Reload Reuse
	v_mov_b32_e32 v8, 0
	v_accvgpr_write_b32 a109, v8            ;  Reload Reuse
	s_and_saveexec_b64 s[18:19], vcc
	s_cbranch_execz .LBB189_175
; %bb.174:                              ;   in Loop: Header=BB189_150 Depth=1
	v_lshl_add_u64 v[8:9], v[224:225], 0, v[4:5]
	v_lshl_add_u64 v[10:11], v[226:227], 0, v[4:5]
	global_load_ushort v8, v[8:9], off
	s_nop 0
	global_load_ushort v9, v[10:11], off
	s_waitcnt vmcnt(1)
	v_lshlrev_b32_e32 v8, 16, v8
	v_accvgpr_write_b32 a108, v8            ;  Reload Reuse
	s_waitcnt vmcnt(0)
	v_lshlrev_b32_e32 v8, 16, v9
	v_accvgpr_write_b32 a109, v8            ;  Reload Reuse
.LBB189_175:                            ;   in Loop: Header=BB189_150 Depth=1
	s_or_b64 exec, exec, s[18:19]
	v_lshl_add_u64 v[8:9], v[6:7], 0, 10
	v_cmp_gt_i64_e32 vcc, s[12:13], v[8:9]
	v_mov_b32_e32 v8, 0
	v_accvgpr_write_b32 a110, v8            ;  Reload Reuse
	s_and_saveexec_b64 s[18:19], vcc
	s_cbranch_execz .LBB189_177
; %bb.176:                              ;   in Loop: Header=BB189_150 Depth=1
	v_lshl_add_u64 v[8:9], v[220:221], 0, v[4:5]
	v_lshl_add_u64 v[10:11], v[222:223], 0, v[4:5]
	global_load_ushort v8, v[8:9], off
	s_nop 0
	global_load_ushort v9, v[10:11], off
	s_waitcnt vmcnt(1)
	v_lshlrev_b32_e32 v8, 16, v8
	v_accvgpr_write_b32 a107, v8            ;  Reload Reuse
	s_waitcnt vmcnt(0)
	v_lshlrev_b32_e32 v8, 16, v9
	v_accvgpr_write_b32 a110, v8            ;  Reload Reuse
.LBB189_177:                            ;   in Loop: Header=BB189_150 Depth=1
	;; [unrolled: 44-line block ×6, first 2 shown]
	s_or_b64 exec, exec, s[18:19]
	v_lshl_add_u64 v[8:9], v[6:7], 0, 19
	v_cmp_gt_i64_e32 vcc, s[12:13], v[8:9]
	v_mov_b32_e32 v8, 0
	v_mov_b32_e32 v31, 0
	;; [unrolled: 1-line block ×3, first 2 shown]
	s_and_saveexec_b64 s[18:19], vcc
	s_cbranch_execz .LBB189_195
; %bb.194:                              ;   in Loop: Header=BB189_150 Depth=1
	v_lshl_add_u64 v[10:11], v[184:185], 0, v[4:5]
	v_lshl_add_u64 v[12:13], v[186:187], 0, v[4:5]
	global_load_ushort v9, v[10:11], off
	s_nop 0
	global_load_ushort v10, v[12:13], off
	s_waitcnt vmcnt(1)
	v_lshlrev_b32_e32 v31, 16, v9
	s_waitcnt vmcnt(0)
	v_lshlrev_b32_e32 v34, 16, v10
.LBB189_195:                            ;   in Loop: Header=BB189_150 Depth=1
	s_or_b64 exec, exec, s[18:19]
	v_lshl_add_u64 v[10:11], v[6:7], 0, 20
	v_cmp_gt_i64_e32 vcc, s[12:13], v[10:11]
	v_mov_b32_e32 v12, 0
	s_and_saveexec_b64 s[18:19], vcc
	s_cbranch_execz .LBB189_197
; %bb.196:                              ;   in Loop: Header=BB189_150 Depth=1
	v_lshl_add_u64 v[8:9], v[180:181], 0, v[4:5]
	v_lshl_add_u64 v[10:11], v[182:183], 0, v[4:5]
	global_load_ushort v8, v[8:9], off
	s_nop 0
	global_load_ushort v9, v[10:11], off
	s_waitcnt vmcnt(1)
	v_lshlrev_b32_e32 v8, 16, v8
	s_waitcnt vmcnt(0)
	v_lshlrev_b32_e32 v12, 16, v9
.LBB189_197:                            ;   in Loop: Header=BB189_150 Depth=1
	s_or_b64 exec, exec, s[18:19]
	v_lshl_add_u64 v[10:11], v[6:7], 0, 21
	v_cmp_gt_i64_e32 vcc, s[12:13], v[10:11]
	v_mov_b32_e32 v10, 0
	v_mov_b32_e32 v9, 0
	v_mov_b32_e32 v13, 0
	s_and_saveexec_b64 s[18:19], vcc
	s_cbranch_execz .LBB189_199
; %bb.198:                              ;   in Loop: Header=BB189_150 Depth=1
	v_lshl_add_u64 v[14:15], v[176:177], 0, v[4:5]
	v_lshl_add_u64 v[16:17], v[178:179], 0, v[4:5]
	global_load_ushort v9, v[14:15], off
	global_load_ushort v11, v[16:17], off
	s_waitcnt vmcnt(1)
	v_lshlrev_b32_e32 v9, 16, v9
	s_waitcnt vmcnt(0)
	v_lshlrev_b32_e32 v13, 16, v11
.LBB189_199:                            ;   in Loop: Header=BB189_150 Depth=1
	s_or_b64 exec, exec, s[18:19]
	v_lshl_add_u64 v[14:15], v[6:7], 0, 22
	v_cmp_gt_i64_e32 vcc, s[12:13], v[14:15]
	v_mov_b32_e32 v16, 0
	s_and_saveexec_b64 s[18:19], vcc
	s_cbranch_execz .LBB189_201
; %bb.200:                              ;   in Loop: Header=BB189_150 Depth=1
	v_lshl_add_u64 v[10:11], v[172:173], 0, v[4:5]
	v_lshl_add_u64 v[14:15], v[174:175], 0, v[4:5]
	global_load_ushort v10, v[10:11], off
	s_nop 0
	global_load_ushort v11, v[14:15], off
	s_waitcnt vmcnt(1)
	v_lshlrev_b32_e32 v10, 16, v10
	s_waitcnt vmcnt(0)
	v_lshlrev_b32_e32 v16, 16, v11
.LBB189_201:                            ;   in Loop: Header=BB189_150 Depth=1
	s_or_b64 exec, exec, s[18:19]
	v_lshl_add_u64 v[14:15], v[6:7], 0, 23
	v_cmp_gt_i64_e32 vcc, s[12:13], v[14:15]
	v_mov_b32_e32 v14, 0
	v_mov_b32_e32 v11, 0
	v_mov_b32_e32 v17, 0
	s_and_saveexec_b64 s[18:19], vcc
	s_cbranch_execz .LBB189_203
; %bb.202:                              ;   in Loop: Header=BB189_150 Depth=1
	v_lshl_add_u64 v[18:19], v[168:169], 0, v[4:5]
	v_lshl_add_u64 v[20:21], v[170:171], 0, v[4:5]
	global_load_ushort v11, v[18:19], off
	global_load_ushort v15, v[20:21], off
	s_waitcnt vmcnt(1)
	v_lshlrev_b32_e32 v11, 16, v11
	s_waitcnt vmcnt(0)
	v_lshlrev_b32_e32 v17, 16, v15
.LBB189_203:                            ;   in Loop: Header=BB189_150 Depth=1
	;; [unrolled: 35-line block ×4, first 2 shown]
	s_or_b64 exec, exec, s[18:19]
	v_lshl_add_u64 v[28:29], v[6:7], 0, 28
	v_cmp_gt_i64_e32 vcc, s[12:13], v[28:29]
	v_mov_b32_e32 v28, 0
	s_and_saveexec_b64 s[18:19], vcc
	s_cbranch_execz .LBB189_213
; %bb.212:                              ;   in Loop: Header=BB189_150 Depth=1
	v_lshl_add_u64 v[22:23], v[148:149], 0, v[4:5]
	v_lshl_add_u64 v[28:29], v[150:151], 0, v[4:5]
	global_load_ushort v22, v[22:23], off
	s_nop 0
	global_load_ushort v23, v[28:29], off
	s_waitcnt vmcnt(1)
	v_lshlrev_b32_e32 v22, 16, v22
	s_waitcnt vmcnt(0)
	v_lshlrev_b32_e32 v28, 16, v23
.LBB189_213:                            ;   in Loop: Header=BB189_150 Depth=1
	s_or_b64 exec, exec, s[18:19]
	v_lshl_add_u64 v[36:37], v[6:7], 0, 29
	v_accvgpr_write_b32 a7, v39
	v_accvgpr_write_b32 a6, v38
	;; [unrolled: 1-line block ×5, first 2 shown]
	v_cmp_gt_i64_e32 vcc, s[12:13], v[36:37]
	v_mov_b32_e32 v26, 0
	v_mov_b32_e32 v23, 0
	;; [unrolled: 1-line block ×3, first 2 shown]
	s_and_saveexec_b64 s[18:19], vcc
	s_cbranch_execz .LBB189_215
; %bb.214:                              ;   in Loop: Header=BB189_150 Depth=1
	v_lshl_add_u64 v[36:37], v[144:145], 0, v[4:5]
	v_lshl_add_u64 v[38:39], v[146:147], 0, v[4:5]
	global_load_ushort v23, v[36:37], off
	global_load_ushort v29, v[38:39], off
	s_waitcnt vmcnt(1)
	v_lshlrev_b32_e32 v23, 16, v23
	s_waitcnt vmcnt(0)
	v_lshlrev_b32_e32 v29, 16, v29
.LBB189_215:                            ;   in Loop: Header=BB189_150 Depth=1
	s_or_b64 exec, exec, s[18:19]
	v_lshl_add_u64 v[36:37], v[6:7], 0, 30
	v_cmp_gt_i64_e32 vcc, s[12:13], v[36:37]
	v_mov_b32_e32 v30, 0
	s_and_saveexec_b64 s[18:19], vcc
	s_cbranch_execz .LBB189_217
; %bb.216:                              ;   in Loop: Header=BB189_150 Depth=1
	v_lshl_add_u64 v[36:37], v[140:141], 0, v[4:5]
	v_lshl_add_u64 v[38:39], v[142:143], 0, v[4:5]
	global_load_ushort v26, v[36:37], off
	global_load_ushort v30, v[38:39], off
	s_waitcnt vmcnt(1)
	v_lshlrev_b32_e32 v26, 16, v26
	s_waitcnt vmcnt(0)
	v_lshlrev_b32_e32 v30, 16, v30
.LBB189_217:                            ;   in Loop: Header=BB189_150 Depth=1
	s_or_b64 exec, exec, s[18:19]
	v_lshl_add_u64 v[36:37], v[6:7], 0, 31
	v_cmp_gt_i64_e32 vcc, s[12:13], v[36:37]
	v_mov_b32_e32 v35, 0
	s_and_saveexec_b64 s[18:19], vcc
	s_cbranch_execz .LBB189_219
; %bb.218:                              ;   in Loop: Header=BB189_150 Depth=1
	v_lshl_add_u64 v[36:37], v[136:137], 0, v[4:5]
	v_lshl_add_u64 v[38:39], v[138:139], 0, v[4:5]
	global_load_ushort v35, v[36:37], off
	s_nop 0
	global_load_ushort v36, v[38:39], off
	s_waitcnt vmcnt(1)
	v_lshlrev_b32_e32 v35, 16, v35
	s_waitcnt vmcnt(0)
	v_lshlrev_b32_e32 v36, 16, v36
	v_mul_f32_e32 v35, v36, v35
.LBB189_219:                            ;   in Loop: Header=BB189_150 Depth=1
	s_or_b64 exec, exec, s[18:19]
	s_waitcnt vmcnt(0)
	ds_bpermute_b32 v36, v27, v32
	v_accvgpr_read_b32 v37, a96             ;  Reload Reuse
	v_mul_f32_e32 v37, v37, v77
	v_accvgpr_read_b32 v39, a5
	v_mul_f32_e32 v31, v31, v34
	s_waitcnt lgkmcnt(0)
	v_fma_f32 v38, v37, v36, v33
	ds_bpermute_b32 v36, v27, v32 offset:4
	v_accvgpr_read_b32 v37, a4
	v_mul_f32_e32 v37, v37, v39
	v_accvgpr_read_b32 v39, a7
	v_pk_mul_f32 v[8:9], v[8:9], v[12:13]
	s_waitcnt lgkmcnt(0)
	v_fmac_f32_e32 v38, v37, v36
	ds_bpermute_b32 v36, v27, v32 offset:8
	v_accvgpr_read_b32 v37, a2
	v_mul_f32_e32 v37, v37, v39
	v_accvgpr_read_b32 v39, a98             ;  Reload Reuse
	v_pk_mul_f32 v[10:11], v[10:11], v[16:17]
	s_waitcnt lgkmcnt(0)
	v_fmac_f32_e32 v38, v37, v36
	ds_bpermute_b32 v36, v27, v32 offset:12
	v_accvgpr_read_b32 v37, a97             ;  Reload Reuse
	v_mul_f32_e32 v37, v37, v39
	v_accvgpr_read_b32 v39, a99             ;  Reload Reuse
	s_waitcnt lgkmcnt(0)
	v_fmac_f32_e32 v38, v37, v36
	ds_bpermute_b32 v36, v27, v32 offset:16
	v_accvgpr_read_b32 v37, a6
	v_mul_f32_e32 v37, v37, v39
	v_accvgpr_read_b32 v39, a101            ;  Reload Reuse
	s_waitcnt lgkmcnt(0)
	v_fmac_f32_e32 v38, v37, v36
	ds_bpermute_b32 v36, v27, v32 offset:20
	v_accvgpr_read_b32 v37, a100            ;  Reload Reuse
	v_mul_f32_e32 v37, v37, v39
	v_accvgpr_read_b32 v39, a105            ;  Reload Reuse
	s_waitcnt lgkmcnt(0)
	v_fmac_f32_e32 v38, v37, v36
	ds_bpermute_b32 v36, v27, v32 offset:24
	v_accvgpr_read_b32 v37, a102            ;  Reload Reuse
	v_mul_f32_e32 v37, v76, v37
	s_waitcnt lgkmcnt(0)
	v_fmac_f32_e32 v38, v37, v36
	ds_bpermute_b32 v36, v27, v32 offset:28
	v_accvgpr_read_b32 v37, a104            ;  Reload Reuse
	v_mul_f32_e32 v37, v37, v39
	v_accvgpr_read_b32 v39, a106            ;  Reload Reuse
	s_waitcnt lgkmcnt(0)
	v_fmac_f32_e32 v38, v37, v36
	ds_bpermute_b32 v36, v27, v32 offset:32
	v_accvgpr_read_b32 v37, a103            ;  Reload Reuse
	v_mul_f32_e32 v37, v37, v39
	v_accvgpr_read_b32 v39, a109            ;  Reload Reuse
	;; [unrolled: 6-line block ×11, first 2 shown]
	s_waitcnt lgkmcnt(0)
	v_fmac_f32_e32 v38, v37, v36
	ds_bpermute_b32 v36, v27, v32 offset:72
	v_accvgpr_read_b32 v37, a123            ;  Reload Reuse
	v_mul_f32_e32 v37, v37, v39
	s_waitcnt lgkmcnt(0)
	v_fmac_f32_e32 v38, v37, v36
	ds_bpermute_b32 v36, v27, v32 offset:76
	ds_bpermute_b32 v37, v27, v32 offset:84
	s_waitcnt lgkmcnt(1)
	v_fmac_f32_e32 v38, v31, v36
	ds_bpermute_b32 v36, v27, v32 offset:80
	s_waitcnt lgkmcnt(0)
	v_pk_mul_f32 v[8:9], v[8:9], v[36:37]
	s_nop 0
	v_add_f32_e32 v8, v38, v8
	v_add_f32_e32 v12, v8, v9
	ds_bpermute_b32 v8, v27, v32 offset:88
	ds_bpermute_b32 v9, v27, v32 offset:92
	s_waitcnt lgkmcnt(0)
	v_pk_mul_f32 v[8:9], v[10:11], v[8:9]
	s_nop 0
	v_add_f32_e32 v8, v12, v8
	v_add_f32_e32 v12, v8, v9
	ds_bpermute_b32 v8, v27, v32 offset:96
	ds_bpermute_b32 v9, v27, v32 offset:100
	v_pk_mul_f32 v[10:11], v[14:15], v[20:21]
	s_waitcnt lgkmcnt(0)
	v_pk_mul_f32 v[8:9], v[10:11], v[8:9]
	s_nop 0
	v_add_f32_e32 v8, v12, v8
	v_add_f32_e32 v12, v8, v9
	ds_bpermute_b32 v8, v27, v32 offset:104
	ds_bpermute_b32 v9, v27, v32 offset:108
	v_pk_mul_f32 v[10:11], v[18:19], v[24:25]
	;; [unrolled: 8-line block ×3, first 2 shown]
	s_waitcnt lgkmcnt(0)
	v_pk_mul_f32 v[8:9], v[10:11], v[8:9]
	s_nop 0
	v_add_f32_e32 v8, v12, v8
	v_add_f32_e32 v12, v8, v9
	ds_bpermute_b32 v8, v27, v32 offset:120
	ds_bpermute_b32 v9, v27, v32 offset:124
	v_pk_mul_f32 v[10:11], v[26:27], v[30:31] op_sel_hi:[1,0]
	s_nop 0
	v_mov_b32_e32 v11, v35
	s_waitcnt lgkmcnt(0)
	v_pk_mul_f32 v[8:9], v[10:11], v[8:9]
	s_nop 0
	v_add_f32_e32 v8, v12, v8
	v_add_f32_e32 v31, v8, v9
	s_branch .LBB189_226
.LBB189_220:                            ;   in Loop: Header=BB189_150 Depth=1
                                        ; implicit-def: $vgpr31
	s_cbranch_execz .LBB189_226
; %bb.221:                              ;   in Loop: Header=BB189_150 Depth=1
	s_load_dword s3, s[22:23], 0x0
	v_accvgpr_read_b32 v11, a3
	v_accvgpr_read_b32 v9, a0
	;; [unrolled: 1-line block ×3, first 2 shown]
	s_waitcnt lgkmcnt(0)
	s_cmp_lt_u32 s2, s3
	s_cselect_b32 s3, 12, 18
	s_add_u32 s18, s22, s3
	s_addc_u32 s19, s23, 0
	global_load_ushort v8, v11, s[18:19]
	s_waitcnt vmcnt(0)
	v_mad_u32_u24 v8, v10, v8, v9
	v_and_b32_e32 v10, 63, v8
	v_accvgpr_write_b32 a2, v10
	v_accvgpr_write_b32 a3, v11
	v_cmp_gt_u32_e32 vcc, 32, v10
	v_mov_b32_e32 v8, 0
	s_and_saveexec_b64 s[18:19], vcc
	s_cbranch_execz .LBB189_225
; %bb.222:                              ;   in Loop: Header=BB189_150 Depth=1
	v_accvgpr_read_b32 v9, a3
	v_accvgpr_read_b32 v8, a2
	v_lshl_add_u64 v[6:7], v[6:7], 0, v[8:9]
	v_cmp_gt_i64_e32 vcc, s[12:13], v[6:7]
	v_mov_b32_e32 v8, 0
	s_and_saveexec_b64 s[28:29], vcc
	s_cbranch_execz .LBB189_224
; %bb.223:                              ;   in Loop: Header=BB189_150 Depth=1
	v_lshl_add_u64 v[6:7], v[6:7], 2, s[10:11]
	global_load_dword v8, v[6:7], off
.LBB189_224:                            ;   in Loop: Header=BB189_150 Depth=1
	s_or_b64 exec, exec, s[28:29]
.LBB189_225:                            ;   in Loop: Header=BB189_150 Depth=1
	s_or_b64 exec, exec, s[18:19]
	v_lshl_add_u64 v[6:7], v[132:133], 0, v[4:5]
	global_load_ushort v9, v[6:7], off
	v_lshl_add_u64 v[6:7], v[134:135], 0, v[4:5]
	global_load_ushort v10, v[6:7], off
	;; [unrolled: 2-line block ×19, first 2 shown]
	v_accvgpr_read_b32 v6, a40
	v_accvgpr_read_b32 v7, a41
	v_lshl_add_u64 v[6:7], v[6:7], 0, v[4:5]
	global_load_ushort v29, v[6:7], off
	v_lshl_add_u64 v[6:7], v[70:71], 0, v[4:5]
	global_load_ushort v30, v[6:7], off
	v_accvgpr_read_b32 v6, a44
	v_accvgpr_read_b32 v7, a45
	v_lshl_add_u64 v[6:7], v[6:7], 0, v[4:5]
	global_load_ushort v31, v[6:7], off
	v_accvgpr_read_b32 v6, a42
	v_accvgpr_read_b32 v7, a43
	;; [unrolled: 4-line block ×9, first 2 shown]
	v_lshl_add_u64 v[6:7], v[6:7], 0, v[4:5]
	v_accvgpr_write_b32 a4, v40
	v_accvgpr_write_b32 a5, v41
	global_load_ushort v40, v[6:7], off
	v_accvgpr_read_b32 v6, a60
	v_accvgpr_read_b32 v7, a61
	v_lshl_add_u64 v[6:7], v[6:7], 0, v[4:5]
	global_load_ushort v41, v[6:7], off
	v_accvgpr_read_b32 v6, a62
	v_accvgpr_read_b32 v7, a63
	v_lshl_add_u64 v[6:7], v[6:7], 0, v[4:5]
	v_accvgpr_write_b32 a6, v42
	v_accvgpr_write_b32 a7, v43
	global_load_ushort v42, v[6:7], off
	v_accvgpr_read_b32 v6, a64
	v_accvgpr_read_b32 v7, a65
	v_lshl_add_u64 v[6:7], v[6:7], 0, v[4:5]
	global_load_ushort v43, v[6:7], off
	v_accvgpr_read_b32 v6, a66
	v_accvgpr_read_b32 v7, a67
	;; [unrolled: 10-line block ×4, first 2 shown]
	v_lshl_add_u64 v[6:7], v[6:7], 0, v[4:5]
	v_accvgpr_write_b32 a12, v48
	v_accvgpr_write_b32 a13, v49
	global_load_ushort v48, v[6:7], off
	v_lshl_add_u64 v[6:7], v[78:79], 0, v[4:5]
	global_load_ushort v49, v[6:7], off
	v_lshl_add_u64 v[6:7], v[80:81], 0, v[4:5]
	global_load_ushort v6, v[6:7], off
	s_waitcnt vmcnt(21)
	v_lshlrev_b32_e32 v7, 16, v28
	v_accvgpr_write_b32 a94, v7
	s_waitcnt vmcnt(20)
	v_lshlrev_b32_e32 v7, 16, v29
	v_accvgpr_write_b32 a95, v7
	;; [unrolled: 3-line block ×5, first 2 shown]
	v_accvgpr_write_b32 a26, v62
	v_accvgpr_write_b32 a28, v64
	;; [unrolled: 1-line block ×3, first 2 shown]
	s_waitcnt vmcnt(15)
	v_lshlrev_b32_e32 v7, 16, v35
	v_accvgpr_write_b32 a88, v7
	v_accvgpr_write_b32 a27, v63
	v_lshlrev_b32_e32 v62, 16, v12
	s_waitcnt vmcnt(14)
	v_lshlrev_b32_e32 v7, 16, v36
	v_accvgpr_write_b32 a90, v7
	v_lshlrev_b32_e32 v63, 16, v13
	v_accvgpr_write_b32 a29, v65
	s_waitcnt vmcnt(13)
	v_lshlrev_b32_e32 v7, 16, v37
	v_accvgpr_write_b32 a86, v7
	v_lshlrev_b32_e32 v64, 16, v14
	v_lshlrev_b32_e32 v65, 16, v15
	s_waitcnt vmcnt(12)
	v_lshlrev_b32_e32 v7, 16, v38
	v_accvgpr_write_b32 a89, v7
	v_lshl_add_u64 v[12:13], v[86:87], 0, v[4:5]
	v_lshl_add_u64 v[14:15], v[88:89], 0, v[4:5]
	s_waitcnt vmcnt(11)
	v_lshlrev_b32_e32 v7, 16, v39
	v_accvgpr_write_b32 a83, v7
	ds_bpermute_b32 v76, v27, v8
	v_accvgpr_write_b32 a25, v61
	v_lshlrev_b32_e32 v60, 16, v10
	v_lshlrev_b32_e32 v61, 16, v11
	s_waitcnt vmcnt(10)
	v_lshlrev_b32_e32 v7, 16, v40
	v_accvgpr_write_b32 a87, v7
	v_lshl_add_u64 v[10:11], v[84:85], 0, v[4:5]
	v_lshlrev_b32_e32 v9, 16, v9
	s_waitcnt vmcnt(9)
	v_lshlrev_b32_e32 v7, 16, v41
	v_accvgpr_write_b32 a81, v7
	v_mul_f32_e32 v9, v9, v60
	s_waitcnt lgkmcnt(0)
	v_fmac_f32_e32 v33, v9, v76
	ds_bpermute_b32 v9, v27, v8 offset:4
	v_accvgpr_write_b32 a30, v66
	s_waitcnt vmcnt(8)
	v_lshlrev_b32_e32 v7, 16, v42
	v_accvgpr_write_b32 a84, v7
	v_accvgpr_write_b32 a32, v68
	;; [unrolled: 1-line block ×3, first 2 shown]
	s_waitcnt vmcnt(7)
	v_lshlrev_b32_e32 v7, 16, v43
	v_accvgpr_write_b32 a82, v7
	v_mul_f32_e32 v60, v61, v62
	ds_bpermute_b32 v61, v27, v8 offset:8
	v_accvgpr_write_b32 a31, v67
	v_lshlrev_b32_e32 v66, 16, v16
	s_waitcnt vmcnt(6)
	v_lshlrev_b32_e32 v7, 16, v44
	v_accvgpr_write_b32 a85, v7
	v_lshlrev_b32_e32 v67, 16, v17
	v_accvgpr_write_b32 a33, v69
	s_waitcnt vmcnt(5)
	v_lshlrev_b32_e32 v7, 16, v45
	v_accvgpr_write_b32 a77, v7
	v_lshlrev_b32_e32 v68, 16, v18
	v_lshlrev_b32_e32 v69, 16, v19
	v_accvgpr_write_b32 a35, v71
	v_lshlrev_b32_e32 v70, 16, v20
	s_waitcnt vmcnt(4)
	v_lshlrev_b32_e32 v7, 16, v46
	v_accvgpr_write_b32 a80, v7
	v_lshlrev_b32_e32 v71, 16, v21
	v_accvgpr_write_b32 a36, v72
	v_lshl_add_u64 v[16:17], v[90:91], 0, v[4:5]
	v_lshl_add_u64 v[18:19], v[92:93], 0, v[4:5]
	;; [unrolled: 1-line block ×3, first 2 shown]
	v_accvgpr_write_b32 a37, v73
	v_lshlrev_b32_e32 v72, 16, v22
	v_lshlrev_b32_e32 v73, 16, v23
	s_waitcnt vmcnt(2)
	v_lshlrev_b32_e32 v7, 16, v48
	v_accvgpr_write_b32 a78, v7
	s_waitcnt vmcnt(1)
	v_lshlrev_b32_e32 v7, 16, v49
	v_accvgpr_write_b32 a2, v7
	;; [unrolled: 3-line block ×3, first 2 shown]
	v_lshl_add_u64 v[6:7], v[82:83], 0, v[4:5]
	global_load_ushort v12, v[12:13], off
	s_nop 0
	global_load_ushort v13, v[6:7], off
	s_nop 0
	;; [unrolled: 2-line block ×3, first 2 shown]
	global_load_ushort v15, v[10:11], off
	v_lshl_add_u64 v[22:23], v[96:97], 0, v[4:5]
	global_load_ushort v20, v[20:21], off
	s_nop 0
	global_load_ushort v16, v[16:17], off
	s_nop 0
	;; [unrolled: 2-line block ×3, first 2 shown]
	global_load_ushort v18, v[18:19], off
	s_waitcnt lgkmcnt(1)
	v_fmac_f32_e32 v33, v60, v9
	v_mul_f32_e32 v6, v63, v64
	s_waitcnt lgkmcnt(0)
	v_fmac_f32_e32 v33, v6, v61
	ds_bpermute_b32 v6, v27, v8 offset:12
	ds_bpermute_b32 v9, v27, v8 offset:16
	v_accvgpr_write_b32 a38, v74
	v_lshl_add_u64 v[30:31], v[102:103], 0, v[4:5]
	v_accvgpr_write_b32 a39, v75
	v_lshlrev_b32_e32 v74, 16, v24
	v_lshlrev_b32_e32 v75, 16, v25
	;; [unrolled: 1-line block ×3, first 2 shown]
	v_lshl_add_u64 v[24:25], v[98:99], 0, v[4:5]
	v_lshl_add_u64 v[28:29], v[100:101], 0, v[4:5]
	;; [unrolled: 1-line block ×3, first 2 shown]
	v_mul_f32_e32 v7, v65, v66
	global_load_ushort v19, v[30:31], off
	global_load_ushort v21, v[24:25], off
	;; [unrolled: 1-line block ×4, first 2 shown]
	s_waitcnt lgkmcnt(1)
	v_fmac_f32_e32 v33, v7, v6
	v_mul_f32_e32 v6, v67, v68
	s_waitcnt lgkmcnt(0)
	v_fmac_f32_e32 v33, v6, v9
	ds_bpermute_b32 v6, v27, v8 offset:20
	ds_bpermute_b32 v9, v27, v8 offset:24
	v_lshl_add_u64 v[36:37], v[106:107], 0, v[4:5]
	v_lshl_add_u64 v[38:39], v[108:109], 0, v[4:5]
	;; [unrolled: 1-line block ×3, first 2 shown]
	v_mul_f32_e32 v7, v69, v70
	v_lshl_add_u64 v[42:43], v[112:113], 0, v[4:5]
	s_waitcnt lgkmcnt(1)
	v_fmac_f32_e32 v33, v7, v6
	v_mul_f32_e32 v6, v71, v72
	global_load_ushort v24, v[40:41], off
	global_load_ushort v25, v[36:37], off
	;; [unrolled: 1-line block ×4, first 2 shown]
	s_waitcnt lgkmcnt(0)
	v_fmac_f32_e32 v33, v6, v9
	ds_bpermute_b32 v6, v27, v8 offset:28
	ds_bpermute_b32 v9, v27, v8 offset:32
	v_lshlrev_b32_e32 v26, 16, v26
	v_accvgpr_write_b32 a14, v50
	v_mul_f32_e32 v7, v73, v74
	v_lshlrev_b32_e32 v77, 16, v47
	v_lshl_add_u64 v[44:45], v[114:115], 0, v[4:5]
	v_lshl_add_u64 v[46:47], v[116:117], 0, v[4:5]
	;; [unrolled: 1-line block ×3, first 2 shown]
	v_accvgpr_write_b32 a15, v51
	v_lshl_add_u64 v[50:51], v[120:121], 0, v[4:5]
	s_waitcnt lgkmcnt(1)
	v_fmac_f32_e32 v33, v7, v6
	v_mul_f32_e32 v6, v75, v26
	s_waitcnt lgkmcnt(0)
	v_fmac_f32_e32 v33, v6, v9
	ds_bpermute_b32 v6, v27, v8 offset:36
	global_load_ushort v26, v[48:49], off
	global_load_ushort v30, v[44:45], off
	;; [unrolled: 1-line block ×4, first 2 shown]
	v_accvgpr_read_b32 v7, a94
	v_accvgpr_read_b32 v9, a95
	v_mul_f32_e32 v7, v7, v9
	v_accvgpr_write_b32 a16, v52
	v_accvgpr_write_b32 a18, v54
	;; [unrolled: 1-line block ×4, first 2 shown]
	s_waitcnt lgkmcnt(0)
	v_fmac_f32_e32 v33, v7, v6
	v_accvgpr_read_b32 v6, a92
	v_accvgpr_read_b32 v7, a93
	v_accvgpr_write_b32 a17, v53
	v_lshl_add_u64 v[52:53], v[122:123], 0, v[4:5]
	v_accvgpr_write_b32 a19, v55
	v_lshl_add_u64 v[54:55], v[124:125], 0, v[4:5]
	;; [unrolled: 2-line block ×4, first 2 shown]
	v_mul_f32_e32 v6, v6, v7
	v_accvgpr_read_b32 v7, a91
	v_mul_f32_e32 v7, v7, v32
	global_load_ushort v32, v[56:57], off
	global_load_ushort v35, v[52:53], off
	;; [unrolled: 1-line block ×4, first 2 shown]
	ds_bpermute_b32 v9, v27, v8 offset:40
	v_accvgpr_read_b32 v10, a90
	s_waitcnt vmcnt(23)
	v_lshlrev_b32_e32 v11, 16, v12
	s_waitcnt vmcnt(20)
	v_lshlrev_b32_e32 v12, 16, v15
	v_accvgpr_read_b32 v63, a27
	s_waitcnt lgkmcnt(0)
	v_fmac_f32_e32 v33, v6, v9
	ds_bpermute_b32 v6, v27, v8 offset:44
	ds_bpermute_b32 v9, v27, v8 offset:48
	v_accvgpr_read_b32 v61, a25
	v_accvgpr_read_b32 v65, a29
	;; [unrolled: 1-line block ×3, first 2 shown]
	s_waitcnt lgkmcnt(1)
	v_fmac_f32_e32 v33, v7, v6
	ds_bpermute_b32 v6, v27, v8 offset:52
	v_accvgpr_read_b32 v7, a88
	v_mul_f32_e32 v7, v7, v10
	s_waitcnt lgkmcnt(1)
	v_fmac_f32_e32 v33, v7, v9
	ds_bpermute_b32 v7, v27, v8 offset:56
	v_accvgpr_read_b32 v9, a86
	v_accvgpr_read_b32 v10, a89
	v_mul_f32_e32 v9, v9, v10
	s_waitcnt lgkmcnt(1)
	v_fmac_f32_e32 v33, v9, v6
	ds_bpermute_b32 v6, v27, v8 offset:60
	v_accvgpr_read_b32 v9, a83
	;; [unrolled: 6-line block ×3, first 2 shown]
	v_accvgpr_read_b32 v10, a84
	v_mul_f32_e32 v9, v9, v10
	s_waitcnt lgkmcnt(1)
	v_fmac_f32_e32 v33, v9, v6
	v_accvgpr_read_b32 v6, a82
	v_accvgpr_read_b32 v9, a85
	v_mul_f32_e32 v6, v6, v9
	ds_bpermute_b32 v9, v27, v8 offset:68
	s_waitcnt lgkmcnt(1)
	v_fmac_f32_e32 v33, v6, v7
	ds_bpermute_b32 v6, v27, v8 offset:72
	v_accvgpr_read_b32 v7, a77
	v_accvgpr_read_b32 v10, a80
	v_mul_f32_e32 v7, v7, v10
	ds_bpermute_b32 v10, v27, v8 offset:76
	s_waitcnt lgkmcnt(2)
	v_fmac_f32_e32 v33, v7, v9
	v_accvgpr_read_b32 v7, a78
	v_mul_f32_e32 v7, v77, v7
	s_waitcnt lgkmcnt(1)
	v_fmac_f32_e32 v33, v7, v6
	v_accvgpr_read_b32 v6, a2
	v_accvgpr_read_b32 v7, a79
	v_mul_f32_e32 v6, v6, v7
	s_waitcnt lgkmcnt(0)
	v_fmac_f32_e32 v33, v6, v10
	ds_bpermute_b32 v6, v27, v8 offset:80
	ds_bpermute_b32 v7, v27, v8 offset:84
	v_lshlrev_b32_e32 v10, 16, v13
	v_lshlrev_b32_e32 v13, 16, v14
	v_pk_mul_f32 v[10:11], v[10:11], v[12:13]
	s_waitcnt vmcnt(17)
	v_lshlrev_b32_e32 v13, 16, v17
	s_waitcnt lgkmcnt(0)
	v_pk_mul_f32 v[6:7], v[10:11], v[6:7]
	v_lshlrev_b32_e32 v11, 16, v20
	v_add_f32_e32 v6, v33, v6
	v_add_f32_e32 v9, v6, v7
	ds_bpermute_b32 v6, v27, v8 offset:88
	ds_bpermute_b32 v7, v27, v8 offset:92
	v_lshlrev_b32_e32 v10, 16, v16
	s_waitcnt vmcnt(16)
	v_lshlrev_b32_e32 v12, 16, v18
	v_pk_mul_f32 v[10:11], v[10:11], v[12:13]
	s_waitcnt vmcnt(13)
	v_lshlrev_b32_e32 v13, 16, v22
	s_waitcnt lgkmcnt(0)
	v_pk_mul_f32 v[6:7], v[10:11], v[6:7]
	v_lshlrev_b32_e32 v11, 16, v19
	v_add_f32_e32 v6, v9, v6
	v_add_f32_e32 v9, v6, v7
	ds_bpermute_b32 v6, v27, v8 offset:96
	ds_bpermute_b32 v7, v27, v8 offset:100
	v_lshlrev_b32_e32 v10, 16, v21
	s_waitcnt vmcnt(12)
	v_lshlrev_b32_e32 v12, 16, v23
	v_pk_mul_f32 v[10:11], v[10:11], v[12:13]
	s_waitcnt vmcnt(9)
	v_lshlrev_b32_e32 v13, 16, v28
	s_waitcnt lgkmcnt(0)
	v_pk_mul_f32 v[6:7], v[10:11], v[6:7]
	v_lshlrev_b32_e32 v11, 16, v24
	v_add_f32_e32 v6, v9, v6
	v_add_f32_e32 v9, v6, v7
	ds_bpermute_b32 v6, v27, v8 offset:104
	ds_bpermute_b32 v7, v27, v8 offset:108
	v_lshlrev_b32_e32 v10, 16, v25
	s_waitcnt vmcnt(8)
	v_lshlrev_b32_e32 v12, 16, v29
	v_pk_mul_f32 v[10:11], v[10:11], v[12:13]
	s_waitcnt vmcnt(5)
	v_lshlrev_b32_e32 v13, 16, v31
	s_waitcnt lgkmcnt(0)
	v_pk_mul_f32 v[6:7], v[10:11], v[6:7]
	v_lshlrev_b32_e32 v11, 16, v26
	v_add_f32_e32 v6, v9, v6
	v_add_f32_e32 v9, v6, v7
	ds_bpermute_b32 v6, v27, v8 offset:112
	ds_bpermute_b32 v7, v27, v8 offset:116
	v_lshlrev_b32_e32 v10, 16, v30
	s_waitcnt vmcnt(4)
	v_lshlrev_b32_e32 v12, 16, v34
	v_pk_mul_f32 v[10:11], v[10:11], v[12:13]
	v_accvgpr_read_b32 v69, a33
	s_waitcnt lgkmcnt(0)
	v_pk_mul_f32 v[6:7], v[10:11], v[6:7]
	s_waitcnt vmcnt(1)
	v_lshlrev_b32_e32 v11, 16, v36
	v_add_f32_e32 v6, v9, v6
	v_add_f32_e32 v12, v6, v7
	ds_bpermute_b32 v6, v27, v8 offset:120
	ds_bpermute_b32 v7, v27, v8 offset:124
	v_lshlrev_b32_e32 v9, 16, v32
	v_lshlrev_b32_e32 v8, 16, v35
	s_waitcnt vmcnt(0)
	v_lshlrev_b32_e32 v10, 16, v37
	v_pk_mul_f32 v[8:9], v[8:9], v[10:11]
	v_accvgpr_read_b32 v71, a35
	s_waitcnt lgkmcnt(0)
	v_pk_mul_f32 v[6:7], v[8:9], v[6:7]
	v_accvgpr_read_b32 v73, a37
	v_accvgpr_read_b32 v41, a5
	;; [unrolled: 1-line block ×12, first 2 shown]
	v_add_f32_e32 v6, v12, v6
	v_accvgpr_read_b32 v62, a26
	v_accvgpr_read_b32 v60, a24
	;; [unrolled: 1-line block ×18, first 2 shown]
	v_add_f32_e32 v31, v6, v7
.LBB189_226:                            ;   in Loop: Header=BB189_150 Depth=1
	s_add_u32 s16, s16, s4
	s_addc_u32 s17, s17, 0
	v_mov_b64_e32 v[6:7], s[12:13]
	v_cmp_ge_i64_e32 vcc, s[16:17], v[6:7]
	v_accvgpr_read_b32 v6, a42
	v_accvgpr_read_b32 v7, a43
	v_lshl_add_u64 v[6:7], v[6:7], 0, s[24:25]
	v_accvgpr_write_b32 a43, v7
	v_accvgpr_write_b32 a42, v6
	v_accvgpr_read_b32 v6, a48
	v_accvgpr_read_b32 v7, a49
	v_lshl_add_u64 v[6:7], v[6:7], 0, s[24:25]
	v_accvgpr_write_b32 a49, v7
	v_accvgpr_write_b32 a48, v6
	;; [unrolled: 5-line block ×17, first 2 shown]
	v_accvgpr_read_b32 v6, a74
	v_accvgpr_read_b32 v7, a75
	s_add_u32 s26, s26, s4
	v_lshl_add_u64 v[130:131], v[130:131], 0, s[4:5]
	v_lshl_add_u64 v[40:41], v[40:41], 0, s[24:25]
	;; [unrolled: 1-line block ×110, first 2 shown]
	s_addc_u32 s27, s27, 0
	s_cbranch_vccnz .LBB189_228
; %bb.227:                              ;   in Loop: Header=BB189_150 Depth=1
	v_accvgpr_write_b32 a75, v7
	v_accvgpr_write_b32 a74, v6
	v_mov_b32_e32 v33, v31
	s_branch .LBB189_150
.LBB189_228:
	v_accvgpr_read_b32 v0, a76
.LBB189_229:
	s_mov_b32 s3, 0
	s_lshl_b64 s[2:3], s[2:3], 6
	v_and_b32_e32 v1, 0x3ff, v0
	v_or_b32_e32 v8, s2, v1
	v_mov_b32_e32 v9, s3
	s_waitcnt lgkmcnt(0)
	s_cmp_lg_u64 s[6:7], 0
	v_cmp_gt_i64_e32 vcc, s[14:15], v[8:9]
	s_cselect_b64 s[2:3], -1, 0
	s_and_b64 s[2:3], vcc, s[2:3]
	s_and_saveexec_b64 s[4:5], s[2:3]
	s_cbranch_execz .LBB189_231
; %bb.230:
	s_load_dword s0, s[0:1], 0x4c
	v_bfe_u32 v2, v0, 10, 10
	v_mov_b32_e32 v3, 0
	v_mov_b32_e32 v4, s8
	;; [unrolled: 1-line block ×3, first 2 shown]
	s_waitcnt lgkmcnt(0)
	s_lshr_b32 s0, s0, 16
	v_mad_u64_u32 v[2:3], s[0:1], s0, v4, v[2:3]
	v_bfe_u32 v4, v31, 16, 1
	s_movk_i32 s0, 0x7fff
	v_add3_u32 v4, v31, v4, s0
	v_lshrrev_b32_e32 v4, 16, v4
	v_cmp_o_f32_e32 vcc, v31, v31
	v_mul_lo_u32 v6, v2, s15
	s_nop 0
	v_cndmask_b32_e32 v4, v5, v4, vcc
	v_mul_lo_u32 v5, v3, s14
	v_mad_u64_u32 v[2:3], s[0:1], v2, s14, 0
	v_add3_u32 v3, v3, v6, v5
	v_lshl_add_u64 v[2:3], v[2:3], 1, s[6:7]
	v_lshl_add_u64 v[0:1], v[8:9], 1, v[2:3]
	global_store_short v[0:1], v4, off
.LBB189_231:
	s_endpgm
	.section	.rodata,"a",@progbits
	.p2align	6, 0x0
	.amdhsa_kernel _ZN2at6native12_GLOBAL__N_135GammaBetaBackwardCUDAKernelTemplateIN3c108BFloat16EfLj64ELj1ELj32ELb1ELb0ELb1EEEvllPKT_S7_PKT0_SA_PS5_SB_
		.amdhsa_group_segment_fixed_size 0
		.amdhsa_private_segment_fixed_size 0
		.amdhsa_kernarg_size 320
		.amdhsa_user_sgpr_count 2
		.amdhsa_user_sgpr_dispatch_ptr 0
		.amdhsa_user_sgpr_queue_ptr 0
		.amdhsa_user_sgpr_kernarg_segment_ptr 1
		.amdhsa_user_sgpr_dispatch_id 0
		.amdhsa_user_sgpr_kernarg_preload_length 0
		.amdhsa_user_sgpr_kernarg_preload_offset 0
		.amdhsa_user_sgpr_private_segment_size 0
		.amdhsa_uses_dynamic_stack 0
		.amdhsa_enable_private_segment 0
		.amdhsa_system_sgpr_workgroup_id_x 1
		.amdhsa_system_sgpr_workgroup_id_y 1
		.amdhsa_system_sgpr_workgroup_id_z 0
		.amdhsa_system_sgpr_workgroup_info 0
		.amdhsa_system_vgpr_workitem_id 1
		.amdhsa_next_free_vgpr 383
		.amdhsa_next_free_sgpr 38
		.amdhsa_accum_offset 256
		.amdhsa_reserve_vcc 1
		.amdhsa_float_round_mode_32 0
		.amdhsa_float_round_mode_16_64 0
		.amdhsa_float_denorm_mode_32 3
		.amdhsa_float_denorm_mode_16_64 3
		.amdhsa_dx10_clamp 1
		.amdhsa_ieee_mode 1
		.amdhsa_fp16_overflow 0
		.amdhsa_tg_split 0
		.amdhsa_exception_fp_ieee_invalid_op 0
		.amdhsa_exception_fp_denorm_src 0
		.amdhsa_exception_fp_ieee_div_zero 0
		.amdhsa_exception_fp_ieee_overflow 0
		.amdhsa_exception_fp_ieee_underflow 0
		.amdhsa_exception_fp_ieee_inexact 0
		.amdhsa_exception_int_div_zero 0
	.end_amdhsa_kernel
	.section	.text._ZN2at6native12_GLOBAL__N_135GammaBetaBackwardCUDAKernelTemplateIN3c108BFloat16EfLj64ELj1ELj32ELb1ELb0ELb1EEEvllPKT_S7_PKT0_SA_PS5_SB_,"axG",@progbits,_ZN2at6native12_GLOBAL__N_135GammaBetaBackwardCUDAKernelTemplateIN3c108BFloat16EfLj64ELj1ELj32ELb1ELb0ELb1EEEvllPKT_S7_PKT0_SA_PS5_SB_,comdat
.Lfunc_end189:
	.size	_ZN2at6native12_GLOBAL__N_135GammaBetaBackwardCUDAKernelTemplateIN3c108BFloat16EfLj64ELj1ELj32ELb1ELb0ELb1EEEvllPKT_S7_PKT0_SA_PS5_SB_, .Lfunc_end189-_ZN2at6native12_GLOBAL__N_135GammaBetaBackwardCUDAKernelTemplateIN3c108BFloat16EfLj64ELj1ELj32ELb1ELb0ELb1EEEvllPKT_S7_PKT0_SA_PS5_SB_
                                        ; -- End function
	.section	.AMDGPU.csdata,"",@progbits
; Kernel info:
; codeLenInByte = 23424
; NumSgprs: 44
; NumVgprs: 256
; NumAgprs: 127
; TotalNumVgprs: 383
; ScratchSize: 0
; MemoryBound: 0
; FloatMode: 240
; IeeeMode: 1
; LDSByteSize: 0 bytes/workgroup (compile time only)
; SGPRBlocks: 5
; VGPRBlocks: 47
; NumSGPRsForWavesPerEU: 44
; NumVGPRsForWavesPerEU: 383
; AccumOffset: 256
; Occupancy: 1
; WaveLimiterHint : 0
; COMPUTE_PGM_RSRC2:SCRATCH_EN: 0
; COMPUTE_PGM_RSRC2:USER_SGPR: 2
; COMPUTE_PGM_RSRC2:TRAP_HANDLER: 0
; COMPUTE_PGM_RSRC2:TGID_X_EN: 1
; COMPUTE_PGM_RSRC2:TGID_Y_EN: 1
; COMPUTE_PGM_RSRC2:TGID_Z_EN: 0
; COMPUTE_PGM_RSRC2:TIDIG_COMP_CNT: 1
; COMPUTE_PGM_RSRC3_GFX90A:ACCUM_OFFSET: 63
; COMPUTE_PGM_RSRC3_GFX90A:TG_SPLIT: 0
	.section	.text._ZN2at6native12_GLOBAL__N_135GammaBetaBackwardCUDAKernelTemplateIN3c108BFloat16EfLj64ELj1ELj8ELb1ELb1ELb1EEEvllPKT_S7_PKT0_SA_PS5_SB_,"axG",@progbits,_ZN2at6native12_GLOBAL__N_135GammaBetaBackwardCUDAKernelTemplateIN3c108BFloat16EfLj64ELj1ELj8ELb1ELb1ELb1EEEvllPKT_S7_PKT0_SA_PS5_SB_,comdat
	.globl	_ZN2at6native12_GLOBAL__N_135GammaBetaBackwardCUDAKernelTemplateIN3c108BFloat16EfLj64ELj1ELj8ELb1ELb1ELb1EEEvllPKT_S7_PKT0_SA_PS5_SB_ ; -- Begin function _ZN2at6native12_GLOBAL__N_135GammaBetaBackwardCUDAKernelTemplateIN3c108BFloat16EfLj64ELj1ELj8ELb1ELb1ELb1EEEvllPKT_S7_PKT0_SA_PS5_SB_
	.p2align	8
	.type	_ZN2at6native12_GLOBAL__N_135GammaBetaBackwardCUDAKernelTemplateIN3c108BFloat16EfLj64ELj1ELj8ELb1ELb1ELb1EEEvllPKT_S7_PKT0_SA_PS5_SB_,@function
_ZN2at6native12_GLOBAL__N_135GammaBetaBackwardCUDAKernelTemplateIN3c108BFloat16EfLj64ELj1ELj8ELb1ELb1ELb1EEEvllPKT_S7_PKT0_SA_PS5_SB_: ; @_ZN2at6native12_GLOBAL__N_135GammaBetaBackwardCUDAKernelTemplateIN3c108BFloat16EfLj64ELj1ELj8ELb1ELb1ELb1EEEvllPKT_S7_PKT0_SA_PS5_SB_
; %bb.0:
	s_load_dwordx4 s[8:11], s[0:1], 0x0
	s_load_dwordx2 s[16:17], s[0:1], 0x30
	s_lshl_b32 s18, s3, 3
	s_mov_b32 s19, 0
	s_mov_b32 s6, s3
	s_waitcnt lgkmcnt(0)
	v_mov_b64_e32 v[2:3], s[8:9]
	v_cmp_ge_i64_e32 vcc, s[18:19], v[2:3]
	v_mov_b32_e32 v5, 0
	v_bfe_u32 v2, v0, 10, 10
	s_cbranch_vccnz .LBB190_7
; %bb.1:
	s_load_dword s3, s[0:1], 0x4c
	s_load_dword s7, s[0:1], 0x44
	s_load_dwordx4 s[12:15], s[0:1], 0x10
	s_load_dwordx2 s[22:23], s[0:1], 0x28
	v_and_b32_e32 v1, 0x3ff, v0
	s_waitcnt lgkmcnt(0)
	s_and_b32 s3, s3, 0xffff
	v_mad_u32_u24 v3, v2, s3, v1
	v_lshlrev_b32_e32 v4, 3, v2
	v_mov_b32_e32 v5, 0
	v_lshl_or_b32 v10, s2, 6, v1
	v_mbcnt_lo_u32_b32 v1, -1, 0
	v_and_b32_e32 v6, 63, v3
	v_mov_b32_e32 v7, v5
	v_mbcnt_hi_u32_b32 v1, -1, v1
	s_lshl_b32 s20, s7, 3
	v_lshl_add_u64 v[12:13], v[4:5], 0, s[18:19]
	v_cmp_gt_u32_e64 s[4:5], 8, v6
	v_mov_b32_e32 v11, v5
	v_lshlrev_b32_e32 v1, 2, v1
	v_lshl_add_u64 v[6:7], v[12:13], 0, v[6:7]
	v_mul_lo_u32 v4, s11, v12
	v_mul_lo_u32 v20, s10, v13
	v_mad_u64_u32 v[12:13], s[24:25], s10, v12, 0
	s_mul_i32 s3, s11, s20
	s_mul_hi_u32 s7, s10, s20
	v_and_b32_e32 v1, 0x100, v1
	s_mov_b32 s21, s19
	v_add3_u32 v13, v13, v20, v4
	v_lshlrev_b64 v[10:11], 1, v[10:11]
	s_add_i32 s25, s7, s3
	s_mul_i32 s24, s10, s20
	v_or_b32_e32 v3, 4, v1
	v_or_b32_e32 v14, 8, v1
	v_or_b32_e32 v15, 12, v1
	v_or_b32_e32 v16, 16, v1
	v_or_b32_e32 v17, 20, v1
	v_or_b32_e32 v18, 24, v1
	v_or_b32_e32 v19, 28, v1
	v_lshl_add_u64 v[8:9], v[6:7], 2, s[22:23]
	s_lshl_b64 s[22:23], s[20:21], 2
	v_lshl_add_u64 v[10:11], v[12:13], 1, v[10:11]
	s_lshl_b64 s[24:25], s[24:25], 1
	s_lshl_b64 s[26:27], s[10:11], 1
	v_mov_b64_e32 v[12:13], s[8:9]
	s_branch .LBB190_4
.LBB190_2:                              ;   in Loop: Header=BB190_4 Depth=1
	s_or_b64 exec, exec, s[30:31]
.LBB190_3:                              ;   in Loop: Header=BB190_4 Depth=1
	s_or_b64 exec, exec, s[28:29]
	v_lshl_add_u64 v[20:21], s[12:13], 0, v[10:11]
	v_lshl_add_u64 v[22:23], s[14:15], 0, v[10:11]
	;; [unrolled: 1-line block ×5, first 2 shown]
	global_load_ushort v32, v[20:21], off
	global_load_ushort v33, v[22:23], off
	;; [unrolled: 1-line block ×4, first 2 shown]
	v_lshl_add_u64 v[30:31], v[26:27], 0, s[26:27]
	v_lshl_add_u64 v[20:21], v[28:29], 0, s[26:27]
	global_load_ushort v36, v[28:29], off
	global_load_ushort v37, v[30:31], off
	v_lshl_add_u64 v[22:23], v[30:31], 0, s[26:27]
	global_load_ushort v38, v[20:21], off
	global_load_ushort v39, v[22:23], off
	v_lshl_add_u64 v[20:21], v[20:21], 0, s[26:27]
	v_lshl_add_u64 v[22:23], v[22:23], 0, s[26:27]
	global_load_ushort v40, v[20:21], off
	global_load_ushort v41, v[22:23], off
	v_lshl_add_u64 v[20:21], v[20:21], 0, s[26:27]
	;; [unrolled: 4-line block ×4, first 2 shown]
	v_lshl_add_u64 v[22:23], v[22:23], 0, s[26:27]
	global_load_ushort v46, v[20:21], off
	global_load_ushort v47, v[22:23], off
	s_waitcnt vmcnt(16)
	ds_bpermute_b32 v20, v1, v4
	ds_bpermute_b32 v21, v3, v4
	;; [unrolled: 1-line block ×8, first 2 shown]
	s_add_u32 s18, s18, s20
	s_addc_u32 s19, s19, 0
	v_cmp_lt_i64_e32 vcc, s[18:19], v[12:13]
	v_lshl_add_u64 v[8:9], v[8:9], 0, s[22:23]
	v_lshl_add_u64 v[6:7], v[6:7], 0, s[20:21]
	;; [unrolled: 1-line block ×3, first 2 shown]
	s_and_b64 vcc, exec, vcc
	s_waitcnt vmcnt(15)
	v_lshlrev_b32_e32 v28, 16, v32
	s_waitcnt vmcnt(14)
	v_lshlrev_b32_e32 v30, 16, v33
	s_waitcnt vmcnt(13)
	v_lshlrev_b32_e32 v29, 16, v34
	s_waitcnt vmcnt(12)
	v_lshlrev_b32_e32 v31, 16, v35
	v_pk_mul_f32 v[28:29], v[28:29], v[30:31]
	s_waitcnt vmcnt(11)
	v_lshlrev_b32_e32 v30, 16, v36
	s_waitcnt vmcnt(10)
	v_lshlrev_b32_e32 v32, 16, v37
	s_waitcnt lgkmcnt(6)
	v_pk_mul_f32 v[20:21], v[28:29], v[20:21]
	s_waitcnt vmcnt(9)
	v_lshlrev_b32_e32 v31, 16, v38
	s_waitcnt vmcnt(8)
	v_lshlrev_b32_e32 v33, 16, v39
	v_add_f32_e32 v29, v5, v20
	v_pk_mul_f32 v[4:5], v[30:31], v[32:33]
	s_waitcnt vmcnt(7)
	v_lshlrev_b32_e32 v20, 16, v40
	s_waitcnt vmcnt(6)
	v_lshlrev_b32_e32 v28, 16, v41
	v_add_f32_e32 v30, v29, v21
	s_waitcnt lgkmcnt(4)
	v_pk_mul_f32 v[4:5], v[4:5], v[22:23]
	s_waitcnt vmcnt(5)
	v_lshlrev_b32_e32 v21, 16, v42
	s_waitcnt vmcnt(4)
	v_lshlrev_b32_e32 v29, 16, v43
	v_add_f32_e32 v23, v30, v4
	v_pk_mul_f32 v[20:21], v[20:21], v[28:29]
	s_waitcnt vmcnt(3)
	v_lshlrev_b32_e32 v4, 16, v44
	s_waitcnt vmcnt(2)
	v_lshlrev_b32_e32 v22, 16, v45
	v_add_f32_e32 v28, v23, v5
	s_waitcnt lgkmcnt(2)
	v_pk_mul_f32 v[20:21], v[20:21], v[24:25]
	s_waitcnt vmcnt(1)
	v_lshlrev_b32_e32 v5, 16, v46
	s_waitcnt vmcnt(0)
	v_lshlrev_b32_e32 v23, 16, v47
	v_add_f32_e32 v20, v28, v20
	v_pk_mul_f32 v[4:5], v[4:5], v[22:23]
	v_add_f32_e32 v20, v20, v21
	s_waitcnt lgkmcnt(0)
	v_pk_mul_f32 v[4:5], v[4:5], v[26:27]
	s_nop 0
	v_add_f32_e32 v4, v20, v4
	v_add_f32_e32 v5, v4, v5
	s_cbranch_vccz .LBB190_7
.LBB190_4:                              ; =>This Inner Loop Header: Depth=1
	v_mov_b32_e32 v4, 0
	s_and_saveexec_b64 s[28:29], s[4:5]
	s_cbranch_execz .LBB190_3
; %bb.5:                                ;   in Loop: Header=BB190_4 Depth=1
	v_cmp_gt_i64_e32 vcc, s[8:9], v[6:7]
	v_mov_b32_e32 v4, 0
	s_and_saveexec_b64 s[30:31], vcc
	s_cbranch_execz .LBB190_2
; %bb.6:                                ;   in Loop: Header=BB190_4 Depth=1
	global_load_dword v4, v[8:9], off
	s_branch .LBB190_2
.LBB190_7:
	s_cmp_eq_u64 s[16:17], 0
	s_cbranch_scc1 .LBB190_9
; %bb.8:
	s_load_dword s0, s[0:1], 0x4c
	v_mov_b32_e32 v3, 0
	v_mov_b32_e32 v1, s6
	s_mov_b32 s3, 0
	v_cmp_o_f32_e32 vcc, v5, v5
	s_waitcnt lgkmcnt(0)
	s_lshr_b32 s0, s0, 16
	v_mad_u64_u32 v[6:7], s[0:1], s0, v1, v[2:3]
	v_bfe_u32 v1, v5, 16, 1
	s_movk_i32 s0, 0x7fff
	v_add3_u32 v1, v5, v1, s0
	v_mad_u64_u32 v[4:5], s[0:1], v6, s10, 0
	v_lshrrev_b32_e32 v1, 16, v1
	v_mov_b32_e32 v2, 0x7fc0
	s_lshl_b64 s[0:1], s[2:3], 7
	v_cndmask_b32_e32 v8, v2, v1, vcc
	v_mul_lo_u32 v1, v7, s10
	v_mul_lo_u32 v2, v6, s11
	s_add_u32 s0, s0, s16
	v_add3_u32 v5, v5, v2, v1
	s_addc_u32 s1, s1, s17
	v_and_b32_e32 v0, 0x3ff, v0
	v_lshl_add_u64 v[4:5], v[4:5], 1, s[0:1]
	v_lshlrev_b32_e32 v2, 1, v0
	v_lshl_add_u64 v[0:1], v[4:5], 0, v[2:3]
	global_store_short v[0:1], v8, off
.LBB190_9:
	s_endpgm
	.section	.rodata,"a",@progbits
	.p2align	6, 0x0
	.amdhsa_kernel _ZN2at6native12_GLOBAL__N_135GammaBetaBackwardCUDAKernelTemplateIN3c108BFloat16EfLj64ELj1ELj8ELb1ELb1ELb1EEEvllPKT_S7_PKT0_SA_PS5_SB_
		.amdhsa_group_segment_fixed_size 0
		.amdhsa_private_segment_fixed_size 0
		.amdhsa_kernarg_size 320
		.amdhsa_user_sgpr_count 2
		.amdhsa_user_sgpr_dispatch_ptr 0
		.amdhsa_user_sgpr_queue_ptr 0
		.amdhsa_user_sgpr_kernarg_segment_ptr 1
		.amdhsa_user_sgpr_dispatch_id 0
		.amdhsa_user_sgpr_kernarg_preload_length 0
		.amdhsa_user_sgpr_kernarg_preload_offset 0
		.amdhsa_user_sgpr_private_segment_size 0
		.amdhsa_uses_dynamic_stack 0
		.amdhsa_enable_private_segment 0
		.amdhsa_system_sgpr_workgroup_id_x 1
		.amdhsa_system_sgpr_workgroup_id_y 1
		.amdhsa_system_sgpr_workgroup_id_z 0
		.amdhsa_system_sgpr_workgroup_info 0
		.amdhsa_system_vgpr_workitem_id 1
		.amdhsa_next_free_vgpr 48
		.amdhsa_next_free_sgpr 32
		.amdhsa_accum_offset 48
		.amdhsa_reserve_vcc 1
		.amdhsa_float_round_mode_32 0
		.amdhsa_float_round_mode_16_64 0
		.amdhsa_float_denorm_mode_32 3
		.amdhsa_float_denorm_mode_16_64 3
		.amdhsa_dx10_clamp 1
		.amdhsa_ieee_mode 1
		.amdhsa_fp16_overflow 0
		.amdhsa_tg_split 0
		.amdhsa_exception_fp_ieee_invalid_op 0
		.amdhsa_exception_fp_denorm_src 0
		.amdhsa_exception_fp_ieee_div_zero 0
		.amdhsa_exception_fp_ieee_overflow 0
		.amdhsa_exception_fp_ieee_underflow 0
		.amdhsa_exception_fp_ieee_inexact 0
		.amdhsa_exception_int_div_zero 0
	.end_amdhsa_kernel
	.section	.text._ZN2at6native12_GLOBAL__N_135GammaBetaBackwardCUDAKernelTemplateIN3c108BFloat16EfLj64ELj1ELj8ELb1ELb1ELb1EEEvllPKT_S7_PKT0_SA_PS5_SB_,"axG",@progbits,_ZN2at6native12_GLOBAL__N_135GammaBetaBackwardCUDAKernelTemplateIN3c108BFloat16EfLj64ELj1ELj8ELb1ELb1ELb1EEEvllPKT_S7_PKT0_SA_PS5_SB_,comdat
.Lfunc_end190:
	.size	_ZN2at6native12_GLOBAL__N_135GammaBetaBackwardCUDAKernelTemplateIN3c108BFloat16EfLj64ELj1ELj8ELb1ELb1ELb1EEEvllPKT_S7_PKT0_SA_PS5_SB_, .Lfunc_end190-_ZN2at6native12_GLOBAL__N_135GammaBetaBackwardCUDAKernelTemplateIN3c108BFloat16EfLj64ELj1ELj8ELb1ELb1ELb1EEEvllPKT_S7_PKT0_SA_PS5_SB_
                                        ; -- End function
	.section	.AMDGPU.csdata,"",@progbits
; Kernel info:
; codeLenInByte = 1152
; NumSgprs: 38
; NumVgprs: 48
; NumAgprs: 0
; TotalNumVgprs: 48
; ScratchSize: 0
; MemoryBound: 0
; FloatMode: 240
; IeeeMode: 1
; LDSByteSize: 0 bytes/workgroup (compile time only)
; SGPRBlocks: 4
; VGPRBlocks: 5
; NumSGPRsForWavesPerEU: 38
; NumVGPRsForWavesPerEU: 48
; AccumOffset: 48
; Occupancy: 8
; WaveLimiterHint : 0
; COMPUTE_PGM_RSRC2:SCRATCH_EN: 0
; COMPUTE_PGM_RSRC2:USER_SGPR: 2
; COMPUTE_PGM_RSRC2:TRAP_HANDLER: 0
; COMPUTE_PGM_RSRC2:TGID_X_EN: 1
; COMPUTE_PGM_RSRC2:TGID_Y_EN: 1
; COMPUTE_PGM_RSRC2:TGID_Z_EN: 0
; COMPUTE_PGM_RSRC2:TIDIG_COMP_CNT: 1
; COMPUTE_PGM_RSRC3_GFX90A:ACCUM_OFFSET: 11
; COMPUTE_PGM_RSRC3_GFX90A:TG_SPLIT: 0
	.section	.text._ZN2at6native12_GLOBAL__N_135GammaBetaBackwardCUDAKernelTemplateIN3c108BFloat16EfLj64ELj1ELj8ELb1ELb0ELb1EEEvllPKT_S7_PKT0_SA_PS5_SB_,"axG",@progbits,_ZN2at6native12_GLOBAL__N_135GammaBetaBackwardCUDAKernelTemplateIN3c108BFloat16EfLj64ELj1ELj8ELb1ELb0ELb1EEEvllPKT_S7_PKT0_SA_PS5_SB_,comdat
	.globl	_ZN2at6native12_GLOBAL__N_135GammaBetaBackwardCUDAKernelTemplateIN3c108BFloat16EfLj64ELj1ELj8ELb1ELb0ELb1EEEvllPKT_S7_PKT0_SA_PS5_SB_ ; -- Begin function _ZN2at6native12_GLOBAL__N_135GammaBetaBackwardCUDAKernelTemplateIN3c108BFloat16EfLj64ELj1ELj8ELb1ELb0ELb1EEEvllPKT_S7_PKT0_SA_PS5_SB_
	.p2align	8
	.type	_ZN2at6native12_GLOBAL__N_135GammaBetaBackwardCUDAKernelTemplateIN3c108BFloat16EfLj64ELj1ELj8ELb1ELb0ELb1EEEvllPKT_S7_PKT0_SA_PS5_SB_,@function
_ZN2at6native12_GLOBAL__N_135GammaBetaBackwardCUDAKernelTemplateIN3c108BFloat16EfLj64ELj1ELj8ELb1ELb0ELb1EEEvllPKT_S7_PKT0_SA_PS5_SB_: ; @_ZN2at6native12_GLOBAL__N_135GammaBetaBackwardCUDAKernelTemplateIN3c108BFloat16EfLj64ELj1ELj8ELb1ELb0ELb1EEEvllPKT_S7_PKT0_SA_PS5_SB_
; %bb.0:
	s_load_dwordx8 s[12:19], s[0:1], 0x0
	s_load_dwordx2 s[10:11], s[0:1], 0x28
	s_mov_b32 s8, s3
	s_lshl_b32 s3, s2, 6
	s_or_b32 s28, s3, 63
	s_mov_b32 s29, 0
	s_waitcnt lgkmcnt(0)
	v_mov_b64_e32 v[2:3], s[14:15]
	v_cmp_ge_i64_e32 vcc, s[28:29], v[2:3]
	s_lshl_b32 s28, s8, 3
	v_mov_b64_e32 v[2:3], s[12:13]
	v_cmp_lt_i64_e64 s[4:5], s[28:29], v[2:3]
	s_nop 1
	v_cndmask_b32_e64 v1, 0, 1, s[4:5]
	v_cmp_ne_u32_e64 s[4:5], 1, v1
	s_cbranch_vccz .LBB191_49
; %bb.1:
	s_and_b64 vcc, exec, s[4:5]
	v_mov_b32_e32 v4, 0
	s_cbranch_vccnz .LBB191_50
; %bb.2:
	v_mov_b32_e32 v3, 0
	v_bfe_u32 v64, v0, 10, 10
	s_load_dword s9, s[0:1], 0x44
	v_lshlrev_b32_e32 v26, 3, v64
	v_mov_b32_e32 v27, v3
	v_and_b32_e32 v1, 0x3ff, v0
	v_lshl_add_u64 v[4:5], v[26:27], 0, s[28:29]
	v_add_u32_e32 v2, s3, v1
	v_lshl_add_u64 v[6:7], v[4:5], 0, 7
	s_add_u32 s30, s0, 64
	v_cmp_gt_i64_e64 s[6:7], s[14:15], v[2:3]
	v_lshlrev_b64 v[28:29], 1, v[2:3]
	v_mul_lo_u32 v2, s15, v6
	v_mul_lo_u32 v8, s14, v7
	v_mad_u64_u32 v[6:7], s[22:23], s14, v6, 0
	s_addc_u32 s31, s1, 0
	s_waitcnt lgkmcnt(0)
	s_lshl_b32 s34, s9, 3
	v_add3_u32 v7, v7, v8, v2
	v_lshlrev_b64 v[6:7], 1, v[6:7]
	s_mul_i32 s9, s15, s34
	s_mul_hi_u32 s21, s14, s34
	v_lshl_add_u64 v[30:31], s[16:17], 0, v[6:7]
	s_add_i32 s23, s21, s9
	s_mul_i32 s22, s14, s34
	v_lshl_add_u64 v[32:33], s[18:19], 0, v[6:7]
	v_lshl_add_u64 v[6:7], v[4:5], 0, 6
	s_lshl_b64 s[38:39], s[22:23], 1
	v_mul_lo_u32 v2, s15, v6
	v_mul_lo_u32 v8, s14, v7
	v_mad_u64_u32 v[6:7], s[22:23], s14, v6, 0
	v_add3_u32 v7, v7, v8, v2
	v_lshlrev_b64 v[6:7], 1, v[6:7]
	v_lshl_add_u64 v[34:35], s[16:17], 0, v[6:7]
	v_lshl_add_u64 v[36:37], s[18:19], 0, v[6:7]
	v_lshl_add_u64 v[6:7], v[4:5], 0, 5
	v_mul_lo_u32 v2, s15, v6
	v_mul_lo_u32 v8, s14, v7
	v_mad_u64_u32 v[6:7], s[22:23], s14, v6, 0
	v_add3_u32 v7, v7, v8, v2
	v_lshlrev_b64 v[6:7], 1, v[6:7]
	v_lshl_add_u64 v[38:39], s[16:17], 0, v[6:7]
	v_lshl_add_u64 v[40:41], s[18:19], 0, v[6:7]
	v_lshl_add_u64 v[6:7], v[4:5], 0, 4
	;; [unrolled: 8-line block ×4, first 2 shown]
	v_mul_lo_u32 v2, s15, v6
	v_mul_lo_u32 v8, s14, v7
	v_mad_u64_u32 v[6:7], s[22:23], s14, v6, 0
	v_add3_u32 v7, v7, v8, v2
	v_lshlrev_b64 v[6:7], 1, v[6:7]
	v_lshl_add_u64 v[50:51], s[16:17], 0, v[6:7]
	v_lshl_add_u64 v[52:53], s[18:19], 0, v[6:7]
	v_mov_b64_e32 v[6:7], s[14:15]
	v_mad_u64_u32 v[6:7], s[22:23], s14, v4, v[6:7]
	v_mul_lo_u32 v2, s14, v5
	v_mul_lo_u32 v8, s15, v4
	v_mad_u64_u32 v[4:5], s[22:23], s14, v4, 0
	v_add3_u32 v7, v8, v7, v2
	v_add3_u32 v5, v5, v2, v8
	v_mbcnt_lo_u32_b32 v2, -1, 0
	v_mbcnt_hi_u32_b32 v2, -1, v2
	s_mov_b32 s20, 0
	v_lshlrev_b64 v[6:7], 1, v[6:7]
	v_lshlrev_b64 v[4:5], 1, v[4:5]
	v_lshlrev_b32_e32 v2, 2, v2
	s_mov_b32 s35, s20
	s_mov_b64 s[36:37], 7
	v_lshl_add_u64 v[54:55], s[16:17], 0, v[6:7]
	v_lshl_add_u64 v[56:57], s[18:19], 0, v[6:7]
	;; [unrolled: 1-line block ×4, first 2 shown]
	v_and_b32_e32 v65, 0x100, v2
	s_mov_b64 s[40:41], s[28:29]
	v_mov_b32_e32 v66, 0
.LBB191_3:                              ; =>This Inner Loop Header: Depth=1
	s_add_u32 s22, s28, s36
	s_addc_u32 s23, 0, s37
	v_mov_b64_e32 v[4:5], s[12:13]
	v_cmp_ge_i64_e32 vcc, s[22:23], v[4:5]
	v_lshl_add_u64 v[62:63], s[28:29], 0, v[26:27]
	s_cbranch_vccz .LBB191_25
; %bb.4:                                ;   in Loop: Header=BB191_3 Depth=1
	s_load_dword s9, s[30:31], 0xc
	v_mov_b32_e32 v67, 0
	s_waitcnt lgkmcnt(0)
	s_and_b32 s9, s9, 0xffff
	v_mad_u32_u24 v2, v64, s9, v1
	v_and_b32_e32 v2, 63, v2
	v_cmp_gt_u32_e32 vcc, 8, v2
	s_and_saveexec_b64 s[22:23], vcc
	s_cbranch_execz .LBB191_8
; %bb.5:                                ;   in Loop: Header=BB191_3 Depth=1
	v_lshl_add_u64 v[4:5], v[62:63], 0, v[2:3]
	v_cmp_gt_i64_e32 vcc, s[12:13], v[4:5]
	v_mov_b32_e32 v67, 0
	s_and_saveexec_b64 s[24:25], vcc
	s_cbranch_execz .LBB191_7
; %bb.6:                                ;   in Loop: Header=BB191_3 Depth=1
	v_lshl_add_u64 v[4:5], v[4:5], 2, s[10:11]
	global_load_dword v67, v[4:5], off
.LBB191_7:                              ;   in Loop: Header=BB191_3 Depth=1
	s_or_b64 exec, exec, s[24:25]
.LBB191_8:                              ;   in Loop: Header=BB191_3 Depth=1
	s_or_b64 exec, exec, s[22:23]
	s_mov_b32 s21, s20
	s_mov_b32 s22, s20
	;; [unrolled: 1-line block ×7, first 2 shown]
	v_mov_b64_e32 v[10:11], s[20:21]
	v_mov_b64_e32 v[16:17], s[26:27]
	v_cmp_gt_i64_e32 vcc, s[12:13], v[62:63]
	v_mov_b64_e32 v[12:13], s[22:23]
	v_mov_b64_e32 v[14:15], s[24:25]
	;; [unrolled: 1-line block ×3, first 2 shown]
	s_and_b64 s[42:43], s[6:7], vcc
	v_mov_b64_e32 v[22:23], v[14:15]
	v_mov_b64_e32 v[20:21], v[12:13]
	;; [unrolled: 1-line block ×3, first 2 shown]
	s_and_saveexec_b64 s[22:23], s[42:43]
	s_cbranch_execz .LBB191_10
; %bb.9:                                ;   in Loop: Header=BB191_3 Depth=1
	v_lshl_add_u64 v[4:5], v[58:59], 0, v[28:29]
	global_load_ushort v2, v[4:5], off
	v_lshl_add_u64 v[4:5], v[60:61], 0, v[28:29]
	global_load_ushort v10, v[4:5], off
	v_mov_b32_e32 v8, v3
	v_mov_b32_e32 v9, v3
	v_mov_b32_e32 v4, v3
	v_mov_b32_e32 v5, v3
	v_mov_b32_e32 v6, v3
	v_mov_b32_e32 v7, v3
	v_mov_b32_e32 v11, v3
	v_mov_b32_e32 v12, v3
	v_mov_b32_e32 v13, v3
	v_mov_b32_e32 v14, v3
	v_mov_b32_e32 v15, v3
	v_mov_b32_e32 v16, v3
	v_mov_b32_e32 v17, v3
	s_waitcnt vmcnt(1)
	v_lshlrev_b32_e32 v2, 16, v2
	v_mov_b64_e32 v[24:25], v[8:9]
	s_waitcnt vmcnt(0)
	v_lshlrev_b32_e32 v10, 16, v10
	v_mov_b64_e32 v[22:23], v[6:7]
	v_mov_b64_e32 v[20:21], v[4:5]
	;; [unrolled: 1-line block ×3, first 2 shown]
.LBB191_10:                             ;   in Loop: Header=BB191_3 Depth=1
	s_or_b64 exec, exec, s[22:23]
	v_lshl_add_u64 v[4:5], v[62:63], 0, 1
	v_cmp_gt_i64_e32 vcc, s[12:13], v[4:5]
	s_and_b64 s[24:25], s[6:7], vcc
	s_and_saveexec_b64 s[22:23], s[24:25]
	s_cbranch_execz .LBB191_12
; %bb.11:                               ;   in Loop: Header=BB191_3 Depth=1
	v_lshl_add_u64 v[4:5], v[54:55], 0, v[28:29]
	global_load_ushort v2, v[4:5], off
	v_lshl_add_u64 v[4:5], v[56:57], 0, v[28:29]
	global_load_ushort v4, v[4:5], off
	s_waitcnt vmcnt(1)
	v_lshlrev_b32_e32 v19, 16, v2
	s_waitcnt vmcnt(0)
	v_lshlrev_b32_e32 v11, 16, v4
.LBB191_12:                             ;   in Loop: Header=BB191_3 Depth=1
	s_or_b64 exec, exec, s[22:23]
	v_lshl_add_u64 v[4:5], v[62:63], 0, 2
	v_cmp_gt_i64_e32 vcc, s[12:13], v[4:5]
	s_and_b64 s[24:25], s[6:7], vcc
	s_and_saveexec_b64 s[22:23], s[24:25]
	s_cbranch_execz .LBB191_14
; %bb.13:                               ;   in Loop: Header=BB191_3 Depth=1
	v_lshl_add_u64 v[4:5], v[50:51], 0, v[28:29]
	global_load_ushort v2, v[4:5], off
	v_lshl_add_u64 v[4:5], v[52:53], 0, v[28:29]
	global_load_ushort v4, v[4:5], off
	s_waitcnt vmcnt(1)
	v_lshlrev_b32_e32 v20, 16, v2
	s_waitcnt vmcnt(0)
	v_lshlrev_b32_e32 v12, 16, v4
.LBB191_14:                             ;   in Loop: Header=BB191_3 Depth=1
	;; [unrolled: 16-line block ×7, first 2 shown]
	s_or_b64 exec, exec, s[22:23]
	s_waitcnt vmcnt(0)
	ds_bpermute_b32 v4, v65, v67 offset:4
	ds_bpermute_b32 v5, v65, v67 offset:8
	ds_bpermute_b32 v2, v65, v67
	v_mul_f32_e32 v8, v10, v18
	v_pk_mul_f32 v[10:11], v[10:11], v[18:19]
	v_pk_mul_f32 v[12:13], v[12:13], v[20:21]
	v_mov_b32_e32 v10, v11
	v_mov_b32_e32 v11, v12
	s_waitcnt lgkmcnt(1)
	v_pk_mul_f32 v[4:5], v[10:11], v[4:5]
	ds_bpermute_b32 v10, v65, v67 offset:12
	ds_bpermute_b32 v11, v65, v67 offset:16
	s_waitcnt lgkmcnt(2)
	v_fma_f32 v2, v8, v2, v66
	v_pk_mul_f32 v[8:9], v[14:15], v[22:23]
	v_add_f32_e32 v2, v2, v4
	v_add_f32_e32 v2, v2, v5
	v_mov_b32_e32 v4, v13
	v_mov_b32_e32 v5, v8
	s_waitcnt lgkmcnt(0)
	v_pk_mul_f32 v[4:5], v[4:5], v[10:11]
	ds_bpermute_b32 v10, v65, v67 offset:20
	ds_bpermute_b32 v11, v65, v67 offset:24
	v_pk_mul_f32 v[6:7], v[16:17], v[24:25]
	v_add_f32_e32 v2, v2, v4
	v_add_f32_e32 v7, v2, v5
	ds_bpermute_b32 v2, v65, v67 offset:28
	v_mov_b32_e32 v4, v9
	v_mov_b32_e32 v5, v6
	s_waitcnt lgkmcnt(1)
	v_pk_mul_f32 v[4:5], v[4:5], v[10:11]
	s_nop 0
	v_add_f32_e32 v4, v7, v4
	v_add_f32_e32 v4, v4, v5
	s_branch .LBB191_40
.LBB191_25:                             ;   in Loop: Header=BB191_3 Depth=1
                                        ; implicit-def: $vgpr4
                                        ; implicit-def: $vgpr10_vgpr11_vgpr12_vgpr13_vgpr14_vgpr15_vgpr16_vgpr17
                                        ; implicit-def: $vgpr18_vgpr19_vgpr20_vgpr21_vgpr22_vgpr23_vgpr24_vgpr25
                                        ; implicit-def: $vgpr2
	s_cbranch_execz .LBB191_40
; %bb.26:                               ;   in Loop: Header=BB191_3 Depth=1
	s_load_dword s9, s[30:31], 0x0
	v_mov_b32_e32 v67, 0
	s_waitcnt lgkmcnt(0)
	s_cmp_lt_u32 s2, s9
	s_cselect_b32 s9, 12, 18
	s_add_u32 s22, s30, s9
	s_addc_u32 s23, s31, 0
	global_load_ushort v2, v3, s[22:23]
	s_waitcnt vmcnt(0)
	v_mad_u32_u24 v2, v64, v2, v1
	v_and_b32_e32 v2, 63, v2
	v_cmp_gt_u32_e32 vcc, 8, v2
	s_and_saveexec_b64 s[22:23], vcc
	s_cbranch_execz .LBB191_30
; %bb.27:                               ;   in Loop: Header=BB191_3 Depth=1
	v_lshl_add_u64 v[4:5], v[62:63], 0, v[2:3]
	v_cmp_gt_i64_e32 vcc, s[12:13], v[4:5]
	v_mov_b32_e32 v67, 0
	s_and_saveexec_b64 s[24:25], vcc
	s_cbranch_execz .LBB191_29
; %bb.28:                               ;   in Loop: Header=BB191_3 Depth=1
	v_lshl_add_u64 v[4:5], v[4:5], 2, s[10:11]
	global_load_dword v67, v[4:5], off
.LBB191_29:                             ;   in Loop: Header=BB191_3 Depth=1
	s_or_b64 exec, exec, s[24:25]
.LBB191_30:                             ;   in Loop: Header=BB191_3 Depth=1
	s_or_b64 exec, exec, s[22:23]
	s_mov_b32 s21, s20
	s_mov_b32 s22, s20
	;; [unrolled: 1-line block ×7, first 2 shown]
	v_mov_b64_e32 v[10:11], s[20:21]
	v_mov_b64_e32 v[16:17], s[26:27]
	;; [unrolled: 1-line block ×8, first 2 shown]
	s_and_saveexec_b64 s[22:23], s[6:7]
	s_cbranch_execnz .LBB191_42
; %bb.31:                               ;   in Loop: Header=BB191_3 Depth=1
	s_or_b64 exec, exec, s[22:23]
	s_and_saveexec_b64 s[22:23], s[6:7]
	s_cbranch_execnz .LBB191_43
.LBB191_32:                             ;   in Loop: Header=BB191_3 Depth=1
	s_or_b64 exec, exec, s[22:23]
	s_and_saveexec_b64 s[22:23], s[6:7]
	s_cbranch_execnz .LBB191_44
.LBB191_33:                             ;   in Loop: Header=BB191_3 Depth=1
	s_or_b64 exec, exec, s[22:23]
	s_and_saveexec_b64 s[22:23], s[6:7]
	s_cbranch_execnz .LBB191_45
.LBB191_34:                             ;   in Loop: Header=BB191_3 Depth=1
	s_or_b64 exec, exec, s[22:23]
	s_and_saveexec_b64 s[22:23], s[6:7]
	s_cbranch_execnz .LBB191_46
.LBB191_35:                             ;   in Loop: Header=BB191_3 Depth=1
	s_or_b64 exec, exec, s[22:23]
	s_and_saveexec_b64 s[22:23], s[6:7]
	s_cbranch_execnz .LBB191_47
.LBB191_36:                             ;   in Loop: Header=BB191_3 Depth=1
	s_or_b64 exec, exec, s[22:23]
	s_and_saveexec_b64 s[22:23], s[6:7]
	s_cbranch_execnz .LBB191_48
.LBB191_37:                             ;   in Loop: Header=BB191_3 Depth=1
	s_or_b64 exec, exec, s[22:23]
	s_and_saveexec_b64 s[22:23], s[6:7]
	s_cbranch_execz .LBB191_39
.LBB191_38:                             ;   in Loop: Header=BB191_3 Depth=1
	v_lshl_add_u64 v[4:5], v[30:31], 0, v[28:29]
	global_load_ushort v2, v[4:5], off
	v_lshl_add_u64 v[4:5], v[32:33], 0, v[28:29]
	global_load_ushort v4, v[4:5], off
	s_waitcnt vmcnt(1)
	v_lshlrev_b32_e32 v25, 16, v2
	s_waitcnt vmcnt(0)
	v_lshlrev_b32_e32 v17, 16, v4
.LBB191_39:                             ;   in Loop: Header=BB191_3 Depth=1
	s_or_b64 exec, exec, s[22:23]
	s_waitcnt vmcnt(0)
	ds_bpermute_b32 v4, v65, v67 offset:4
	ds_bpermute_b32 v5, v65, v67 offset:8
	ds_bpermute_b32 v2, v65, v67
	v_mul_f32_e32 v8, v10, v18
	v_pk_mul_f32 v[10:11], v[10:11], v[18:19]
	v_pk_mul_f32 v[12:13], v[12:13], v[20:21]
	v_mov_b32_e32 v10, v11
	v_mov_b32_e32 v11, v12
	s_waitcnt lgkmcnt(1)
	v_pk_mul_f32 v[4:5], v[10:11], v[4:5]
	ds_bpermute_b32 v10, v65, v67 offset:12
	ds_bpermute_b32 v11, v65, v67 offset:16
	s_waitcnt lgkmcnt(2)
	v_fmac_f32_e32 v66, v8, v2
	v_pk_mul_f32 v[8:9], v[14:15], v[22:23]
	v_add_f32_e32 v2, v66, v4
	v_add_f32_e32 v2, v2, v5
	v_mov_b32_e32 v4, v13
	v_mov_b32_e32 v5, v8
	s_waitcnt lgkmcnt(0)
	v_pk_mul_f32 v[4:5], v[4:5], v[10:11]
	ds_bpermute_b32 v10, v65, v67 offset:20
	ds_bpermute_b32 v11, v65, v67 offset:24
	v_pk_mul_f32 v[6:7], v[16:17], v[24:25]
	v_add_f32_e32 v2, v2, v4
	v_add_f32_e32 v7, v2, v5
	v_mov_b32_e32 v4, v9
	v_mov_b32_e32 v5, v6
	s_waitcnt lgkmcnt(0)
	v_pk_mul_f32 v[4:5], v[4:5], v[10:11]
	ds_bpermute_b32 v2, v65, v67 offset:28
	v_add_f32_e32 v4, v7, v4
	v_add_f32_e32 v4, v4, v5
.LBB191_40:                             ;   in Loop: Header=BB191_3 Depth=1
	s_add_u32 s40, s40, s34
	s_addc_u32 s41, s41, 0
	v_mov_b64_e32 v[6:7], s[12:13]
	v_mul_f32_e32 v5, v25, v17
	s_add_u32 s36, s36, s34
	v_cmp_lt_i64_e32 vcc, s[40:41], v[6:7]
	s_waitcnt lgkmcnt(0)
	v_fmac_f32_e32 v4, v5, v2
	v_lshl_add_u64 v[30:31], v[30:31], 0, s[38:39]
	v_lshl_add_u64 v[32:33], v[32:33], 0, s[38:39]
	;; [unrolled: 1-line block ×17, first 2 shown]
	s_addc_u32 s37, s37, 0
	s_cbranch_vccz .LBB191_50
; %bb.41:                               ;   in Loop: Header=BB191_3 Depth=1
	v_mov_b32_e32 v66, v4
	s_branch .LBB191_3
.LBB191_42:                             ;   in Loop: Header=BB191_3 Depth=1
	v_lshl_add_u64 v[4:5], v[58:59], 0, v[28:29]
	global_load_ushort v2, v[4:5], off
	v_lshl_add_u64 v[4:5], v[60:61], 0, v[28:29]
	global_load_ushort v10, v[4:5], off
	v_mov_b32_e32 v8, v3
	v_mov_b32_e32 v9, v3
	;; [unrolled: 1-line block ×13, first 2 shown]
	s_waitcnt vmcnt(1)
	v_lshlrev_b32_e32 v2, 16, v2
	v_mov_b64_e32 v[24:25], v[8:9]
	s_waitcnt vmcnt(0)
	v_lshlrev_b32_e32 v10, 16, v10
	v_mov_b64_e32 v[22:23], v[6:7]
	v_mov_b64_e32 v[20:21], v[4:5]
	;; [unrolled: 1-line block ×3, first 2 shown]
	s_or_b64 exec, exec, s[22:23]
	s_and_saveexec_b64 s[22:23], s[6:7]
	s_cbranch_execz .LBB191_32
.LBB191_43:                             ;   in Loop: Header=BB191_3 Depth=1
	v_lshl_add_u64 v[4:5], v[54:55], 0, v[28:29]
	global_load_ushort v2, v[4:5], off
	v_lshl_add_u64 v[4:5], v[56:57], 0, v[28:29]
	global_load_ushort v4, v[4:5], off
	s_waitcnt vmcnt(1)
	v_lshlrev_b32_e32 v19, 16, v2
	s_waitcnt vmcnt(0)
	v_lshlrev_b32_e32 v11, 16, v4
	s_or_b64 exec, exec, s[22:23]
	s_and_saveexec_b64 s[22:23], s[6:7]
	s_cbranch_execz .LBB191_33
.LBB191_44:                             ;   in Loop: Header=BB191_3 Depth=1
	v_lshl_add_u64 v[4:5], v[50:51], 0, v[28:29]
	global_load_ushort v2, v[4:5], off
	v_lshl_add_u64 v[4:5], v[52:53], 0, v[28:29]
	global_load_ushort v4, v[4:5], off
	s_waitcnt vmcnt(1)
	v_lshlrev_b32_e32 v20, 16, v2
	s_waitcnt vmcnt(0)
	v_lshlrev_b32_e32 v12, 16, v4
	s_or_b64 exec, exec, s[22:23]
	s_and_saveexec_b64 s[22:23], s[6:7]
	s_cbranch_execz .LBB191_34
.LBB191_45:                             ;   in Loop: Header=BB191_3 Depth=1
	v_lshl_add_u64 v[4:5], v[46:47], 0, v[28:29]
	global_load_ushort v2, v[4:5], off
	v_lshl_add_u64 v[4:5], v[48:49], 0, v[28:29]
	global_load_ushort v4, v[4:5], off
	s_waitcnt vmcnt(1)
	v_lshlrev_b32_e32 v21, 16, v2
	s_waitcnt vmcnt(0)
	v_lshlrev_b32_e32 v13, 16, v4
	s_or_b64 exec, exec, s[22:23]
	s_and_saveexec_b64 s[22:23], s[6:7]
	s_cbranch_execz .LBB191_35
.LBB191_46:                             ;   in Loop: Header=BB191_3 Depth=1
	v_lshl_add_u64 v[4:5], v[42:43], 0, v[28:29]
	global_load_ushort v2, v[4:5], off
	v_lshl_add_u64 v[4:5], v[44:45], 0, v[28:29]
	global_load_ushort v4, v[4:5], off
	s_waitcnt vmcnt(1)
	v_lshlrev_b32_e32 v22, 16, v2
	s_waitcnt vmcnt(0)
	v_lshlrev_b32_e32 v14, 16, v4
	s_or_b64 exec, exec, s[22:23]
	s_and_saveexec_b64 s[22:23], s[6:7]
	s_cbranch_execz .LBB191_36
.LBB191_47:                             ;   in Loop: Header=BB191_3 Depth=1
	v_lshl_add_u64 v[4:5], v[38:39], 0, v[28:29]
	global_load_ushort v2, v[4:5], off
	v_lshl_add_u64 v[4:5], v[40:41], 0, v[28:29]
	global_load_ushort v4, v[4:5], off
	s_waitcnt vmcnt(1)
	v_lshlrev_b32_e32 v23, 16, v2
	s_waitcnt vmcnt(0)
	v_lshlrev_b32_e32 v15, 16, v4
	s_or_b64 exec, exec, s[22:23]
	s_and_saveexec_b64 s[22:23], s[6:7]
	s_cbranch_execz .LBB191_37
.LBB191_48:                             ;   in Loop: Header=BB191_3 Depth=1
	v_lshl_add_u64 v[4:5], v[34:35], 0, v[28:29]
	global_load_ushort v2, v[4:5], off
	v_lshl_add_u64 v[4:5], v[36:37], 0, v[28:29]
	global_load_ushort v4, v[4:5], off
	s_waitcnt vmcnt(1)
	v_lshlrev_b32_e32 v24, 16, v2
	s_waitcnt vmcnt(0)
	v_lshlrev_b32_e32 v16, 16, v4
	s_or_b64 exec, exec, s[22:23]
	s_and_saveexec_b64 s[22:23], s[6:7]
	s_cbranch_execnz .LBB191_38
	s_branch .LBB191_39
.LBB191_49:
                                        ; implicit-def: $vgpr4
	s_load_dwordx2 s[6:7], s[0:1], 0x30
	s_branch .LBB191_51
.LBB191_50:
	s_load_dwordx2 s[6:7], s[0:1], 0x30
	s_cbranch_execnz .LBB191_83
.LBB191_51:
	s_and_b64 vcc, exec, s[4:5]
	v_mov_b32_e32 v4, 0
	s_cbranch_vccnz .LBB191_83
; %bb.52:
	v_and_b32_e32 v1, 0x3ff, v0
	v_add_u32_e32 v2, s3, v1
	v_mov_b32_e32 v3, 0
	v_bfe_u32 v92, v0, 10, 10
	v_lshlrev_b64 v[28:29], 1, v[2:3]
	v_lshlrev_b32_e32 v2, 4, v92
	v_lshl_add_u64 v[4:5], s[28:29], 1, v[2:3]
	v_lshl_add_u64 v[6:7], v[4:5], 0, 2
	v_mov_b64_e32 v[8:9], s[16:17]
	v_lshl_add_u64 v[10:11], v[4:5], 0, 4
	v_lshl_add_u64 v[12:13], v[4:5], 0, 6
	;; [unrolled: 1-line block ×6, first 2 shown]
	v_mad_u64_u32 v[30:31], s[4:5], s14, v6, v[8:9]
	v_mad_u64_u32 v[32:33], s[4:5], s14, v10, v[8:9]
	;; [unrolled: 1-line block ×7, first 2 shown]
	v_mov_b64_e32 v[8:9], s[18:19]
	v_lshlrev_b32_e32 v26, 3, v92
	v_mov_b32_e32 v27, v3
	v_mul_lo_u32 v2, s14, v7
	v_mul_lo_u32 v7, s15, v6
	v_mad_u64_u32 v[44:45], s[4:5], s14, v6, v[8:9]
	v_add3_u32 v31, v7, v31, v2
	v_mul_lo_u32 v5, s14, v5
	v_mul_lo_u32 v25, s15, v4
	v_add3_u32 v45, v7, v45, v2
	v_lshl_add_u64 v[6:7], v[26:27], 0, s[28:29]
	v_mad_u64_u32 v[56:57], s[4:5], s14, v4, v[8:9]
	v_add3_u32 v43, v25, v43, v5
	v_add3_u32 v57, v25, v57, v5
	v_lshl_add_u64 v[4:5], v[6:7], 0, 7
	v_mad_u64_u32 v[46:47], s[4:5], s14, v10, v[8:9]
	v_mad_u64_u32 v[48:49], s[4:5], s14, v12, v[8:9]
	;; [unrolled: 1-line block ×5, first 2 shown]
	v_mul_lo_u32 v8, s15, v4
	v_mul_lo_u32 v9, s14, v5
	v_mad_u64_u32 v[4:5], s[4:5], s14, v4, 0
	v_mul_lo_u32 v11, s14, v11
	v_mul_lo_u32 v20, s15, v10
	v_add3_u32 v5, v5, v9, v8
	v_lshl_add_u64 v[8:9], v[6:7], 0, 6
	v_add3_u32 v33, v20, v33, v11
	v_add3_u32 v47, v20, v47, v11
	v_mul_lo_u32 v10, s15, v8
	v_mul_lo_u32 v11, s14, v9
	v_mad_u64_u32 v[8:9], s[4:5], s14, v8, 0
	v_mul_lo_u32 v13, s14, v13
	v_mul_lo_u32 v21, s15, v12
	v_add3_u32 v9, v9, v11, v10
	v_lshl_add_u64 v[10:11], v[6:7], 0, 5
	v_add3_u32 v35, v21, v35, v13
	v_add3_u32 v49, v21, v49, v13
	;; [unrolled: 9-line block ×4, first 2 shown]
	v_mul_lo_u32 v16, s15, v14
	v_mul_lo_u32 v17, s14, v15
	v_mad_u64_u32 v[14:15], s[4:5], s14, v14, 0
	v_mul_lo_u32 v19, s14, v19
	v_mul_lo_u32 v24, s15, v18
	v_add3_u32 v15, v15, v17, v16
	v_lshl_add_u64 v[16:17], v[6:7], 0, 2
	s_load_dword s3, s[0:1], 0x44
	v_add3_u32 v41, v24, v41, v19
	v_add3_u32 v55, v24, v55, v19
	v_mul_lo_u32 v18, s15, v16
	v_mul_lo_u32 v19, s14, v17
	v_mad_u64_u32 v[16:17], s[4:5], s14, v16, 0
	v_lshlrev_b64 v[4:5], 1, v[4:5]
	v_add3_u32 v17, v17, v19, v18
	v_mov_b64_e32 v[18:19], s[14:15]
	v_lshl_add_u64 v[62:63], s[16:17], 0, v[4:5]
	v_lshl_add_u64 v[64:65], s[18:19], 0, v[4:5]
	v_lshlrev_b64 v[4:5], 1, v[8:9]
	v_mul_lo_u32 v2, s15, v6
	v_mad_u64_u32 v[18:19], s[4:5], s14, v6, v[18:19]
	v_mul_lo_u32 v20, s14, v7
	v_mad_u64_u32 v[6:7], s[4:5], s14, v6, 0
	v_lshl_add_u64 v[66:67], s[16:17], 0, v[4:5]
	v_lshl_add_u64 v[68:69], s[18:19], 0, v[4:5]
	v_lshlrev_b64 v[4:5], 1, v[10:11]
	s_add_u32 s4, s0, 64
	v_lshl_add_u64 v[70:71], s[16:17], 0, v[4:5]
	v_lshl_add_u64 v[72:73], s[18:19], 0, v[4:5]
	v_lshlrev_b64 v[4:5], 1, v[12:13]
	v_add3_u32 v7, v7, v20, v2
	v_add3_u32 v19, v2, v19, v20
	s_addc_u32 s5, s1, 0
	s_waitcnt lgkmcnt(0)
	s_lshl_b32 s30, s3, 3
	v_lshl_add_u64 v[74:75], s[16:17], 0, v[4:5]
	v_lshl_add_u64 v[76:77], s[18:19], 0, v[4:5]
	v_lshlrev_b64 v[4:5], 1, v[14:15]
	v_mbcnt_lo_u32_b32 v2, -1, 0
	s_mul_i32 s3, s15, s30
	s_mul_hi_u32 s9, s14, s30
	v_lshl_add_u64 v[78:79], s[16:17], 0, v[4:5]
	v_lshl_add_u64 v[80:81], s[18:19], 0, v[4:5]
	v_lshlrev_b64 v[4:5], 1, v[16:17]
	v_mbcnt_hi_u32_b32 v2, -1, v2
	s_mov_b32 s20, 0
	s_add_i32 s23, s9, s3
	s_mul_i32 s22, s14, s30
	v_lshlrev_b64 v[6:7], 1, v[6:7]
	v_lshl_add_u64 v[82:83], s[16:17], 0, v[4:5]
	v_lshl_add_u64 v[84:85], s[18:19], 0, v[4:5]
	v_lshlrev_b64 v[4:5], 1, v[18:19]
	v_lshlrev_b32_e32 v2, 2, v2
	s_mov_b32 s31, s20
	s_lshl_b64 s[34:35], s[22:23], 1
	v_lshl_add_u64 v[58:59], s[16:17], 0, v[6:7]
	v_lshl_add_u64 v[60:61], s[18:19], 0, v[6:7]
	s_mov_b64 s[36:37], 7
	v_lshl_add_u64 v[86:87], s[16:17], 0, v[4:5]
	v_lshl_add_u64 v[88:89], s[18:19], 0, v[4:5]
	v_and_b32_e32 v93, 0x100, v2
	s_mov_b64 s[16:17], s[28:29]
	v_mov_b32_e32 v94, 0
.LBB191_53:                             ; =>This Inner Loop Header: Depth=1
	s_add_u32 s18, s28, s36
	s_addc_u32 s19, 0, s37
	v_mov_b64_e32 v[4:5], s[12:13]
	v_cmp_ge_i64_e32 vcc, s[18:19], v[4:5]
	v_lshl_add_u64 v[90:91], s[28:29], 0, v[26:27]
	s_cbranch_vccz .LBB191_75
; %bb.54:                               ;   in Loop: Header=BB191_53 Depth=1
	s_load_dword s3, s[4:5], 0xc
	v_mov_b32_e32 v95, 0
	s_waitcnt lgkmcnt(0)
	s_and_b32 s3, s3, 0xffff
	v_mad_u32_u24 v2, v92, s3, v1
	v_and_b32_e32 v2, 63, v2
	v_cmp_gt_u32_e32 vcc, 8, v2
	s_and_saveexec_b64 s[18:19], vcc
	s_cbranch_execz .LBB191_58
; %bb.55:                               ;   in Loop: Header=BB191_53 Depth=1
	v_lshl_add_u64 v[4:5], v[90:91], 0, v[2:3]
	v_cmp_gt_i64_e32 vcc, s[12:13], v[4:5]
	v_mov_b32_e32 v95, 0
	s_and_saveexec_b64 s[22:23], vcc
	s_cbranch_execz .LBB191_57
; %bb.56:                               ;   in Loop: Header=BB191_53 Depth=1
	v_lshl_add_u64 v[4:5], v[4:5], 2, s[10:11]
	global_load_dword v95, v[4:5], off
.LBB191_57:                             ;   in Loop: Header=BB191_53 Depth=1
	s_or_b64 exec, exec, s[22:23]
.LBB191_58:                             ;   in Loop: Header=BB191_53 Depth=1
	s_or_b64 exec, exec, s[18:19]
	s_mov_b32 s21, s20
	s_mov_b32 s22, s20
	;; [unrolled: 1-line block ×7, first 2 shown]
	v_mov_b64_e32 v[10:11], s[20:21]
	v_mov_b64_e32 v[16:17], s[26:27]
	;; [unrolled: 1-line block ×5, first 2 shown]
	v_cmp_gt_i64_e32 vcc, s[12:13], v[90:91]
	v_mov_b64_e32 v[22:23], v[14:15]
	v_mov_b64_e32 v[20:21], v[12:13]
	;; [unrolled: 1-line block ×3, first 2 shown]
	s_and_saveexec_b64 s[18:19], vcc
	s_cbranch_execz .LBB191_60
; %bb.59:                               ;   in Loop: Header=BB191_53 Depth=1
	v_lshl_add_u64 v[4:5], v[58:59], 0, v[28:29]
	global_load_ushort v2, v[4:5], off
	v_lshl_add_u64 v[4:5], v[60:61], 0, v[28:29]
	global_load_ushort v10, v[4:5], off
	v_mov_b32_e32 v8, v3
	v_mov_b32_e32 v9, v3
	;; [unrolled: 1-line block ×13, first 2 shown]
	s_waitcnt vmcnt(1)
	v_lshlrev_b32_e32 v2, 16, v2
	v_mov_b64_e32 v[24:25], v[8:9]
	s_waitcnt vmcnt(0)
	v_lshlrev_b32_e32 v10, 16, v10
	v_mov_b64_e32 v[22:23], v[6:7]
	v_mov_b64_e32 v[20:21], v[4:5]
	;; [unrolled: 1-line block ×3, first 2 shown]
.LBB191_60:                             ;   in Loop: Header=BB191_53 Depth=1
	s_or_b64 exec, exec, s[18:19]
	v_lshl_add_u64 v[4:5], v[90:91], 0, 1
	v_cmp_gt_i64_e32 vcc, s[12:13], v[4:5]
	s_and_saveexec_b64 s[18:19], vcc
	s_cbranch_execz .LBB191_62
; %bb.61:                               ;   in Loop: Header=BB191_53 Depth=1
	v_lshl_add_u64 v[4:5], v[86:87], 0, v[28:29]
	global_load_ushort v2, v[4:5], off
	v_lshl_add_u64 v[4:5], v[88:89], 0, v[28:29]
	global_load_ushort v4, v[4:5], off
	s_waitcnt vmcnt(1)
	v_lshlrev_b32_e32 v19, 16, v2
	s_waitcnt vmcnt(0)
	v_lshlrev_b32_e32 v11, 16, v4
.LBB191_62:                             ;   in Loop: Header=BB191_53 Depth=1
	s_or_b64 exec, exec, s[18:19]
	v_lshl_add_u64 v[4:5], v[90:91], 0, 2
	v_cmp_gt_i64_e32 vcc, s[12:13], v[4:5]
	s_and_saveexec_b64 s[18:19], vcc
	s_cbranch_execz .LBB191_64
; %bb.63:                               ;   in Loop: Header=BB191_53 Depth=1
	v_lshl_add_u64 v[4:5], v[82:83], 0, v[28:29]
	global_load_ushort v2, v[4:5], off
	v_lshl_add_u64 v[4:5], v[84:85], 0, v[28:29]
	global_load_ushort v4, v[4:5], off
	s_waitcnt vmcnt(1)
	v_lshlrev_b32_e32 v20, 16, v2
	s_waitcnt vmcnt(0)
	v_lshlrev_b32_e32 v12, 16, v4
.LBB191_64:                             ;   in Loop: Header=BB191_53 Depth=1
	;; [unrolled: 15-line block ×7, first 2 shown]
	s_or_b64 exec, exec, s[18:19]
	s_waitcnt vmcnt(0)
	ds_bpermute_b32 v4, v93, v95
	ds_bpermute_b32 v5, v93, v95 offset:4
	v_pk_mul_f32 v[8:9], v[14:15], v[22:23]
	ds_bpermute_b32 v14, v93, v95 offset:8
	ds_bpermute_b32 v15, v93, v95 offset:12
	v_pk_mul_f32 v[10:11], v[10:11], v[18:19]
	v_pk_mul_f32 v[12:13], v[12:13], v[20:21]
	s_waitcnt lgkmcnt(2)
	v_pk_mul_f32 v[4:5], v[10:11], v[4:5]
	ds_bpermute_b32 v10, v93, v95 offset:16
	ds_bpermute_b32 v11, v93, v95 offset:20
	v_add_f32_e32 v2, v94, v4
	v_add_f32_e32 v2, v2, v5
	s_waitcnt lgkmcnt(2)
	v_pk_mul_f32 v[4:5], v[12:13], v[14:15]
	ds_bpermute_b32 v12, v93, v95 offset:24
	ds_bpermute_b32 v13, v93, v95 offset:28
	v_add_f32_e32 v2, v2, v4
	v_add_f32_e32 v2, v2, v5
	s_waitcnt lgkmcnt(2)
	v_pk_mul_f32 v[4:5], v[8:9], v[10:11]
	v_pk_mul_f32 v[6:7], v[16:17], v[24:25]
	v_add_f32_e32 v2, v2, v4
	v_add_f32_e32 v2, v2, v5
	s_waitcnt lgkmcnt(0)
	v_pk_mul_f32 v[4:5], v[6:7], v[12:13]
	s_nop 0
	v_add_f32_e32 v2, v2, v4
	v_add_f32_e32 v4, v2, v5
	s_branch .LBB191_81
.LBB191_75:                             ;   in Loop: Header=BB191_53 Depth=1
                                        ; implicit-def: $vgpr4
	s_cbranch_execz .LBB191_81
; %bb.76:                               ;   in Loop: Header=BB191_53 Depth=1
	s_load_dword s3, s[4:5], 0x0
	v_mov_b32_e32 v6, 0
	s_waitcnt lgkmcnt(0)
	s_cmp_lt_u32 s2, s3
	s_cselect_b32 s3, 12, 18
	s_add_u32 s18, s4, s3
	s_addc_u32 s19, s5, 0
	global_load_ushort v2, v3, s[18:19]
	s_waitcnt vmcnt(0)
	v_mad_u32_u24 v2, v92, v2, v1
	v_and_b32_e32 v2, 63, v2
	v_cmp_gt_u32_e32 vcc, 8, v2
	s_and_saveexec_b64 s[18:19], vcc
	s_cbranch_execz .LBB191_80
; %bb.77:                               ;   in Loop: Header=BB191_53 Depth=1
	v_lshl_add_u64 v[4:5], v[90:91], 0, v[2:3]
	v_cmp_gt_i64_e32 vcc, s[12:13], v[4:5]
	v_mov_b32_e32 v6, 0
	s_and_saveexec_b64 s[22:23], vcc
	s_cbranch_execz .LBB191_79
; %bb.78:                               ;   in Loop: Header=BB191_53 Depth=1
	v_lshl_add_u64 v[4:5], v[4:5], 2, s[10:11]
	global_load_dword v6, v[4:5], off
.LBB191_79:                             ;   in Loop: Header=BB191_53 Depth=1
	s_or_b64 exec, exec, s[22:23]
.LBB191_80:                             ;   in Loop: Header=BB191_53 Depth=1
	s_or_b64 exec, exec, s[18:19]
	v_lshl_add_u64 v[10:11], v[30:31], 0, v[28:29]
	v_lshl_add_u64 v[90:91], v[38:39], 0, v[28:29]
	;; [unrolled: 1-line block ×16, first 2 shown]
	global_load_ushort v2, v[10:11], off
	global_load_ushort v95, v[4:5], off
	;; [unrolled: 1-line block ×15, first 2 shown]
                                        ; kill: killed $vgpr8_vgpr9
                                        ; kill: killed $vgpr18_vgpr19
                                        ; kill: killed $vgpr96_vgpr97
                                        ; kill: killed $vgpr14_vgpr15
                                        ; kill: killed $vgpr24_vgpr25
                                        ; kill: killed $vgpr10_vgpr11
                                        ; kill: killed $vgpr102_vgpr103
                                        ; kill: killed $vgpr20_vgpr21
                                        ; kill: killed $vgpr4_vgpr5
                                        ; kill: killed $vgpr98_vgpr99
                                        ; kill: killed $vgpr16_vgpr17
                                        ; kill: killed $vgpr90_vgpr91
                                        ; kill: killed $vgpr12_vgpr13
                                        ; kill: killed $vgpr104_vgpr105
                                        ; kill: killed $vgpr22_vgpr23
	global_load_ushort v90, v[100:101], off
	s_waitcnt vmcnt(16)
	ds_bpermute_b32 v4, v93, v6
	ds_bpermute_b32 v5, v93, v6 offset:4
	ds_bpermute_b32 v8, v93, v6 offset:8
	;; [unrolled: 1-line block ×7, first 2 shown]
	s_waitcnt vmcnt(15)
	v_lshlrev_b32_e32 v7, 16, v2
	s_waitcnt vmcnt(14)
	v_lshlrev_b32_e32 v6, 16, v95
	;; [unrolled: 2-line block ×4, first 2 shown]
	v_pk_mul_f32 v[6:7], v[6:7], v[14:15]
	s_waitcnt vmcnt(11)
	v_lshlrev_b32_e32 v17, 16, v108
	s_waitcnt vmcnt(10)
	v_lshlrev_b32_e32 v16, 16, v109
	;; [unrolled: 2-line block ×4, first 2 shown]
	s_waitcnt lgkmcnt(6)
	v_pk_mul_f32 v[4:5], v[6:7], v[4:5]
	v_pk_mul_f32 v[14:15], v[16:17], v[18:19]
	v_add_f32_e32 v2, v94, v4
	s_waitcnt vmcnt(7)
	v_lshlrev_b32_e32 v21, 16, v112
	s_waitcnt vmcnt(6)
	v_lshlrev_b32_e32 v20, 16, v113
	s_waitcnt vmcnt(5)
	v_lshlrev_b32_e32 v23, 16, v114
	s_waitcnt vmcnt(4)
	v_lshlrev_b32_e32 v22, 16, v115
	s_waitcnt lgkmcnt(4)
	v_pk_mul_f32 v[6:7], v[14:15], v[8:9]
	v_add_f32_e32 v2, v2, v5
	v_pk_mul_f32 v[16:17], v[20:21], v[22:23]
	v_add_f32_e32 v2, v2, v6
	s_waitcnt vmcnt(3)
	v_lshlrev_b32_e32 v25, 16, v116
	s_waitcnt vmcnt(2)
	v_lshlrev_b32_e32 v24, 16, v117
	;; [unrolled: 2-line block ×3, first 2 shown]
	s_waitcnt lgkmcnt(2)
	v_pk_mul_f32 v[8:9], v[16:17], v[10:11]
	v_add_f32_e32 v2, v2, v7
	v_add_f32_e32 v2, v2, v8
	;; [unrolled: 1-line block ×3, first 2 shown]
	s_waitcnt vmcnt(0)
	v_lshlrev_b32_e32 v90, 16, v90
	v_pk_mul_f32 v[18:19], v[24:25], v[90:91]
	s_waitcnt lgkmcnt(0)
	v_pk_mul_f32 v[4:5], v[18:19], v[12:13]
	s_nop 0
	v_add_f32_e32 v2, v2, v4
	v_add_f32_e32 v4, v2, v5
.LBB191_81:                             ;   in Loop: Header=BB191_53 Depth=1
	s_add_u32 s16, s16, s30
	s_addc_u32 s17, s17, 0
	v_mov_b64_e32 v[6:7], s[12:13]
	s_add_u32 s36, s36, s30
	v_cmp_ge_i64_e32 vcc, s[16:17], v[6:7]
	v_lshl_add_u64 v[26:27], v[26:27], 0, s[30:31]
	v_lshl_add_u64 v[30:31], v[30:31], 0, s[34:35]
	v_lshl_add_u64 v[32:33], v[32:33], 0, s[34:35]
	v_lshl_add_u64 v[34:35], v[34:35], 0, s[34:35]
	v_lshl_add_u64 v[36:37], v[36:37], 0, s[34:35]
	v_lshl_add_u64 v[38:39], v[38:39], 0, s[34:35]
	v_lshl_add_u64 v[40:41], v[40:41], 0, s[34:35]
	v_lshl_add_u64 v[42:43], v[42:43], 0, s[34:35]
	v_lshl_add_u64 v[58:59], v[58:59], 0, s[34:35]
	v_lshl_add_u64 v[44:45], v[44:45], 0, s[34:35]
	v_lshl_add_u64 v[46:47], v[46:47], 0, s[34:35]
	v_lshl_add_u64 v[48:49], v[48:49], 0, s[34:35]
	v_lshl_add_u64 v[50:51], v[50:51], 0, s[34:35]
	v_lshl_add_u64 v[52:53], v[52:53], 0, s[34:35]
	v_lshl_add_u64 v[54:55], v[54:55], 0, s[34:35]
	v_lshl_add_u64 v[56:57], v[56:57], 0, s[34:35]
	v_lshl_add_u64 v[60:61], v[60:61], 0, s[34:35]
	v_lshl_add_u64 v[62:63], v[62:63], 0, s[34:35]
	v_lshl_add_u64 v[64:65], v[64:65], 0, s[34:35]
	v_lshl_add_u64 v[66:67], v[66:67], 0, s[34:35]
	v_lshl_add_u64 v[68:69], v[68:69], 0, s[34:35]
	v_lshl_add_u64 v[70:71], v[70:71], 0, s[34:35]
	v_lshl_add_u64 v[72:73], v[72:73], 0, s[34:35]
	v_lshl_add_u64 v[74:75], v[74:75], 0, s[34:35]
	v_lshl_add_u64 v[76:77], v[76:77], 0, s[34:35]
	v_lshl_add_u64 v[78:79], v[78:79], 0, s[34:35]
	v_lshl_add_u64 v[80:81], v[80:81], 0, s[34:35]
	v_lshl_add_u64 v[82:83], v[82:83], 0, s[34:35]
	v_lshl_add_u64 v[84:85], v[84:85], 0, s[34:35]
	v_lshl_add_u64 v[86:87], v[86:87], 0, s[34:35]
	v_lshl_add_u64 v[88:89], v[88:89], 0, s[34:35]
	s_addc_u32 s37, s37, 0
	s_cbranch_vccnz .LBB191_83
; %bb.82:                               ;   in Loop: Header=BB191_53 Depth=1
	v_mov_b32_e32 v94, v4
	s_branch .LBB191_53
.LBB191_83:
	s_mov_b32 s3, 0
	s_lshl_b64 s[2:3], s[2:3], 6
	v_and_b32_e32 v1, 0x3ff, v0
	v_or_b32_e32 v2, s2, v1
	v_mov_b32_e32 v3, s3
	s_waitcnt lgkmcnt(0)
	s_cmp_lg_u64 s[6:7], 0
	v_cmp_gt_i64_e32 vcc, s[14:15], v[2:3]
	s_cselect_b64 s[2:3], -1, 0
	s_and_b64 s[2:3], vcc, s[2:3]
	s_and_saveexec_b64 s[4:5], s[2:3]
	s_cbranch_execz .LBB191_85
; %bb.84:
	s_load_dword s0, s[0:1], 0x4c
	v_bfe_u32 v0, v0, 10, 10
	v_mov_b32_e32 v1, 0
	v_mov_b32_e32 v5, s8
	;; [unrolled: 1-line block ×3, first 2 shown]
	s_waitcnt lgkmcnt(0)
	s_lshr_b32 s0, s0, 16
	v_mad_u64_u32 v[0:1], s[0:1], s0, v5, v[0:1]
	v_bfe_u32 v5, v4, 16, 1
	s_movk_i32 s0, 0x7fff
	v_add3_u32 v5, v4, v5, s0
	v_lshrrev_b32_e32 v5, 16, v5
	v_cmp_o_f32_e32 vcc, v4, v4
	s_nop 1
	v_cndmask_b32_e32 v4, v6, v5, vcc
	v_mul_lo_u32 v5, v1, s14
	v_mul_lo_u32 v6, v0, s15
	v_mad_u64_u32 v[0:1], s[0:1], v0, s14, 0
	v_add3_u32 v1, v1, v6, v5
	v_lshl_add_u64 v[0:1], v[0:1], 1, s[6:7]
	v_lshl_add_u64 v[0:1], v[2:3], 1, v[0:1]
	global_store_short v[0:1], v4, off
.LBB191_85:
	s_endpgm
	.section	.rodata,"a",@progbits
	.p2align	6, 0x0
	.amdhsa_kernel _ZN2at6native12_GLOBAL__N_135GammaBetaBackwardCUDAKernelTemplateIN3c108BFloat16EfLj64ELj1ELj8ELb1ELb0ELb1EEEvllPKT_S7_PKT0_SA_PS5_SB_
		.amdhsa_group_segment_fixed_size 0
		.amdhsa_private_segment_fixed_size 0
		.amdhsa_kernarg_size 320
		.amdhsa_user_sgpr_count 2
		.amdhsa_user_sgpr_dispatch_ptr 0
		.amdhsa_user_sgpr_queue_ptr 0
		.amdhsa_user_sgpr_kernarg_segment_ptr 1
		.amdhsa_user_sgpr_dispatch_id 0
		.amdhsa_user_sgpr_kernarg_preload_length 0
		.amdhsa_user_sgpr_kernarg_preload_offset 0
		.amdhsa_user_sgpr_private_segment_size 0
		.amdhsa_uses_dynamic_stack 0
		.amdhsa_enable_private_segment 0
		.amdhsa_system_sgpr_workgroup_id_x 1
		.amdhsa_system_sgpr_workgroup_id_y 1
		.amdhsa_system_sgpr_workgroup_id_z 0
		.amdhsa_system_sgpr_workgroup_info 0
		.amdhsa_system_vgpr_workitem_id 1
		.amdhsa_next_free_vgpr 119
		.amdhsa_next_free_sgpr 44
		.amdhsa_accum_offset 120
		.amdhsa_reserve_vcc 1
		.amdhsa_float_round_mode_32 0
		.amdhsa_float_round_mode_16_64 0
		.amdhsa_float_denorm_mode_32 3
		.amdhsa_float_denorm_mode_16_64 3
		.amdhsa_dx10_clamp 1
		.amdhsa_ieee_mode 1
		.amdhsa_fp16_overflow 0
		.amdhsa_tg_split 0
		.amdhsa_exception_fp_ieee_invalid_op 0
		.amdhsa_exception_fp_denorm_src 0
		.amdhsa_exception_fp_ieee_div_zero 0
		.amdhsa_exception_fp_ieee_overflow 0
		.amdhsa_exception_fp_ieee_underflow 0
		.amdhsa_exception_fp_ieee_inexact 0
		.amdhsa_exception_int_div_zero 0
	.end_amdhsa_kernel
	.section	.text._ZN2at6native12_GLOBAL__N_135GammaBetaBackwardCUDAKernelTemplateIN3c108BFloat16EfLj64ELj1ELj8ELb1ELb0ELb1EEEvllPKT_S7_PKT0_SA_PS5_SB_,"axG",@progbits,_ZN2at6native12_GLOBAL__N_135GammaBetaBackwardCUDAKernelTemplateIN3c108BFloat16EfLj64ELj1ELj8ELb1ELb0ELb1EEEvllPKT_S7_PKT0_SA_PS5_SB_,comdat
.Lfunc_end191:
	.size	_ZN2at6native12_GLOBAL__N_135GammaBetaBackwardCUDAKernelTemplateIN3c108BFloat16EfLj64ELj1ELj8ELb1ELb0ELb1EEEvllPKT_S7_PKT0_SA_PS5_SB_, .Lfunc_end191-_ZN2at6native12_GLOBAL__N_135GammaBetaBackwardCUDAKernelTemplateIN3c108BFloat16EfLj64ELj1ELj8ELb1ELb0ELb1EEEvllPKT_S7_PKT0_SA_PS5_SB_
                                        ; -- End function
	.section	.AMDGPU.csdata,"",@progbits
; Kernel info:
; codeLenInByte = 6232
; NumSgprs: 50
; NumVgprs: 119
; NumAgprs: 0
; TotalNumVgprs: 119
; ScratchSize: 0
; MemoryBound: 0
; FloatMode: 240
; IeeeMode: 1
; LDSByteSize: 0 bytes/workgroup (compile time only)
; SGPRBlocks: 6
; VGPRBlocks: 14
; NumSGPRsForWavesPerEU: 50
; NumVGPRsForWavesPerEU: 119
; AccumOffset: 120
; Occupancy: 4
; WaveLimiterHint : 0
; COMPUTE_PGM_RSRC2:SCRATCH_EN: 0
; COMPUTE_PGM_RSRC2:USER_SGPR: 2
; COMPUTE_PGM_RSRC2:TRAP_HANDLER: 0
; COMPUTE_PGM_RSRC2:TGID_X_EN: 1
; COMPUTE_PGM_RSRC2:TGID_Y_EN: 1
; COMPUTE_PGM_RSRC2:TGID_Z_EN: 0
; COMPUTE_PGM_RSRC2:TIDIG_COMP_CNT: 1
; COMPUTE_PGM_RSRC3_GFX90A:ACCUM_OFFSET: 29
; COMPUTE_PGM_RSRC3_GFX90A:TG_SPLIT: 0
	.section	.text._ZN2at6native12_GLOBAL__N_135GammaBetaBackwardCUDAKernelTemplateIN3c108BFloat16EfLj64ELj8ELj64ELb0ELb1ELb1EEEvllPKT_S7_PKT0_SA_PS5_SB_,"axG",@progbits,_ZN2at6native12_GLOBAL__N_135GammaBetaBackwardCUDAKernelTemplateIN3c108BFloat16EfLj64ELj8ELj64ELb0ELb1ELb1EEEvllPKT_S7_PKT0_SA_PS5_SB_,comdat
	.globl	_ZN2at6native12_GLOBAL__N_135GammaBetaBackwardCUDAKernelTemplateIN3c108BFloat16EfLj64ELj8ELj64ELb0ELb1ELb1EEEvllPKT_S7_PKT0_SA_PS5_SB_ ; -- Begin function _ZN2at6native12_GLOBAL__N_135GammaBetaBackwardCUDAKernelTemplateIN3c108BFloat16EfLj64ELj8ELj64ELb0ELb1ELb1EEEvllPKT_S7_PKT0_SA_PS5_SB_
	.p2align	8
	.type	_ZN2at6native12_GLOBAL__N_135GammaBetaBackwardCUDAKernelTemplateIN3c108BFloat16EfLj64ELj8ELj64ELb0ELb1ELb1EEEvllPKT_S7_PKT0_SA_PS5_SB_,@function
_ZN2at6native12_GLOBAL__N_135GammaBetaBackwardCUDAKernelTemplateIN3c108BFloat16EfLj64ELj8ELj64ELb0ELb1ELb1EEEvllPKT_S7_PKT0_SA_PS5_SB_: ; @_ZN2at6native12_GLOBAL__N_135GammaBetaBackwardCUDAKernelTemplateIN3c108BFloat16EfLj64ELj8ELj64ELb0ELb1ELb1EEEvllPKT_S7_PKT0_SA_PS5_SB_
; %bb.0:
	s_load_dwordx4 s[4:7], s[0:1], 0x0
	s_lshl_b32 s14, s3, 6
	s_mov_b32 s15, 0
	v_bfe_u32 v12, v0, 10, 10
	s_waitcnt lgkmcnt(0)
	v_mov_b64_e32 v[2:3], s[4:5]
	v_cmp_lt_i64_e32 vcc, s[14:15], v[2:3]
	s_cbranch_vccnz .LBB192_2
; %bb.1:
	s_mov_b64 s[8:9], 0
	v_bfe_u32 v2, v0, 10, 10
	s_branch .LBB192_3
.LBB192_2:
	s_mov_b64 s[8:9], -1
                                        ; implicit-def: $vgpr2
.LBB192_3:
	s_load_dwordx2 s[12:13], s[0:1], 0x30
	v_and_b32_e32 v10, 0x3ff, v0
	s_andn2_b64 vcc, exec, s[8:9]
	v_mov_b32_e32 v1, s15
	v_mbcnt_lo_u32_b32 v11, -1, 0
	s_cbranch_vccnz .LBB192_11
; %bb.4:
	s_load_dword s3, s[0:1], 0x4c
	s_load_dword s16, s[0:1], 0x44
	s_load_dwordx2 s[18:19], s[0:1], 0x28
	s_load_dwordx4 s[8:11], s[0:1], 0x10
	v_lshlrev_b32_e32 v0, 3, v12
	s_waitcnt lgkmcnt(0)
	s_and_b32 s0, s3, 0xffff
	v_mad_u32_u24 v1, v12, s0, v10
	v_and_b32_e32 v2, 63, v1
	v_mov_b32_e32 v1, 0
	v_mov_b32_e32 v3, v1
	v_lshl_add_u64 v[8:9], v[0:1], 0, s[14:15]
	v_cmp_gt_u32_e64 s[0:1], 8, v2
	v_mbcnt_hi_u32_b32 v4, -1, v11
	s_lshl_b32 s16, s16, 6
	v_lshl_add_u64 v[2:3], v[8:9], 0, v[2:3]
	v_mul_lo_u32 v0, s7, v8
	v_mul_lo_u32 v21, s6, v9
	v_mad_u64_u32 v[8:9], s[20:21], s6, v8, 0
	v_lshl_add_u32 v6, s2, 6, v10
	v_mov_b32_e32 v7, v1
	v_lshlrev_b32_e32 v4, 2, v4
	s_mul_i32 s3, s7, s16
	s_mul_hi_u32 s20, s6, s16
	s_mov_b32 s17, 0
	v_and_b32_e32 v13, 0x100, v4
	v_add3_u32 v9, v9, v21, v0
	v_lshlrev_b64 v[6:7], 1, v[6:7]
	s_add_i32 s21, s20, s3
	s_mul_i32 s20, s6, s16
	v_or_b32_e32 v14, 4, v13
	v_or_b32_e32 v15, 8, v13
	v_or_b32_e32 v16, 12, v13
	v_or_b32_e32 v17, 16, v13
	v_or_b32_e32 v18, 20, v13
	v_or_b32_e32 v19, 24, v13
	v_or_b32_e32 v20, 28, v13
	v_lshl_add_u64 v[4:5], v[2:3], 2, s[18:19]
	s_lshl_b64 s[18:19], s[16:17], 2
	v_lshl_add_u64 v[6:7], v[8:9], 1, v[6:7]
	s_lshl_b64 s[20:21], s[20:21], 1
	s_lshl_b64 s[6:7], s[6:7], 1
	v_mov_b64_e32 v[8:9], s[4:5]
	s_branch .LBB192_7
.LBB192_5:                              ;   in Loop: Header=BB192_7 Depth=1
	s_or_b64 exec, exec, s[24:25]
.LBB192_6:                              ;   in Loop: Header=BB192_7 Depth=1
	s_or_b64 exec, exec, s[22:23]
	v_lshl_add_u64 v[22:23], s[8:9], 0, v[6:7]
	v_lshl_add_u64 v[24:25], s[10:11], 0, v[6:7]
	;; [unrolled: 1-line block ×5, first 2 shown]
	global_load_ushort v21, v[22:23], off
	global_load_ushort v34, v[24:25], off
	;; [unrolled: 1-line block ×4, first 2 shown]
	v_lshl_add_u64 v[32:33], v[28:29], 0, s[6:7]
	v_lshl_add_u64 v[22:23], v[30:31], 0, s[6:7]
	global_load_ushort v37, v[30:31], off
	global_load_ushort v38, v[32:33], off
	v_lshl_add_u64 v[24:25], v[32:33], 0, s[6:7]
	global_load_ushort v39, v[22:23], off
	global_load_ushort v40, v[24:25], off
	v_lshl_add_u64 v[22:23], v[22:23], 0, s[6:7]
	v_lshl_add_u64 v[24:25], v[24:25], 0, s[6:7]
	global_load_ushort v41, v[22:23], off
	global_load_ushort v42, v[24:25], off
	v_lshl_add_u64 v[22:23], v[22:23], 0, s[6:7]
	;; [unrolled: 4-line block ×4, first 2 shown]
	v_lshl_add_u64 v[24:25], v[24:25], 0, s[6:7]
	global_load_ushort v47, v[22:23], off
	global_load_ushort v48, v[24:25], off
	s_waitcnt vmcnt(16)
	ds_bpermute_b32 v22, v13, v0
	ds_bpermute_b32 v23, v14, v0
	;; [unrolled: 1-line block ×8, first 2 shown]
	s_add_u32 s14, s14, s16
	s_addc_u32 s15, s15, 0
	v_cmp_lt_i64_e32 vcc, s[14:15], v[8:9]
	v_lshl_add_u64 v[4:5], v[4:5], 0, s[18:19]
	v_lshl_add_u64 v[2:3], v[2:3], 0, s[16:17]
	;; [unrolled: 1-line block ×3, first 2 shown]
	s_and_b64 vcc, exec, vcc
	s_waitcnt vmcnt(15)
	v_lshlrev_b32_e32 v30, 16, v21
	s_waitcnt vmcnt(14)
	v_lshlrev_b32_e32 v32, 16, v34
	;; [unrolled: 2-line block ×4, first 2 shown]
	v_pk_mul_f32 v[30:31], v[30:31], v[32:33]
	s_waitcnt vmcnt(11)
	v_lshlrev_b32_e32 v32, 16, v37
	s_waitcnt vmcnt(10)
	v_lshlrev_b32_e32 v34, 16, v38
	s_waitcnt lgkmcnt(6)
	v_pk_mul_f32 v[22:23], v[30:31], v[22:23]
	s_waitcnt vmcnt(9)
	v_lshlrev_b32_e32 v33, 16, v39
	s_waitcnt vmcnt(8)
	v_lshlrev_b32_e32 v35, 16, v40
	v_add_f32_e32 v21, v1, v22
	v_pk_mul_f32 v[0:1], v[32:33], v[34:35]
	s_waitcnt vmcnt(7)
	v_lshlrev_b32_e32 v22, 16, v41
	s_waitcnt vmcnt(6)
	v_lshlrev_b32_e32 v30, 16, v42
	v_add_f32_e32 v21, v21, v23
	s_waitcnt lgkmcnt(4)
	v_pk_mul_f32 v[0:1], v[0:1], v[24:25]
	s_waitcnt vmcnt(5)
	v_lshlrev_b32_e32 v23, 16, v43
	s_waitcnt vmcnt(4)
	v_lshlrev_b32_e32 v31, 16, v44
	v_add_f32_e32 v21, v21, v0
	v_pk_mul_f32 v[22:23], v[22:23], v[30:31]
	s_waitcnt vmcnt(3)
	v_lshlrev_b32_e32 v0, 16, v45
	s_waitcnt vmcnt(2)
	v_lshlrev_b32_e32 v24, 16, v46
	v_add_f32_e32 v21, v21, v1
	s_waitcnt lgkmcnt(2)
	v_pk_mul_f32 v[22:23], v[22:23], v[26:27]
	s_waitcnt vmcnt(1)
	v_lshlrev_b32_e32 v1, 16, v47
	s_waitcnt vmcnt(0)
	v_lshlrev_b32_e32 v25, 16, v48
	v_add_f32_e32 v21, v21, v22
	v_pk_mul_f32 v[0:1], v[0:1], v[24:25]
	v_add_f32_e32 v21, v21, v23
	s_waitcnt lgkmcnt(0)
	v_pk_mul_f32 v[0:1], v[0:1], v[28:29]
	s_nop 0
	v_add_f32_e32 v0, v21, v0
	v_add_f32_e32 v1, v0, v1
	s_cbranch_vccz .LBB192_10
.LBB192_7:                              ; =>This Inner Loop Header: Depth=1
	v_mov_b32_e32 v0, 0
	s_and_saveexec_b64 s[22:23], s[0:1]
	s_cbranch_execz .LBB192_6
; %bb.8:                                ;   in Loop: Header=BB192_7 Depth=1
	v_cmp_gt_i64_e32 vcc, s[4:5], v[2:3]
	v_mov_b32_e32 v0, 0
	s_and_saveexec_b64 s[24:25], vcc
	s_cbranch_execz .LBB192_5
; %bb.9:                                ;   in Loop: Header=BB192_7 Depth=1
	global_load_dword v0, v[4:5], off
	s_branch .LBB192_5
.LBB192_10:
	v_mov_b32_e32 v2, v12
.LBB192_11:
	s_movk_i32 s0, 0x41
	v_mad_u32_u24 v0, v2, s0, v10
	v_lshl_add_u32 v0, v0, 2, 0
	ds_write_b32 v0, v1
	v_mov_b32_e32 v1, 0
	ds_write_b32 v0, v1 offset:2080
	v_lshrrev_b32_e32 v0, 6, v10
	v_add_u32_e32 v3, v0, v2
	s_mov_b32 s3, 0
	v_cmp_gt_u32_e32 vcc, 64, v3
	s_waitcnt lgkmcnt(0)
	s_barrier
	s_and_saveexec_b64 s[0:1], vcc
	s_cbranch_execz .LBB192_18
; %bb.12:
	v_mbcnt_hi_u32_b32 v6, -1, v11
	v_and_b32_e32 v4, 63, v10
	v_and_b32_e32 v5, 64, v6
	s_cmp_lg_u64 s[12:13], 0
	v_cmp_gt_u32_e32 vcc, 8, v4
	v_add_u32_e32 v7, 64, v5
	v_cmp_eq_u32_e64 s[0:1], 0, v10
	s_cselect_b64 s[6:7], -1, 0
	v_mul_u32_u24_e32 v8, 0x104, v4
	v_xor_b32_e32 v4, 4, v6
	s_and_b64 s[6:7], s[0:1], s[6:7]
	v_cmp_lt_i32_e64 s[0:1], v4, v7
	v_xor_b32_e32 v5, 2, v6
	v_xor_b32_e32 v9, 1, v6
	v_cndmask_b32_e64 v4, v6, v4, s[0:1]
	v_cmp_lt_i32_e64 s[0:1], v5, v7
	s_mov_b64 s[4:5], 0
	v_lshlrev_b32_e32 v4, 2, v4
	v_cndmask_b32_e64 v5, v6, v5, s[0:1]
	v_cmp_lt_i32_e64 s[0:1], v9, v7
	v_lshlrev_b32_e32 v7, 2, v3
	v_add3_u32 v7, v8, v7, 0
	v_cndmask_b32_e64 v6, v6, v9, s[0:1]
	s_lshl_b64 s[0:1], s[2:3], 7
	v_add_u32_e32 v8, -8, v3
	v_mov_b32_e32 v3, v1
	s_add_u32 s0, s12, s0
	v_lshl_add_u64 v[0:1], v[0:1], 0, v[2:3]
	s_addc_u32 s1, s13, s1
	v_lshlrev_b32_e32 v5, 2, v5
	v_lshlrev_b32_e32 v6, 2, v6
	v_lshl_add_u64 v[0:1], v[0:1], 1, s[0:1]
	s_movk_i32 s8, 0x7fff
	v_mov_b32_e32 v2, 0x7fc0
                                        ; implicit-def: $vgpr3
	s_branch .LBB192_14
.LBB192_13:                             ;   in Loop: Header=BB192_14 Depth=1
	s_or_b64 exec, exec, s[2:3]
	v_add_u32_e32 v8, 8, v8
	v_cmp_lt_u32_e64 s[0:1], 55, v8
	v_add_u32_e32 v7, 32, v7
	s_or_b64 s[4:5], s[0:1], s[4:5]
	v_lshl_add_u64 v[0:1], v[0:1], 0, 16
	s_andn2_b64 exec, exec, s[4:5]
	s_cbranch_execz .LBB192_18
.LBB192_14:                             ; =>This Inner Loop Header: Depth=1
	s_and_saveexec_b64 s[0:1], vcc
	s_cbranch_execz .LBB192_16
; %bb.15:                               ;   in Loop: Header=BB192_14 Depth=1
	ds_read_b32 v3, v7
.LBB192_16:                             ;   in Loop: Header=BB192_14 Depth=1
	s_or_b64 exec, exec, s[0:1]
	s_waitcnt lgkmcnt(0)
	ds_bpermute_b32 v9, v4, v3
	s_waitcnt lgkmcnt(0)
	v_add_f32_e32 v3, v3, v9
	ds_bpermute_b32 v9, v5, v3
	s_waitcnt lgkmcnt(0)
	v_add_f32_e32 v3, v3, v9
	;; [unrolled: 3-line block ×3, first 2 shown]
	s_and_saveexec_b64 s[2:3], s[6:7]
	s_cbranch_execz .LBB192_13
; %bb.17:                               ;   in Loop: Header=BB192_14 Depth=1
	v_bfe_u32 v9, v3, 16, 1
	v_add3_u32 v9, v3, v9, s8
	v_lshrrev_b32_e32 v9, 16, v9
	v_cmp_o_f32_e64 s[0:1], v3, v3
	s_nop 1
	v_cndmask_b32_e64 v9, v2, v9, s[0:1]
	global_store_short v[0:1], v9, off
	s_branch .LBB192_13
.LBB192_18:
	s_endpgm
	.section	.rodata,"a",@progbits
	.p2align	6, 0x0
	.amdhsa_kernel _ZN2at6native12_GLOBAL__N_135GammaBetaBackwardCUDAKernelTemplateIN3c108BFloat16EfLj64ELj8ELj64ELb0ELb1ELb1EEEvllPKT_S7_PKT0_SA_PS5_SB_
		.amdhsa_group_segment_fixed_size 0
		.amdhsa_private_segment_fixed_size 0
		.amdhsa_kernarg_size 320
		.amdhsa_user_sgpr_count 2
		.amdhsa_user_sgpr_dispatch_ptr 0
		.amdhsa_user_sgpr_queue_ptr 0
		.amdhsa_user_sgpr_kernarg_segment_ptr 1
		.amdhsa_user_sgpr_dispatch_id 0
		.amdhsa_user_sgpr_kernarg_preload_length 0
		.amdhsa_user_sgpr_kernarg_preload_offset 0
		.amdhsa_user_sgpr_private_segment_size 0
		.amdhsa_uses_dynamic_stack 0
		.amdhsa_enable_private_segment 0
		.amdhsa_system_sgpr_workgroup_id_x 1
		.amdhsa_system_sgpr_workgroup_id_y 1
		.amdhsa_system_sgpr_workgroup_id_z 0
		.amdhsa_system_sgpr_workgroup_info 0
		.amdhsa_system_vgpr_workitem_id 1
		.amdhsa_next_free_vgpr 49
		.amdhsa_next_free_sgpr 26
		.amdhsa_accum_offset 52
		.amdhsa_reserve_vcc 1
		.amdhsa_float_round_mode_32 0
		.amdhsa_float_round_mode_16_64 0
		.amdhsa_float_denorm_mode_32 3
		.amdhsa_float_denorm_mode_16_64 3
		.amdhsa_dx10_clamp 1
		.amdhsa_ieee_mode 1
		.amdhsa_fp16_overflow 0
		.amdhsa_tg_split 0
		.amdhsa_exception_fp_ieee_invalid_op 0
		.amdhsa_exception_fp_denorm_src 0
		.amdhsa_exception_fp_ieee_div_zero 0
		.amdhsa_exception_fp_ieee_overflow 0
		.amdhsa_exception_fp_ieee_underflow 0
		.amdhsa_exception_fp_ieee_inexact 0
		.amdhsa_exception_int_div_zero 0
	.end_amdhsa_kernel
	.section	.text._ZN2at6native12_GLOBAL__N_135GammaBetaBackwardCUDAKernelTemplateIN3c108BFloat16EfLj64ELj8ELj64ELb0ELb1ELb1EEEvllPKT_S7_PKT0_SA_PS5_SB_,"axG",@progbits,_ZN2at6native12_GLOBAL__N_135GammaBetaBackwardCUDAKernelTemplateIN3c108BFloat16EfLj64ELj8ELj64ELb0ELb1ELb1EEEvllPKT_S7_PKT0_SA_PS5_SB_,comdat
.Lfunc_end192:
	.size	_ZN2at6native12_GLOBAL__N_135GammaBetaBackwardCUDAKernelTemplateIN3c108BFloat16EfLj64ELj8ELj64ELb0ELb1ELb1EEEvllPKT_S7_PKT0_SA_PS5_SB_, .Lfunc_end192-_ZN2at6native12_GLOBAL__N_135GammaBetaBackwardCUDAKernelTemplateIN3c108BFloat16EfLj64ELj8ELj64ELb0ELb1ELb1EEEvllPKT_S7_PKT0_SA_PS5_SB_
                                        ; -- End function
	.section	.AMDGPU.csdata,"",@progbits
; Kernel info:
; codeLenInByte = 1452
; NumSgprs: 32
; NumVgprs: 49
; NumAgprs: 0
; TotalNumVgprs: 49
; ScratchSize: 0
; MemoryBound: 0
; FloatMode: 240
; IeeeMode: 1
; LDSByteSize: 0 bytes/workgroup (compile time only)
; SGPRBlocks: 3
; VGPRBlocks: 6
; NumSGPRsForWavesPerEU: 32
; NumVGPRsForWavesPerEU: 49
; AccumOffset: 52
; Occupancy: 8
; WaveLimiterHint : 0
; COMPUTE_PGM_RSRC2:SCRATCH_EN: 0
; COMPUTE_PGM_RSRC2:USER_SGPR: 2
; COMPUTE_PGM_RSRC2:TRAP_HANDLER: 0
; COMPUTE_PGM_RSRC2:TGID_X_EN: 1
; COMPUTE_PGM_RSRC2:TGID_Y_EN: 1
; COMPUTE_PGM_RSRC2:TGID_Z_EN: 0
; COMPUTE_PGM_RSRC2:TIDIG_COMP_CNT: 1
; COMPUTE_PGM_RSRC3_GFX90A:ACCUM_OFFSET: 12
; COMPUTE_PGM_RSRC3_GFX90A:TG_SPLIT: 0
	.section	.text._ZN2at6native12_GLOBAL__N_135GammaBetaBackwardCUDAKernelTemplateIN3c108BFloat16EfLj64ELj8ELj64ELb0ELb0ELb1EEEvllPKT_S7_PKT0_SA_PS5_SB_,"axG",@progbits,_ZN2at6native12_GLOBAL__N_135GammaBetaBackwardCUDAKernelTemplateIN3c108BFloat16EfLj64ELj8ELj64ELb0ELb0ELb1EEEvllPKT_S7_PKT0_SA_PS5_SB_,comdat
	.globl	_ZN2at6native12_GLOBAL__N_135GammaBetaBackwardCUDAKernelTemplateIN3c108BFloat16EfLj64ELj8ELj64ELb0ELb0ELb1EEEvllPKT_S7_PKT0_SA_PS5_SB_ ; -- Begin function _ZN2at6native12_GLOBAL__N_135GammaBetaBackwardCUDAKernelTemplateIN3c108BFloat16EfLj64ELj8ELj64ELb0ELb0ELb1EEEvllPKT_S7_PKT0_SA_PS5_SB_
	.p2align	8
	.type	_ZN2at6native12_GLOBAL__N_135GammaBetaBackwardCUDAKernelTemplateIN3c108BFloat16EfLj64ELj8ELj64ELb0ELb0ELb1EEEvllPKT_S7_PKT0_SA_PS5_SB_,@function
_ZN2at6native12_GLOBAL__N_135GammaBetaBackwardCUDAKernelTemplateIN3c108BFloat16EfLj64ELj8ELj64ELb0ELb0ELb1EEEvllPKT_S7_PKT0_SA_PS5_SB_: ; @_ZN2at6native12_GLOBAL__N_135GammaBetaBackwardCUDAKernelTemplateIN3c108BFloat16EfLj64ELj8ELj64ELb0ELb0ELb1EEEvllPKT_S7_PKT0_SA_PS5_SB_
; %bb.0:
	s_load_dwordx8 s[8:15], s[0:1], 0x0
	s_load_dwordx2 s[24:25], s[0:1], 0x28
	s_lshl_b32 s33, s2, 6
	s_or_b32 s26, s33, 63
	s_mov_b32 s27, 0
	s_waitcnt lgkmcnt(0)
	v_mov_b64_e32 v[2:3], s[10:11]
	v_cmp_ge_i64_e32 vcc, s[26:27], v[2:3]
	s_lshl_b32 s26, s3, 6
	v_mov_b64_e32 v[2:3], s[8:9]
	v_cmp_lt_i64_e64 s[4:5], s[26:27], v[2:3]
	s_nop 1
	v_cndmask_b32_e64 v1, 0, 1, s[4:5]
	v_cmp_ne_u32_e64 s[4:5], 1, v1
	s_cbranch_vccz .LBB193_49
; %bb.1:
	s_and_b64 vcc, exec, s[4:5]
	v_mov_b32_e32 v4, 0
	s_cbranch_vccnz .LBB193_50
; %bb.2:
	v_mov_b32_e32 v3, 0
	v_bfe_u32 v64, v0, 10, 10
	s_load_dword s3, s[0:1], 0x44
	v_lshlrev_b32_e32 v26, 3, v64
	v_mov_b32_e32 v27, v3
	v_and_b32_e32 v1, 0x3ff, v0
	v_lshl_add_u64 v[4:5], v[26:27], 0, s[26:27]
	v_add_u32_e32 v2, s33, v1
	v_lshl_add_u64 v[6:7], v[4:5], 0, 7
	s_add_u32 s28, s0, 64
	v_cmp_gt_i64_e64 s[6:7], s[10:11], v[2:3]
	v_lshlrev_b64 v[28:29], 1, v[2:3]
	v_mul_lo_u32 v2, s11, v6
	v_mul_lo_u32 v8, s10, v7
	v_mad_u64_u32 v[6:7], s[18:19], s10, v6, 0
	s_addc_u32 s29, s1, 0
	s_waitcnt lgkmcnt(0)
	s_lshl_b32 s3, s3, 6
	v_add3_u32 v7, v7, v8, v2
	v_lshlrev_b64 v[6:7], 1, v[6:7]
	s_mul_i32 s17, s11, s3
	s_mul_hi_u32 s18, s10, s3
	v_lshl_add_u64 v[30:31], s[12:13], 0, v[6:7]
	s_add_i32 s19, s18, s17
	s_mul_i32 s18, s10, s3
	v_lshl_add_u64 v[32:33], s[14:15], 0, v[6:7]
	v_lshl_add_u64 v[6:7], v[4:5], 0, 6
	s_lshl_b64 s[30:31], s[18:19], 1
	v_mul_lo_u32 v2, s11, v6
	v_mul_lo_u32 v8, s10, v7
	v_mad_u64_u32 v[6:7], s[18:19], s10, v6, 0
	v_add3_u32 v7, v7, v8, v2
	v_lshlrev_b64 v[6:7], 1, v[6:7]
	v_lshl_add_u64 v[34:35], s[12:13], 0, v[6:7]
	v_lshl_add_u64 v[36:37], s[14:15], 0, v[6:7]
	v_lshl_add_u64 v[6:7], v[4:5], 0, 5
	v_mul_lo_u32 v2, s11, v6
	v_mul_lo_u32 v8, s10, v7
	v_mad_u64_u32 v[6:7], s[18:19], s10, v6, 0
	v_add3_u32 v7, v7, v8, v2
	v_lshlrev_b64 v[6:7], 1, v[6:7]
	v_lshl_add_u64 v[38:39], s[12:13], 0, v[6:7]
	v_lshl_add_u64 v[40:41], s[14:15], 0, v[6:7]
	v_lshl_add_u64 v[6:7], v[4:5], 0, 4
	v_mul_lo_u32 v2, s11, v6
	v_mul_lo_u32 v8, s10, v7
	v_mad_u64_u32 v[6:7], s[18:19], s10, v6, 0
	v_add3_u32 v7, v7, v8, v2
	v_lshlrev_b64 v[6:7], 1, v[6:7]
	v_lshl_add_u64 v[42:43], s[12:13], 0, v[6:7]
	v_lshl_add_u64 v[44:45], s[14:15], 0, v[6:7]
	v_lshl_add_u64 v[6:7], v[4:5], 0, 3
	v_mul_lo_u32 v2, s11, v6
	v_mul_lo_u32 v8, s10, v7
	v_mad_u64_u32 v[6:7], s[18:19], s10, v6, 0
	v_add3_u32 v7, v7, v8, v2
	v_lshlrev_b64 v[6:7], 1, v[6:7]
	v_lshl_add_u64 v[46:47], s[12:13], 0, v[6:7]
	v_lshl_add_u64 v[48:49], s[14:15], 0, v[6:7]
	v_lshl_add_u64 v[6:7], v[4:5], 0, 2
	v_mul_lo_u32 v2, s11, v6
	v_mul_lo_u32 v8, s10, v7
	v_mad_u64_u32 v[6:7], s[18:19], s10, v6, 0
	v_add3_u32 v7, v7, v8, v2
	v_lshlrev_b64 v[6:7], 1, v[6:7]
	v_lshl_add_u64 v[50:51], s[12:13], 0, v[6:7]
	v_lshl_add_u64 v[52:53], s[14:15], 0, v[6:7]
	v_mov_b64_e32 v[6:7], s[10:11]
	v_mad_u64_u32 v[6:7], s[18:19], s10, v4, v[6:7]
	v_mul_lo_u32 v2, s10, v5
	v_mul_lo_u32 v8, s11, v4
	v_mad_u64_u32 v[4:5], s[18:19], s10, v4, 0
	v_add3_u32 v7, v8, v7, v2
	v_add3_u32 v5, v5, v2, v8
	v_mbcnt_lo_u32_b32 v2, -1, 0
	v_mbcnt_hi_u32_b32 v2, -1, v2
	v_lshlrev_b64 v[6:7], 1, v[6:7]
	s_add_u32 s34, s26, 63
	v_lshlrev_b64 v[4:5], 1, v[4:5]
	s_movk_i32 s36, 0xffc1
	s_movk_i32 s38, 0xffc2
	;; [unrolled: 1-line block ×8, first 2 shown]
	v_lshlrev_b32_e32 v2, 2, v2
	s_mov_b32 s16, 0
	v_lshl_add_u64 v[54:55], s[12:13], 0, v[6:7]
	v_lshl_add_u64 v[56:57], s[14:15], 0, v[6:7]
	s_addc_u32 s35, 0, 0
	v_lshl_add_u64 v[58:59], s[12:13], 0, v[4:5]
	v_lshl_add_u64 v[60:61], s[14:15], 0, v[4:5]
	s_mov_b32 s37, -1
	s_mov_b32 s39, -1
	;; [unrolled: 1-line block ×8, first 2 shown]
	v_and_b32_e32 v65, 0x100, v2
	s_mov_b64 s[52:53], s[26:27]
	v_mov_b32_e32 v66, 0
.LBB193_3:                              ; =>This Inner Loop Header: Depth=1
	v_mov_b64_e32 v[4:5], s[8:9]
	v_cmp_ge_i64_e32 vcc, s[34:35], v[4:5]
	v_lshl_add_u64 v[62:63], v[26:27], 0, s[34:35]
	s_cbranch_vccz .LBB193_25
; %bb.4:                                ;   in Loop: Header=BB193_3 Depth=1
	s_load_dword s17, s[28:29], 0xc
	v_mov_b32_e32 v67, 0
	s_waitcnt lgkmcnt(0)
	s_and_b32 s17, s17, 0xffff
	v_mad_u32_u24 v2, v64, s17, v1
	v_and_b32_e32 v2, 63, v2
	v_cmp_gt_u32_e32 vcc, 8, v2
	s_and_saveexec_b64 s[18:19], vcc
	s_cbranch_execz .LBB193_8
; %bb.5:                                ;   in Loop: Header=BB193_3 Depth=1
	v_lshl_add_u64 v[4:5], v[62:63], 0, v[2:3]
	v_lshl_add_u64 v[4:5], v[4:5], 0, s[36:37]
	v_cmp_gt_i64_e32 vcc, s[8:9], v[4:5]
	v_mov_b32_e32 v67, 0
	s_and_saveexec_b64 s[20:21], vcc
	s_cbranch_execz .LBB193_7
; %bb.6:                                ;   in Loop: Header=BB193_3 Depth=1
	v_lshl_add_u64 v[4:5], v[4:5], 2, s[24:25]
	global_load_dword v67, v[4:5], off
.LBB193_7:                              ;   in Loop: Header=BB193_3 Depth=1
	s_or_b64 exec, exec, s[20:21]
.LBB193_8:                              ;   in Loop: Header=BB193_3 Depth=1
	s_or_b64 exec, exec, s[18:19]
	s_mov_b32 s17, s16
	s_mov_b32 s18, s16
	;; [unrolled: 1-line block ×7, first 2 shown]
	v_mov_b64_e32 v[10:11], s[16:17]
	v_lshl_add_u64 v[4:5], v[62:63], 0, s[36:37]
	v_mov_b64_e32 v[16:17], s[22:23]
	v_cmp_gt_i64_e32 vcc, s[8:9], v[4:5]
	v_mov_b64_e32 v[12:13], s[18:19]
	v_mov_b64_e32 v[14:15], s[20:21]
	;; [unrolled: 1-line block ×3, first 2 shown]
	s_and_b64 s[54:55], s[6:7], vcc
	v_mov_b64_e32 v[22:23], v[14:15]
	v_mov_b64_e32 v[20:21], v[12:13]
	;; [unrolled: 1-line block ×3, first 2 shown]
	s_and_saveexec_b64 s[18:19], s[54:55]
	s_cbranch_execz .LBB193_10
; %bb.9:                                ;   in Loop: Header=BB193_3 Depth=1
	v_lshl_add_u64 v[4:5], v[58:59], 0, v[28:29]
	global_load_ushort v2, v[4:5], off
	v_lshl_add_u64 v[4:5], v[60:61], 0, v[28:29]
	global_load_ushort v10, v[4:5], off
	v_mov_b32_e32 v8, v3
	v_mov_b32_e32 v9, v3
	;; [unrolled: 1-line block ×13, first 2 shown]
	s_waitcnt vmcnt(1)
	v_lshlrev_b32_e32 v2, 16, v2
	v_mov_b64_e32 v[24:25], v[8:9]
	s_waitcnt vmcnt(0)
	v_lshlrev_b32_e32 v10, 16, v10
	v_mov_b64_e32 v[22:23], v[6:7]
	v_mov_b64_e32 v[20:21], v[4:5]
	;; [unrolled: 1-line block ×3, first 2 shown]
.LBB193_10:                             ;   in Loop: Header=BB193_3 Depth=1
	s_or_b64 exec, exec, s[18:19]
	v_lshl_add_u64 v[4:5], v[62:63], 0, s[38:39]
	v_cmp_gt_i64_e32 vcc, s[8:9], v[4:5]
	s_and_b64 s[20:21], s[6:7], vcc
	s_and_saveexec_b64 s[18:19], s[20:21]
	s_cbranch_execz .LBB193_12
; %bb.11:                               ;   in Loop: Header=BB193_3 Depth=1
	v_lshl_add_u64 v[4:5], v[54:55], 0, v[28:29]
	global_load_ushort v2, v[4:5], off
	v_lshl_add_u64 v[4:5], v[56:57], 0, v[28:29]
	global_load_ushort v4, v[4:5], off
	s_waitcnt vmcnt(1)
	v_lshlrev_b32_e32 v19, 16, v2
	s_waitcnt vmcnt(0)
	v_lshlrev_b32_e32 v11, 16, v4
.LBB193_12:                             ;   in Loop: Header=BB193_3 Depth=1
	s_or_b64 exec, exec, s[18:19]
	v_lshl_add_u64 v[4:5], v[62:63], 0, s[40:41]
	v_cmp_gt_i64_e32 vcc, s[8:9], v[4:5]
	s_and_b64 s[20:21], s[6:7], vcc
	s_and_saveexec_b64 s[18:19], s[20:21]
	s_cbranch_execz .LBB193_14
; %bb.13:                               ;   in Loop: Header=BB193_3 Depth=1
	v_lshl_add_u64 v[4:5], v[50:51], 0, v[28:29]
	global_load_ushort v2, v[4:5], off
	v_lshl_add_u64 v[4:5], v[52:53], 0, v[28:29]
	global_load_ushort v4, v[4:5], off
	s_waitcnt vmcnt(1)
	v_lshlrev_b32_e32 v20, 16, v2
	s_waitcnt vmcnt(0)
	v_lshlrev_b32_e32 v12, 16, v4
.LBB193_14:                             ;   in Loop: Header=BB193_3 Depth=1
	;; [unrolled: 16-line block ×7, first 2 shown]
	s_or_b64 exec, exec, s[18:19]
	s_waitcnt vmcnt(0)
	ds_bpermute_b32 v4, v65, v67 offset:4
	ds_bpermute_b32 v5, v65, v67 offset:8
	ds_bpermute_b32 v2, v65, v67
	v_mul_f32_e32 v8, v10, v18
	v_pk_mul_f32 v[10:11], v[10:11], v[18:19]
	v_pk_mul_f32 v[12:13], v[12:13], v[20:21]
	v_mov_b32_e32 v10, v11
	v_mov_b32_e32 v11, v12
	s_waitcnt lgkmcnt(1)
	v_pk_mul_f32 v[4:5], v[10:11], v[4:5]
	ds_bpermute_b32 v10, v65, v67 offset:12
	ds_bpermute_b32 v11, v65, v67 offset:16
	s_waitcnt lgkmcnt(2)
	v_fma_f32 v2, v8, v2, v66
	v_pk_mul_f32 v[8:9], v[14:15], v[22:23]
	v_add_f32_e32 v2, v2, v4
	v_add_f32_e32 v2, v2, v5
	v_mov_b32_e32 v4, v13
	v_mov_b32_e32 v5, v8
	s_waitcnt lgkmcnt(0)
	v_pk_mul_f32 v[4:5], v[4:5], v[10:11]
	ds_bpermute_b32 v10, v65, v67 offset:20
	ds_bpermute_b32 v11, v65, v67 offset:24
	v_pk_mul_f32 v[6:7], v[16:17], v[24:25]
	v_add_f32_e32 v2, v2, v4
	v_add_f32_e32 v7, v2, v5
	ds_bpermute_b32 v2, v65, v67 offset:28
	v_mov_b32_e32 v4, v9
	v_mov_b32_e32 v5, v6
	s_waitcnt lgkmcnt(1)
	v_pk_mul_f32 v[4:5], v[4:5], v[10:11]
	s_nop 0
	v_add_f32_e32 v4, v7, v4
	v_add_f32_e32 v4, v4, v5
	s_branch .LBB193_40
.LBB193_25:                             ;   in Loop: Header=BB193_3 Depth=1
                                        ; implicit-def: $vgpr4
                                        ; implicit-def: $vgpr10_vgpr11_vgpr12_vgpr13_vgpr14_vgpr15_vgpr16_vgpr17
                                        ; implicit-def: $vgpr18_vgpr19_vgpr20_vgpr21_vgpr22_vgpr23_vgpr24_vgpr25
                                        ; implicit-def: $vgpr2
	s_cbranch_execz .LBB193_40
; %bb.26:                               ;   in Loop: Header=BB193_3 Depth=1
	s_load_dword s17, s[28:29], 0x0
	v_mov_b32_e32 v67, 0
	s_waitcnt lgkmcnt(0)
	s_cmp_lt_u32 s2, s17
	s_cselect_b32 s17, 12, 18
	s_add_u32 s18, s28, s17
	s_addc_u32 s19, s29, 0
	global_load_ushort v2, v3, s[18:19]
	s_waitcnt vmcnt(0)
	v_mad_u32_u24 v2, v64, v2, v1
	v_and_b32_e32 v2, 63, v2
	v_cmp_gt_u32_e32 vcc, 8, v2
	s_and_saveexec_b64 s[18:19], vcc
	s_cbranch_execz .LBB193_30
; %bb.27:                               ;   in Loop: Header=BB193_3 Depth=1
	v_lshl_add_u64 v[4:5], v[62:63], 0, v[2:3]
	v_lshl_add_u64 v[4:5], v[4:5], 0, s[36:37]
	v_cmp_gt_i64_e32 vcc, s[8:9], v[4:5]
	v_mov_b32_e32 v67, 0
	s_and_saveexec_b64 s[20:21], vcc
	s_cbranch_execz .LBB193_29
; %bb.28:                               ;   in Loop: Header=BB193_3 Depth=1
	v_lshl_add_u64 v[4:5], v[4:5], 2, s[24:25]
	global_load_dword v67, v[4:5], off
.LBB193_29:                             ;   in Loop: Header=BB193_3 Depth=1
	s_or_b64 exec, exec, s[20:21]
.LBB193_30:                             ;   in Loop: Header=BB193_3 Depth=1
	s_or_b64 exec, exec, s[18:19]
	s_mov_b32 s17, s16
	s_mov_b32 s18, s16
	;; [unrolled: 1-line block ×7, first 2 shown]
	v_mov_b64_e32 v[10:11], s[16:17]
	v_mov_b64_e32 v[16:17], s[22:23]
	;; [unrolled: 1-line block ×8, first 2 shown]
	s_and_saveexec_b64 s[18:19], s[6:7]
	s_cbranch_execnz .LBB193_42
; %bb.31:                               ;   in Loop: Header=BB193_3 Depth=1
	s_or_b64 exec, exec, s[18:19]
	s_and_saveexec_b64 s[18:19], s[6:7]
	s_cbranch_execnz .LBB193_43
.LBB193_32:                             ;   in Loop: Header=BB193_3 Depth=1
	s_or_b64 exec, exec, s[18:19]
	s_and_saveexec_b64 s[18:19], s[6:7]
	s_cbranch_execnz .LBB193_44
.LBB193_33:                             ;   in Loop: Header=BB193_3 Depth=1
	s_or_b64 exec, exec, s[18:19]
	s_and_saveexec_b64 s[18:19], s[6:7]
	s_cbranch_execnz .LBB193_45
.LBB193_34:                             ;   in Loop: Header=BB193_3 Depth=1
	s_or_b64 exec, exec, s[18:19]
	s_and_saveexec_b64 s[18:19], s[6:7]
	s_cbranch_execnz .LBB193_46
.LBB193_35:                             ;   in Loop: Header=BB193_3 Depth=1
	s_or_b64 exec, exec, s[18:19]
	s_and_saveexec_b64 s[18:19], s[6:7]
	s_cbranch_execnz .LBB193_47
.LBB193_36:                             ;   in Loop: Header=BB193_3 Depth=1
	s_or_b64 exec, exec, s[18:19]
	s_and_saveexec_b64 s[18:19], s[6:7]
	s_cbranch_execnz .LBB193_48
.LBB193_37:                             ;   in Loop: Header=BB193_3 Depth=1
	s_or_b64 exec, exec, s[18:19]
	s_and_saveexec_b64 s[18:19], s[6:7]
	s_cbranch_execz .LBB193_39
.LBB193_38:                             ;   in Loop: Header=BB193_3 Depth=1
	v_lshl_add_u64 v[4:5], v[30:31], 0, v[28:29]
	global_load_ushort v2, v[4:5], off
	v_lshl_add_u64 v[4:5], v[32:33], 0, v[28:29]
	global_load_ushort v4, v[4:5], off
	s_waitcnt vmcnt(1)
	v_lshlrev_b32_e32 v25, 16, v2
	s_waitcnt vmcnt(0)
	v_lshlrev_b32_e32 v17, 16, v4
.LBB193_39:                             ;   in Loop: Header=BB193_3 Depth=1
	s_or_b64 exec, exec, s[18:19]
	s_waitcnt vmcnt(0)
	ds_bpermute_b32 v4, v65, v67 offset:4
	ds_bpermute_b32 v5, v65, v67 offset:8
	ds_bpermute_b32 v2, v65, v67
	v_mul_f32_e32 v8, v10, v18
	v_pk_mul_f32 v[10:11], v[10:11], v[18:19]
	v_pk_mul_f32 v[12:13], v[12:13], v[20:21]
	v_mov_b32_e32 v10, v11
	v_mov_b32_e32 v11, v12
	s_waitcnt lgkmcnt(1)
	v_pk_mul_f32 v[4:5], v[10:11], v[4:5]
	ds_bpermute_b32 v10, v65, v67 offset:12
	ds_bpermute_b32 v11, v65, v67 offset:16
	s_waitcnt lgkmcnt(2)
	v_fmac_f32_e32 v66, v8, v2
	v_pk_mul_f32 v[8:9], v[14:15], v[22:23]
	v_add_f32_e32 v2, v66, v4
	v_add_f32_e32 v2, v2, v5
	v_mov_b32_e32 v4, v13
	v_mov_b32_e32 v5, v8
	s_waitcnt lgkmcnt(0)
	v_pk_mul_f32 v[4:5], v[4:5], v[10:11]
	ds_bpermute_b32 v10, v65, v67 offset:20
	ds_bpermute_b32 v11, v65, v67 offset:24
	v_pk_mul_f32 v[6:7], v[16:17], v[24:25]
	v_add_f32_e32 v2, v2, v4
	v_add_f32_e32 v7, v2, v5
	v_mov_b32_e32 v4, v9
	v_mov_b32_e32 v5, v6
	s_waitcnt lgkmcnt(0)
	v_pk_mul_f32 v[4:5], v[4:5], v[10:11]
	ds_bpermute_b32 v2, v65, v67 offset:28
	v_add_f32_e32 v4, v7, v4
	v_add_f32_e32 v4, v4, v5
.LBB193_40:                             ;   in Loop: Header=BB193_3 Depth=1
	s_add_u32 s52, s52, s3
	s_addc_u32 s53, s53, 0
	v_mov_b64_e32 v[6:7], s[8:9]
	v_mul_f32_e32 v5, v25, v17
	s_add_u32 s34, s34, s3
	v_cmp_lt_i64_e32 vcc, s[52:53], v[6:7]
	s_waitcnt lgkmcnt(0)
	v_fmac_f32_e32 v4, v5, v2
	v_lshl_add_u64 v[30:31], v[30:31], 0, s[30:31]
	v_lshl_add_u64 v[32:33], v[32:33], 0, s[30:31]
	;; [unrolled: 1-line block ×14, first 2 shown]
	s_addc_u32 s35, s35, 0
	v_lshl_add_u64 v[58:59], v[58:59], 0, s[30:31]
	v_lshl_add_u64 v[60:61], v[60:61], 0, s[30:31]
	s_cbranch_vccz .LBB193_50
; %bb.41:                               ;   in Loop: Header=BB193_3 Depth=1
	v_mov_b32_e32 v66, v4
	s_branch .LBB193_3
.LBB193_42:                             ;   in Loop: Header=BB193_3 Depth=1
	v_lshl_add_u64 v[4:5], v[58:59], 0, v[28:29]
	global_load_ushort v2, v[4:5], off
	v_lshl_add_u64 v[4:5], v[60:61], 0, v[28:29]
	global_load_ushort v10, v[4:5], off
	v_mov_b32_e32 v8, v3
	v_mov_b32_e32 v9, v3
	;; [unrolled: 1-line block ×13, first 2 shown]
	s_waitcnt vmcnt(1)
	v_lshlrev_b32_e32 v2, 16, v2
	v_mov_b64_e32 v[24:25], v[8:9]
	s_waitcnt vmcnt(0)
	v_lshlrev_b32_e32 v10, 16, v10
	v_mov_b64_e32 v[22:23], v[6:7]
	v_mov_b64_e32 v[20:21], v[4:5]
	;; [unrolled: 1-line block ×3, first 2 shown]
	s_or_b64 exec, exec, s[18:19]
	s_and_saveexec_b64 s[18:19], s[6:7]
	s_cbranch_execz .LBB193_32
.LBB193_43:                             ;   in Loop: Header=BB193_3 Depth=1
	v_lshl_add_u64 v[4:5], v[54:55], 0, v[28:29]
	global_load_ushort v2, v[4:5], off
	v_lshl_add_u64 v[4:5], v[56:57], 0, v[28:29]
	global_load_ushort v4, v[4:5], off
	s_waitcnt vmcnt(1)
	v_lshlrev_b32_e32 v19, 16, v2
	s_waitcnt vmcnt(0)
	v_lshlrev_b32_e32 v11, 16, v4
	s_or_b64 exec, exec, s[18:19]
	s_and_saveexec_b64 s[18:19], s[6:7]
	s_cbranch_execz .LBB193_33
.LBB193_44:                             ;   in Loop: Header=BB193_3 Depth=1
	v_lshl_add_u64 v[4:5], v[50:51], 0, v[28:29]
	global_load_ushort v2, v[4:5], off
	v_lshl_add_u64 v[4:5], v[52:53], 0, v[28:29]
	global_load_ushort v4, v[4:5], off
	s_waitcnt vmcnt(1)
	v_lshlrev_b32_e32 v20, 16, v2
	s_waitcnt vmcnt(0)
	v_lshlrev_b32_e32 v12, 16, v4
	s_or_b64 exec, exec, s[18:19]
	s_and_saveexec_b64 s[18:19], s[6:7]
	s_cbranch_execz .LBB193_34
.LBB193_45:                             ;   in Loop: Header=BB193_3 Depth=1
	v_lshl_add_u64 v[4:5], v[46:47], 0, v[28:29]
	global_load_ushort v2, v[4:5], off
	v_lshl_add_u64 v[4:5], v[48:49], 0, v[28:29]
	global_load_ushort v4, v[4:5], off
	s_waitcnt vmcnt(1)
	v_lshlrev_b32_e32 v21, 16, v2
	s_waitcnt vmcnt(0)
	v_lshlrev_b32_e32 v13, 16, v4
	s_or_b64 exec, exec, s[18:19]
	s_and_saveexec_b64 s[18:19], s[6:7]
	s_cbranch_execz .LBB193_35
.LBB193_46:                             ;   in Loop: Header=BB193_3 Depth=1
	v_lshl_add_u64 v[4:5], v[42:43], 0, v[28:29]
	global_load_ushort v2, v[4:5], off
	v_lshl_add_u64 v[4:5], v[44:45], 0, v[28:29]
	global_load_ushort v4, v[4:5], off
	s_waitcnt vmcnt(1)
	v_lshlrev_b32_e32 v22, 16, v2
	s_waitcnt vmcnt(0)
	v_lshlrev_b32_e32 v14, 16, v4
	s_or_b64 exec, exec, s[18:19]
	s_and_saveexec_b64 s[18:19], s[6:7]
	s_cbranch_execz .LBB193_36
.LBB193_47:                             ;   in Loop: Header=BB193_3 Depth=1
	v_lshl_add_u64 v[4:5], v[38:39], 0, v[28:29]
	global_load_ushort v2, v[4:5], off
	v_lshl_add_u64 v[4:5], v[40:41], 0, v[28:29]
	global_load_ushort v4, v[4:5], off
	s_waitcnt vmcnt(1)
	v_lshlrev_b32_e32 v23, 16, v2
	s_waitcnt vmcnt(0)
	v_lshlrev_b32_e32 v15, 16, v4
	s_or_b64 exec, exec, s[18:19]
	s_and_saveexec_b64 s[18:19], s[6:7]
	s_cbranch_execz .LBB193_37
.LBB193_48:                             ;   in Loop: Header=BB193_3 Depth=1
	v_lshl_add_u64 v[4:5], v[34:35], 0, v[28:29]
	global_load_ushort v2, v[4:5], off
	v_lshl_add_u64 v[4:5], v[36:37], 0, v[28:29]
	global_load_ushort v4, v[4:5], off
	s_waitcnt vmcnt(1)
	v_lshlrev_b32_e32 v24, 16, v2
	s_waitcnt vmcnt(0)
	v_lshlrev_b32_e32 v16, 16, v4
	s_or_b64 exec, exec, s[18:19]
	s_and_saveexec_b64 s[18:19], s[6:7]
	s_cbranch_execnz .LBB193_38
	s_branch .LBB193_39
.LBB193_49:
                                        ; implicit-def: $vgpr4
	s_branch .LBB193_51
.LBB193_50:
	s_cbranch_execnz .LBB193_83
.LBB193_51:
	s_and_b64 vcc, exec, s[4:5]
	v_mov_b32_e32 v4, 0
	s_cbranch_vccnz .LBB193_83
; %bb.52:
	v_and_b32_e32 v1, 0x3ff, v0
	v_add_u32_e32 v2, s33, v1
	v_mov_b32_e32 v3, 0
	v_bfe_u32 v92, v0, 10, 10
	v_lshlrev_b64 v[28:29], 1, v[2:3]
	v_lshlrev_b32_e32 v2, 4, v92
	v_lshl_add_u64 v[4:5], s[26:27], 1, v[2:3]
	v_lshl_add_u64 v[6:7], v[4:5], 0, 2
	v_mov_b64_e32 v[8:9], s[12:13]
	v_lshl_add_u64 v[10:11], v[4:5], 0, 4
	v_lshl_add_u64 v[12:13], v[4:5], 0, 6
	;; [unrolled: 1-line block ×6, first 2 shown]
	v_mad_u64_u32 v[30:31], s[4:5], s10, v6, v[8:9]
	v_mad_u64_u32 v[32:33], s[4:5], s10, v10, v[8:9]
	;; [unrolled: 1-line block ×7, first 2 shown]
	v_mov_b64_e32 v[8:9], s[14:15]
	v_lshlrev_b32_e32 v26, 3, v92
	v_mov_b32_e32 v27, v3
	v_mul_lo_u32 v2, s10, v7
	v_mul_lo_u32 v7, s11, v6
	v_mad_u64_u32 v[44:45], s[4:5], s10, v6, v[8:9]
	v_add3_u32 v31, v7, v31, v2
	v_mul_lo_u32 v5, s10, v5
	v_mul_lo_u32 v25, s11, v4
	v_add3_u32 v45, v7, v45, v2
	v_lshl_add_u64 v[6:7], v[26:27], 0, s[26:27]
	v_mad_u64_u32 v[56:57], s[4:5], s10, v4, v[8:9]
	v_add3_u32 v43, v25, v43, v5
	v_add3_u32 v57, v25, v57, v5
	v_lshl_add_u64 v[4:5], v[6:7], 0, 7
	v_mad_u64_u32 v[46:47], s[4:5], s10, v10, v[8:9]
	v_mad_u64_u32 v[48:49], s[4:5], s10, v12, v[8:9]
	;; [unrolled: 1-line block ×5, first 2 shown]
	v_mul_lo_u32 v8, s11, v4
	v_mul_lo_u32 v9, s10, v5
	v_mad_u64_u32 v[4:5], s[4:5], s10, v4, 0
	v_mul_lo_u32 v11, s10, v11
	v_mul_lo_u32 v20, s11, v10
	v_add3_u32 v5, v5, v9, v8
	v_lshl_add_u64 v[8:9], v[6:7], 0, 6
	v_add3_u32 v33, v20, v33, v11
	v_add3_u32 v47, v20, v47, v11
	v_mul_lo_u32 v10, s11, v8
	v_mul_lo_u32 v11, s10, v9
	v_mad_u64_u32 v[8:9], s[4:5], s10, v8, 0
	v_mul_lo_u32 v13, s10, v13
	v_mul_lo_u32 v21, s11, v12
	v_add3_u32 v9, v9, v11, v10
	v_lshl_add_u64 v[10:11], v[6:7], 0, 5
	v_add3_u32 v35, v21, v35, v13
	v_add3_u32 v49, v21, v49, v13
	;; [unrolled: 9-line block ×4, first 2 shown]
	v_mul_lo_u32 v16, s11, v14
	v_mul_lo_u32 v17, s10, v15
	v_mad_u64_u32 v[14:15], s[4:5], s10, v14, 0
	v_mul_lo_u32 v19, s10, v19
	v_mul_lo_u32 v24, s11, v18
	v_add3_u32 v15, v15, v17, v16
	v_lshl_add_u64 v[16:17], v[6:7], 0, 2
	s_load_dword s3, s[0:1], 0x44
	v_lshlrev_b64 v[4:5], 1, v[4:5]
	v_add3_u32 v41, v24, v41, v19
	v_add3_u32 v55, v24, v55, v19
	v_mul_lo_u32 v18, s11, v16
	v_mul_lo_u32 v19, s10, v17
	v_mad_u64_u32 v[16:17], s[4:5], s10, v16, 0
	v_lshl_add_u64 v[62:63], s[12:13], 0, v[4:5]
	v_lshl_add_u64 v[64:65], s[14:15], 0, v[4:5]
	v_lshlrev_b64 v[4:5], 1, v[8:9]
	v_add3_u32 v17, v17, v19, v18
	v_mov_b64_e32 v[18:19], s[10:11]
	v_lshl_add_u64 v[66:67], s[12:13], 0, v[4:5]
	v_lshl_add_u64 v[68:69], s[14:15], 0, v[4:5]
	v_lshlrev_b64 v[4:5], 1, v[10:11]
	v_mul_lo_u32 v2, s11, v6
	v_mad_u64_u32 v[18:19], s[4:5], s10, v6, v[18:19]
	v_mul_lo_u32 v20, s10, v7
	v_mad_u64_u32 v[6:7], s[4:5], s10, v6, 0
	v_lshl_add_u64 v[70:71], s[12:13], 0, v[4:5]
	v_lshl_add_u64 v[72:73], s[14:15], 0, v[4:5]
	v_lshlrev_b64 v[4:5], 1, v[12:13]
	s_add_u32 s4, s0, 64
	v_lshl_add_u64 v[74:75], s[12:13], 0, v[4:5]
	v_lshl_add_u64 v[76:77], s[14:15], 0, v[4:5]
	v_lshlrev_b64 v[4:5], 1, v[14:15]
	v_add3_u32 v7, v7, v20, v2
	v_add3_u32 v19, v2, v19, v20
	s_addc_u32 s5, s1, 0
	s_waitcnt lgkmcnt(0)
	s_lshl_b32 s3, s3, 6
	v_lshl_add_u64 v[78:79], s[12:13], 0, v[4:5]
	v_lshl_add_u64 v[80:81], s[14:15], 0, v[4:5]
	v_lshlrev_b64 v[4:5], 1, v[16:17]
	v_mbcnt_lo_u32_b32 v2, -1, 0
	s_add_u32 s6, s26, 63
	s_mul_i32 s17, s11, s3
	s_mul_hi_u32 s18, s10, s3
	v_lshlrev_b64 v[6:7], 1, v[6:7]
	v_lshl_add_u64 v[82:83], s[12:13], 0, v[4:5]
	v_lshl_add_u64 v[84:85], s[14:15], 0, v[4:5]
	v_lshlrev_b64 v[4:5], 1, v[18:19]
	v_mbcnt_hi_u32_b32 v2, -1, v2
	s_addc_u32 s7, 0, 0
	s_add_i32 s19, s18, s17
	s_mul_i32 s18, s10, s3
	v_lshl_add_u64 v[58:59], s[12:13], 0, v[6:7]
	v_lshl_add_u64 v[60:61], s[14:15], 0, v[6:7]
	;; [unrolled: 1-line block ×4, first 2 shown]
	s_movk_i32 s12, 0xffc1
	s_movk_i32 s14, 0xffc2
	;; [unrolled: 1-line block ×8, first 2 shown]
	v_lshlrev_b32_e32 v2, 2, v2
	s_mov_b32 s16, 0
	s_lshl_b64 s[28:29], s[18:19], 1
	s_mov_b32 s13, -1
	s_mov_b32 s15, -1
	;; [unrolled: 1-line block ×8, first 2 shown]
	v_and_b32_e32 v93, 0x100, v2
	v_mov_b32_e32 v94, 0
.LBB193_53:                             ; =>This Inner Loop Header: Depth=1
	v_mov_b64_e32 v[4:5], s[8:9]
	v_cmp_ge_i64_e32 vcc, s[6:7], v[4:5]
	v_lshl_add_u64 v[90:91], v[26:27], 0, s[6:7]
	s_cbranch_vccz .LBB193_75
; %bb.54:                               ;   in Loop: Header=BB193_53 Depth=1
	s_load_dword s17, s[4:5], 0xc
	v_mov_b32_e32 v95, 0
	s_waitcnt lgkmcnt(0)
	s_and_b32 s17, s17, 0xffff
	v_mad_u32_u24 v2, v92, s17, v1
	v_and_b32_e32 v2, 63, v2
	v_cmp_gt_u32_e32 vcc, 8, v2
	s_and_saveexec_b64 s[18:19], vcc
	s_cbranch_execz .LBB193_58
; %bb.55:                               ;   in Loop: Header=BB193_53 Depth=1
	v_lshl_add_u64 v[4:5], v[90:91], 0, v[2:3]
	v_lshl_add_u64 v[4:5], v[4:5], 0, s[12:13]
	v_cmp_gt_i64_e32 vcc, s[8:9], v[4:5]
	v_mov_b32_e32 v95, 0
	s_and_saveexec_b64 s[20:21], vcc
	s_cbranch_execz .LBB193_57
; %bb.56:                               ;   in Loop: Header=BB193_53 Depth=1
	v_lshl_add_u64 v[4:5], v[4:5], 2, s[24:25]
	global_load_dword v95, v[4:5], off
.LBB193_57:                             ;   in Loop: Header=BB193_53 Depth=1
	s_or_b64 exec, exec, s[20:21]
.LBB193_58:                             ;   in Loop: Header=BB193_53 Depth=1
	s_or_b64 exec, exec, s[18:19]
	s_mov_b32 s17, s16
	s_mov_b32 s18, s16
	;; [unrolled: 1-line block ×7, first 2 shown]
	v_mov_b64_e32 v[10:11], s[16:17]
	v_mov_b64_e32 v[16:17], s[22:23]
	v_lshl_add_u64 v[4:5], v[90:91], 0, s[12:13]
	v_mov_b64_e32 v[12:13], s[18:19]
	v_mov_b64_e32 v[14:15], s[20:21]
	;; [unrolled: 1-line block ×3, first 2 shown]
	v_cmp_gt_i64_e32 vcc, s[8:9], v[4:5]
	v_mov_b64_e32 v[22:23], v[14:15]
	v_mov_b64_e32 v[20:21], v[12:13]
	;; [unrolled: 1-line block ×3, first 2 shown]
	s_and_saveexec_b64 s[18:19], vcc
	s_cbranch_execz .LBB193_60
; %bb.59:                               ;   in Loop: Header=BB193_53 Depth=1
	v_lshl_add_u64 v[4:5], v[58:59], 0, v[28:29]
	global_load_ushort v2, v[4:5], off
	v_lshl_add_u64 v[4:5], v[60:61], 0, v[28:29]
	global_load_ushort v10, v[4:5], off
	v_mov_b32_e32 v8, v3
	v_mov_b32_e32 v9, v3
	;; [unrolled: 1-line block ×13, first 2 shown]
	s_waitcnt vmcnt(1)
	v_lshlrev_b32_e32 v2, 16, v2
	v_mov_b64_e32 v[24:25], v[8:9]
	s_waitcnt vmcnt(0)
	v_lshlrev_b32_e32 v10, 16, v10
	v_mov_b64_e32 v[22:23], v[6:7]
	v_mov_b64_e32 v[20:21], v[4:5]
	;; [unrolled: 1-line block ×3, first 2 shown]
.LBB193_60:                             ;   in Loop: Header=BB193_53 Depth=1
	s_or_b64 exec, exec, s[18:19]
	v_lshl_add_u64 v[4:5], v[90:91], 0, s[14:15]
	v_cmp_gt_i64_e32 vcc, s[8:9], v[4:5]
	s_and_saveexec_b64 s[18:19], vcc
	s_cbranch_execz .LBB193_62
; %bb.61:                               ;   in Loop: Header=BB193_53 Depth=1
	v_lshl_add_u64 v[4:5], v[86:87], 0, v[28:29]
	global_load_ushort v2, v[4:5], off
	v_lshl_add_u64 v[4:5], v[88:89], 0, v[28:29]
	global_load_ushort v4, v[4:5], off
	s_waitcnt vmcnt(1)
	v_lshlrev_b32_e32 v19, 16, v2
	s_waitcnt vmcnt(0)
	v_lshlrev_b32_e32 v11, 16, v4
.LBB193_62:                             ;   in Loop: Header=BB193_53 Depth=1
	s_or_b64 exec, exec, s[18:19]
	v_lshl_add_u64 v[4:5], v[90:91], 0, s[30:31]
	v_cmp_gt_i64_e32 vcc, s[8:9], v[4:5]
	s_and_saveexec_b64 s[18:19], vcc
	s_cbranch_execz .LBB193_64
; %bb.63:                               ;   in Loop: Header=BB193_53 Depth=1
	v_lshl_add_u64 v[4:5], v[82:83], 0, v[28:29]
	global_load_ushort v2, v[4:5], off
	v_lshl_add_u64 v[4:5], v[84:85], 0, v[28:29]
	global_load_ushort v4, v[4:5], off
	s_waitcnt vmcnt(1)
	v_lshlrev_b32_e32 v20, 16, v2
	s_waitcnt vmcnt(0)
	v_lshlrev_b32_e32 v12, 16, v4
.LBB193_64:                             ;   in Loop: Header=BB193_53 Depth=1
	;; [unrolled: 15-line block ×7, first 2 shown]
	s_or_b64 exec, exec, s[18:19]
	s_waitcnt vmcnt(0)
	ds_bpermute_b32 v4, v93, v95
	ds_bpermute_b32 v5, v93, v95 offset:4
	v_pk_mul_f32 v[8:9], v[14:15], v[22:23]
	ds_bpermute_b32 v14, v93, v95 offset:8
	ds_bpermute_b32 v15, v93, v95 offset:12
	v_pk_mul_f32 v[10:11], v[10:11], v[18:19]
	v_pk_mul_f32 v[12:13], v[12:13], v[20:21]
	s_waitcnt lgkmcnt(2)
	v_pk_mul_f32 v[4:5], v[10:11], v[4:5]
	ds_bpermute_b32 v10, v93, v95 offset:16
	ds_bpermute_b32 v11, v93, v95 offset:20
	v_add_f32_e32 v2, v94, v4
	v_add_f32_e32 v2, v2, v5
	s_waitcnt lgkmcnt(2)
	v_pk_mul_f32 v[4:5], v[12:13], v[14:15]
	ds_bpermute_b32 v12, v93, v95 offset:24
	ds_bpermute_b32 v13, v93, v95 offset:28
	v_add_f32_e32 v2, v2, v4
	v_add_f32_e32 v2, v2, v5
	s_waitcnt lgkmcnt(2)
	v_pk_mul_f32 v[4:5], v[8:9], v[10:11]
	v_pk_mul_f32 v[6:7], v[16:17], v[24:25]
	v_add_f32_e32 v2, v2, v4
	v_add_f32_e32 v2, v2, v5
	s_waitcnt lgkmcnt(0)
	v_pk_mul_f32 v[4:5], v[6:7], v[12:13]
	s_nop 0
	v_add_f32_e32 v2, v2, v4
	v_add_f32_e32 v4, v2, v5
	s_branch .LBB193_81
.LBB193_75:                             ;   in Loop: Header=BB193_53 Depth=1
                                        ; implicit-def: $vgpr4
	s_cbranch_execz .LBB193_81
; %bb.76:                               ;   in Loop: Header=BB193_53 Depth=1
	s_load_dword s17, s[4:5], 0x0
	v_mov_b32_e32 v6, 0
	s_waitcnt lgkmcnt(0)
	s_cmp_lt_u32 s2, s17
	s_cselect_b32 s17, 12, 18
	s_add_u32 s18, s4, s17
	s_addc_u32 s19, s5, 0
	global_load_ushort v2, v3, s[18:19]
	s_waitcnt vmcnt(0)
	v_mad_u32_u24 v2, v92, v2, v1
	v_and_b32_e32 v2, 63, v2
	v_cmp_gt_u32_e32 vcc, 8, v2
	s_and_saveexec_b64 s[18:19], vcc
	s_cbranch_execz .LBB193_80
; %bb.77:                               ;   in Loop: Header=BB193_53 Depth=1
	v_lshl_add_u64 v[4:5], v[90:91], 0, v[2:3]
	v_lshl_add_u64 v[4:5], v[4:5], 0, s[12:13]
	v_cmp_gt_i64_e32 vcc, s[8:9], v[4:5]
	v_mov_b32_e32 v6, 0
	s_and_saveexec_b64 s[20:21], vcc
	s_cbranch_execz .LBB193_79
; %bb.78:                               ;   in Loop: Header=BB193_53 Depth=1
	v_lshl_add_u64 v[4:5], v[4:5], 2, s[24:25]
	global_load_dword v6, v[4:5], off
.LBB193_79:                             ;   in Loop: Header=BB193_53 Depth=1
	s_or_b64 exec, exec, s[20:21]
.LBB193_80:                             ;   in Loop: Header=BB193_53 Depth=1
	s_or_b64 exec, exec, s[18:19]
	v_lshl_add_u64 v[10:11], v[30:31], 0, v[28:29]
	v_lshl_add_u64 v[90:91], v[38:39], 0, v[28:29]
	;; [unrolled: 1-line block ×16, first 2 shown]
	global_load_ushort v2, v[10:11], off
	global_load_ushort v95, v[4:5], off
	;; [unrolled: 1-line block ×15, first 2 shown]
                                        ; kill: killed $vgpr24_vgpr25
                                        ; kill: killed $vgpr10_vgpr11
                                        ; kill: killed $vgpr102_vgpr103
                                        ; kill: killed $vgpr20_vgpr21
                                        ; kill: killed $vgpr4_vgpr5
                                        ; kill: killed $vgpr98_vgpr99
                                        ; kill: killed $vgpr16_vgpr17
                                        ; kill: killed $vgpr90_vgpr91
                                        ; kill: killed $vgpr12_vgpr13
                                        ; kill: killed $vgpr104_vgpr105
                                        ; kill: killed $vgpr22_vgpr23
                                        ; kill: killed $vgpr8_vgpr9
                                        ; kill: killed $vgpr18_vgpr19
                                        ; kill: killed $vgpr96_vgpr97
                                        ; kill: killed $vgpr14_vgpr15
	global_load_ushort v90, v[100:101], off
	s_waitcnt vmcnt(16)
	ds_bpermute_b32 v4, v93, v6
	ds_bpermute_b32 v5, v93, v6 offset:4
	ds_bpermute_b32 v8, v93, v6 offset:8
	;; [unrolled: 1-line block ×7, first 2 shown]
	s_waitcnt vmcnt(15)
	v_lshlrev_b32_e32 v7, 16, v2
	s_waitcnt vmcnt(14)
	v_lshlrev_b32_e32 v6, 16, v95
	;; [unrolled: 2-line block ×4, first 2 shown]
	v_pk_mul_f32 v[6:7], v[6:7], v[14:15]
	s_waitcnt vmcnt(11)
	v_lshlrev_b32_e32 v17, 16, v108
	s_waitcnt vmcnt(10)
	v_lshlrev_b32_e32 v16, 16, v109
	;; [unrolled: 2-line block ×4, first 2 shown]
	s_waitcnt lgkmcnt(6)
	v_pk_mul_f32 v[4:5], v[6:7], v[4:5]
	v_pk_mul_f32 v[14:15], v[16:17], v[18:19]
	v_add_f32_e32 v2, v94, v4
	s_waitcnt vmcnt(7)
	v_lshlrev_b32_e32 v21, 16, v112
	s_waitcnt vmcnt(6)
	v_lshlrev_b32_e32 v20, 16, v113
	;; [unrolled: 2-line block ×4, first 2 shown]
	s_waitcnt lgkmcnt(4)
	v_pk_mul_f32 v[6:7], v[14:15], v[8:9]
	v_add_f32_e32 v2, v2, v5
	v_pk_mul_f32 v[16:17], v[20:21], v[22:23]
	v_add_f32_e32 v2, v2, v6
	s_waitcnt vmcnt(3)
	v_lshlrev_b32_e32 v25, 16, v116
	s_waitcnt vmcnt(2)
	v_lshlrev_b32_e32 v24, 16, v117
	;; [unrolled: 2-line block ×3, first 2 shown]
	s_waitcnt lgkmcnt(2)
	v_pk_mul_f32 v[8:9], v[16:17], v[10:11]
	v_add_f32_e32 v2, v2, v7
	v_add_f32_e32 v2, v2, v8
	;; [unrolled: 1-line block ×3, first 2 shown]
	s_waitcnt vmcnt(0)
	v_lshlrev_b32_e32 v90, 16, v90
	v_pk_mul_f32 v[18:19], v[24:25], v[90:91]
	s_waitcnt lgkmcnt(0)
	v_pk_mul_f32 v[4:5], v[18:19], v[12:13]
	s_nop 0
	v_add_f32_e32 v2, v2, v4
	v_add_f32_e32 v4, v2, v5
.LBB193_81:                             ;   in Loop: Header=BB193_53 Depth=1
	s_add_u32 s26, s26, s3
	s_addc_u32 s27, s27, 0
	v_mov_b64_e32 v[6:7], s[8:9]
	s_add_u32 s6, s6, s3
	v_cmp_ge_i64_e32 vcc, s[26:27], v[6:7]
	s_addc_u32 s7, s7, 0
	v_lshl_add_u64 v[30:31], v[30:31], 0, s[28:29]
	v_lshl_add_u64 v[32:33], v[32:33], 0, s[28:29]
	;; [unrolled: 1-line block ×30, first 2 shown]
	s_cbranch_vccnz .LBB193_83
; %bb.82:                               ;   in Loop: Header=BB193_53 Depth=1
	v_mov_b32_e32 v94, v4
	s_branch .LBB193_53
.LBB193_83:
	v_bfe_u32 v2, v0, 10, 10
	v_and_b32_e32 v5, 0x3ff, v0
	s_movk_i32 s3, 0x41
	v_mad_u32_u24 v0, v2, s3, v5
	v_lshl_add_u32 v0, v0, 2, 0
	v_mov_b32_e32 v1, 0
	ds_write_b32 v0, v4
	ds_write_b32 v0, v1 offset:2080
	v_lshrrev_b32_e32 v0, 6, v5
	v_add_u32_e32 v3, v0, v2
	s_mov_b32 s3, 0
	v_cmp_gt_u32_e32 vcc, 64, v3
	s_waitcnt lgkmcnt(0)
	s_barrier
	s_and_saveexec_b64 s[4:5], vcc
	s_cbranch_execz .LBB193_90
; %bb.84:
	v_mbcnt_lo_u32_b32 v6, -1, 0
	v_mbcnt_hi_u32_b32 v6, -1, v6
	v_and_b32_e32 v4, 63, v5
	v_and_b32_e32 v7, 64, v6
	s_load_dwordx2 s[12:13], s[0:1], 0x30
	v_cmp_gt_u32_e32 vcc, 8, v4
	v_add_u32_e32 v7, 64, v7
	v_mul_u32_u24_e32 v8, 0x104, v4
	v_xor_b32_e32 v4, 4, v6
	s_lshl_b64 s[4:5], s[2:3], 6
	v_cmp_ne_u32_e64 s[0:1], 0, v5
	v_cmp_lt_i32_e64 s[2:3], v4, v7
	v_xor_b32_e32 v5, 2, v6
	v_xor_b32_e32 v9, 1, v6
	v_cndmask_b32_e64 v4, v6, v4, s[2:3]
	v_cmp_lt_i32_e64 s[2:3], v5, v7
	v_lshlrev_b32_e32 v3, 2, v3
	s_waitcnt lgkmcnt(0)
	s_cmp_eq_u64 s[12:13], 0
	v_cndmask_b32_e64 v5, v6, v5, s[2:3]
	v_cmp_lt_i32_e64 s[2:3], v9, v7
	v_add3_u32 v7, v8, v3, 0
	v_mov_b32_e32 v3, v1
	v_lshl_add_u64 v[0:1], v[0:1], 0, v[2:3]
	v_cndmask_b32_e64 v6, v6, v9, s[2:3]
	v_lshl_add_u64 v[2:3], v[0:1], 0, s[4:5]
	s_mov_b64 s[6:7], 0
	s_cselect_b64 s[8:9], -1, 0
	v_lshlrev_b32_e32 v4, 2, v4
	v_lshlrev_b32_e32 v5, 2, v5
	;; [unrolled: 1-line block ×3, first 2 shown]
	v_lshl_add_u64 v[2:3], v[2:3], 1, s[12:13]
	s_movk_i32 s14, 0x7fff
	v_mov_b32_e32 v8, 0x7fc0
                                        ; implicit-def: $vgpr9
	s_branch .LBB193_86
.LBB193_85:                             ;   in Loop: Header=BB193_86 Depth=1
	s_or_b64 exec, exec, s[12:13]
	v_lshl_add_u64 v[0:1], v[0:1], 0, 8
	v_add_u32_e32 v10, -8, v0
	v_cmp_lt_u32_e64 s[2:3], 55, v10
	v_add_u32_e32 v7, 32, v7
	s_or_b64 s[6:7], s[2:3], s[6:7]
	v_lshl_add_u64 v[2:3], v[2:3], 0, 16
	s_andn2_b64 exec, exec, s[6:7]
	s_cbranch_execz .LBB193_90
.LBB193_86:                             ; =>This Inner Loop Header: Depth=1
	s_and_saveexec_b64 s[2:3], vcc
	s_cbranch_execz .LBB193_88
; %bb.87:                               ;   in Loop: Header=BB193_86 Depth=1
	ds_read_b32 v9, v7
.LBB193_88:                             ;   in Loop: Header=BB193_86 Depth=1
	s_or_b64 exec, exec, s[2:3]
	s_waitcnt lgkmcnt(0)
	ds_bpermute_b32 v10, v4, v9
	s_waitcnt lgkmcnt(0)
	v_add_f32_e32 v9, v9, v10
	ds_bpermute_b32 v10, v5, v9
	s_waitcnt lgkmcnt(0)
	v_add_f32_e32 v9, v9, v10
	ds_bpermute_b32 v12, v6, v9
	v_lshl_add_u64 v[10:11], s[4:5], 0, v[0:1]
	v_cmp_le_i64_e64 s[2:3], s[10:11], v[10:11]
	s_or_b64 s[2:3], s[0:1], s[2:3]
	s_or_b64 s[2:3], s[8:9], s[2:3]
	s_waitcnt lgkmcnt(0)
	v_add_f32_e32 v9, v9, v12
	s_xor_b64 s[2:3], s[2:3], -1
	s_and_saveexec_b64 s[12:13], s[2:3]
	s_cbranch_execz .LBB193_85
; %bb.89:                               ;   in Loop: Header=BB193_86 Depth=1
	v_bfe_u32 v10, v9, 16, 1
	v_add3_u32 v10, v9, v10, s14
	v_lshrrev_b32_e32 v10, 16, v10
	v_cmp_o_f32_e64 s[2:3], v9, v9
	s_nop 1
	v_cndmask_b32_e64 v10, v8, v10, s[2:3]
	global_store_short v[2:3], v10, off
	s_branch .LBB193_85
.LBB193_90:
	s_endpgm
	.section	.rodata,"a",@progbits
	.p2align	6, 0x0
	.amdhsa_kernel _ZN2at6native12_GLOBAL__N_135GammaBetaBackwardCUDAKernelTemplateIN3c108BFloat16EfLj64ELj8ELj64ELb0ELb0ELb1EEEvllPKT_S7_PKT0_SA_PS5_SB_
		.amdhsa_group_segment_fixed_size 0
		.amdhsa_private_segment_fixed_size 0
		.amdhsa_kernarg_size 320
		.amdhsa_user_sgpr_count 2
		.amdhsa_user_sgpr_dispatch_ptr 0
		.amdhsa_user_sgpr_queue_ptr 0
		.amdhsa_user_sgpr_kernarg_segment_ptr 1
		.amdhsa_user_sgpr_dispatch_id 0
		.amdhsa_user_sgpr_kernarg_preload_length 0
		.amdhsa_user_sgpr_kernarg_preload_offset 0
		.amdhsa_user_sgpr_private_segment_size 0
		.amdhsa_uses_dynamic_stack 0
		.amdhsa_enable_private_segment 0
		.amdhsa_system_sgpr_workgroup_id_x 1
		.amdhsa_system_sgpr_workgroup_id_y 1
		.amdhsa_system_sgpr_workgroup_id_z 0
		.amdhsa_system_sgpr_workgroup_info 0
		.amdhsa_system_vgpr_workitem_id 1
		.amdhsa_next_free_vgpr 119
		.amdhsa_next_free_sgpr 56
		.amdhsa_accum_offset 120
		.amdhsa_reserve_vcc 1
		.amdhsa_float_round_mode_32 0
		.amdhsa_float_round_mode_16_64 0
		.amdhsa_float_denorm_mode_32 3
		.amdhsa_float_denorm_mode_16_64 3
		.amdhsa_dx10_clamp 1
		.amdhsa_ieee_mode 1
		.amdhsa_fp16_overflow 0
		.amdhsa_tg_split 0
		.amdhsa_exception_fp_ieee_invalid_op 0
		.amdhsa_exception_fp_denorm_src 0
		.amdhsa_exception_fp_ieee_div_zero 0
		.amdhsa_exception_fp_ieee_overflow 0
		.amdhsa_exception_fp_ieee_underflow 0
		.amdhsa_exception_fp_ieee_inexact 0
		.amdhsa_exception_int_div_zero 0
	.end_amdhsa_kernel
	.section	.text._ZN2at6native12_GLOBAL__N_135GammaBetaBackwardCUDAKernelTemplateIN3c108BFloat16EfLj64ELj8ELj64ELb0ELb0ELb1EEEvllPKT_S7_PKT0_SA_PS5_SB_,"axG",@progbits,_ZN2at6native12_GLOBAL__N_135GammaBetaBackwardCUDAKernelTemplateIN3c108BFloat16EfLj64ELj8ELj64ELb0ELb0ELb1EEEvllPKT_S7_PKT0_SA_PS5_SB_,comdat
.Lfunc_end193:
	.size	_ZN2at6native12_GLOBAL__N_135GammaBetaBackwardCUDAKernelTemplateIN3c108BFloat16EfLj64ELj8ELj64ELb0ELb0ELb1EEEvllPKT_S7_PKT0_SA_PS5_SB_, .Lfunc_end193-_ZN2at6native12_GLOBAL__N_135GammaBetaBackwardCUDAKernelTemplateIN3c108BFloat16EfLj64ELj8ELj64ELb0ELb0ELb1EEEvllPKT_S7_PKT0_SA_PS5_SB_
                                        ; -- End function
	.section	.AMDGPU.csdata,"",@progbits
; Kernel info:
; codeLenInByte = 6660
; NumSgprs: 62
; NumVgprs: 119
; NumAgprs: 0
; TotalNumVgprs: 119
; ScratchSize: 0
; MemoryBound: 0
; FloatMode: 240
; IeeeMode: 1
; LDSByteSize: 0 bytes/workgroup (compile time only)
; SGPRBlocks: 7
; VGPRBlocks: 14
; NumSGPRsForWavesPerEU: 62
; NumVGPRsForWavesPerEU: 119
; AccumOffset: 120
; Occupancy: 4
; WaveLimiterHint : 0
; COMPUTE_PGM_RSRC2:SCRATCH_EN: 0
; COMPUTE_PGM_RSRC2:USER_SGPR: 2
; COMPUTE_PGM_RSRC2:TRAP_HANDLER: 0
; COMPUTE_PGM_RSRC2:TGID_X_EN: 1
; COMPUTE_PGM_RSRC2:TGID_Y_EN: 1
; COMPUTE_PGM_RSRC2:TGID_Z_EN: 0
; COMPUTE_PGM_RSRC2:TIDIG_COMP_CNT: 1
; COMPUTE_PGM_RSRC3_GFX90A:ACCUM_OFFSET: 29
; COMPUTE_PGM_RSRC3_GFX90A:TG_SPLIT: 0
	.section	.text._ZN2at6native12_GLOBAL__N_135GammaBetaBackwardCUDAKernelTemplateIN3c108BFloat16EfLj64ELj16ELj128ELb0ELb1ELb1EEEvllPKT_S7_PKT0_SA_PS5_SB_,"axG",@progbits,_ZN2at6native12_GLOBAL__N_135GammaBetaBackwardCUDAKernelTemplateIN3c108BFloat16EfLj64ELj16ELj128ELb0ELb1ELb1EEEvllPKT_S7_PKT0_SA_PS5_SB_,comdat
	.globl	_ZN2at6native12_GLOBAL__N_135GammaBetaBackwardCUDAKernelTemplateIN3c108BFloat16EfLj64ELj16ELj128ELb0ELb1ELb1EEEvllPKT_S7_PKT0_SA_PS5_SB_ ; -- Begin function _ZN2at6native12_GLOBAL__N_135GammaBetaBackwardCUDAKernelTemplateIN3c108BFloat16EfLj64ELj16ELj128ELb0ELb1ELb1EEEvllPKT_S7_PKT0_SA_PS5_SB_
	.p2align	8
	.type	_ZN2at6native12_GLOBAL__N_135GammaBetaBackwardCUDAKernelTemplateIN3c108BFloat16EfLj64ELj16ELj128ELb0ELb1ELb1EEEvllPKT_S7_PKT0_SA_PS5_SB_,@function
_ZN2at6native12_GLOBAL__N_135GammaBetaBackwardCUDAKernelTemplateIN3c108BFloat16EfLj64ELj16ELj128ELb0ELb1ELb1EEEvllPKT_S7_PKT0_SA_PS5_SB_: ; @_ZN2at6native12_GLOBAL__N_135GammaBetaBackwardCUDAKernelTemplateIN3c108BFloat16EfLj64ELj16ELj128ELb0ELb1ELb1EEEvllPKT_S7_PKT0_SA_PS5_SB_
; %bb.0:
	s_load_dwordx4 s[4:7], s[0:1], 0x0
	s_lshl_b32 s14, s3, 7
	s_mov_b32 s15, 0
	v_bfe_u32 v12, v0, 10, 10
	s_waitcnt lgkmcnt(0)
	v_mov_b64_e32 v[2:3], s[4:5]
	v_cmp_lt_i64_e32 vcc, s[14:15], v[2:3]
	s_cbranch_vccnz .LBB194_2
; %bb.1:
	s_mov_b64 s[8:9], 0
	v_bfe_u32 v2, v0, 10, 10
	s_branch .LBB194_3
.LBB194_2:
	s_mov_b64 s[8:9], -1
                                        ; implicit-def: $vgpr2
.LBB194_3:
	s_load_dwordx2 s[12:13], s[0:1], 0x30
	v_and_b32_e32 v10, 0x3ff, v0
	s_andn2_b64 vcc, exec, s[8:9]
	v_mov_b32_e32 v1, s15
	v_mbcnt_lo_u32_b32 v11, -1, 0
	s_cbranch_vccnz .LBB194_11
; %bb.4:
	s_load_dword s3, s[0:1], 0x4c
	s_load_dword s16, s[0:1], 0x44
	s_load_dwordx2 s[18:19], s[0:1], 0x28
	s_load_dwordx4 s[8:11], s[0:1], 0x10
	v_lshlrev_b32_e32 v0, 3, v12
	s_waitcnt lgkmcnt(0)
	s_and_b32 s0, s3, 0xffff
	v_mad_u32_u24 v1, v12, s0, v10
	v_and_b32_e32 v2, 63, v1
	v_mov_b32_e32 v1, 0
	v_mov_b32_e32 v3, v1
	v_lshl_add_u64 v[8:9], v[0:1], 0, s[14:15]
	v_cmp_gt_u32_e64 s[0:1], 8, v2
	v_mbcnt_hi_u32_b32 v4, -1, v11
	s_lshl_b32 s16, s16, 7
	v_lshl_add_u64 v[2:3], v[8:9], 0, v[2:3]
	v_mul_lo_u32 v0, s7, v8
	v_mul_lo_u32 v21, s6, v9
	v_mad_u64_u32 v[8:9], s[20:21], s6, v8, 0
	v_lshl_add_u32 v6, s2, 6, v10
	v_mov_b32_e32 v7, v1
	v_lshlrev_b32_e32 v4, 2, v4
	s_mul_i32 s3, s7, s16
	s_mul_hi_u32 s20, s6, s16
	s_mov_b32 s17, 0
	v_and_b32_e32 v13, 0x100, v4
	v_add3_u32 v9, v9, v21, v0
	v_lshlrev_b64 v[6:7], 1, v[6:7]
	s_add_i32 s21, s20, s3
	s_mul_i32 s20, s6, s16
	v_or_b32_e32 v14, 4, v13
	v_or_b32_e32 v15, 8, v13
	;; [unrolled: 1-line block ×7, first 2 shown]
	v_lshl_add_u64 v[4:5], v[2:3], 2, s[18:19]
	s_lshl_b64 s[18:19], s[16:17], 2
	v_lshl_add_u64 v[6:7], v[8:9], 1, v[6:7]
	s_lshl_b64 s[20:21], s[20:21], 1
	s_lshl_b64 s[6:7], s[6:7], 1
	v_mov_b64_e32 v[8:9], s[4:5]
	s_branch .LBB194_7
.LBB194_5:                              ;   in Loop: Header=BB194_7 Depth=1
	s_or_b64 exec, exec, s[24:25]
.LBB194_6:                              ;   in Loop: Header=BB194_7 Depth=1
	s_or_b64 exec, exec, s[22:23]
	v_lshl_add_u64 v[22:23], s[8:9], 0, v[6:7]
	v_lshl_add_u64 v[24:25], s[10:11], 0, v[6:7]
	;; [unrolled: 1-line block ×5, first 2 shown]
	global_load_ushort v21, v[22:23], off
	global_load_ushort v34, v[24:25], off
	;; [unrolled: 1-line block ×4, first 2 shown]
	v_lshl_add_u64 v[32:33], v[28:29], 0, s[6:7]
	v_lshl_add_u64 v[22:23], v[30:31], 0, s[6:7]
	global_load_ushort v37, v[30:31], off
	global_load_ushort v38, v[32:33], off
	v_lshl_add_u64 v[24:25], v[32:33], 0, s[6:7]
	global_load_ushort v39, v[22:23], off
	global_load_ushort v40, v[24:25], off
	v_lshl_add_u64 v[22:23], v[22:23], 0, s[6:7]
	v_lshl_add_u64 v[24:25], v[24:25], 0, s[6:7]
	global_load_ushort v41, v[22:23], off
	global_load_ushort v42, v[24:25], off
	v_lshl_add_u64 v[22:23], v[22:23], 0, s[6:7]
	;; [unrolled: 4-line block ×4, first 2 shown]
	v_lshl_add_u64 v[24:25], v[24:25], 0, s[6:7]
	global_load_ushort v47, v[22:23], off
	global_load_ushort v48, v[24:25], off
	s_waitcnt vmcnt(16)
	ds_bpermute_b32 v22, v13, v0
	ds_bpermute_b32 v23, v14, v0
	;; [unrolled: 1-line block ×8, first 2 shown]
	s_add_u32 s14, s14, s16
	s_addc_u32 s15, s15, 0
	v_cmp_lt_i64_e32 vcc, s[14:15], v[8:9]
	v_lshl_add_u64 v[4:5], v[4:5], 0, s[18:19]
	v_lshl_add_u64 v[2:3], v[2:3], 0, s[16:17]
	;; [unrolled: 1-line block ×3, first 2 shown]
	s_and_b64 vcc, exec, vcc
	s_waitcnt vmcnt(15)
	v_lshlrev_b32_e32 v30, 16, v21
	s_waitcnt vmcnt(14)
	v_lshlrev_b32_e32 v32, 16, v34
	;; [unrolled: 2-line block ×4, first 2 shown]
	v_pk_mul_f32 v[30:31], v[30:31], v[32:33]
	s_waitcnt vmcnt(11)
	v_lshlrev_b32_e32 v32, 16, v37
	s_waitcnt vmcnt(10)
	v_lshlrev_b32_e32 v34, 16, v38
	s_waitcnt lgkmcnt(6)
	v_pk_mul_f32 v[22:23], v[30:31], v[22:23]
	s_waitcnt vmcnt(9)
	v_lshlrev_b32_e32 v33, 16, v39
	s_waitcnt vmcnt(8)
	v_lshlrev_b32_e32 v35, 16, v40
	v_add_f32_e32 v21, v1, v22
	v_pk_mul_f32 v[0:1], v[32:33], v[34:35]
	s_waitcnt vmcnt(7)
	v_lshlrev_b32_e32 v22, 16, v41
	s_waitcnt vmcnt(6)
	v_lshlrev_b32_e32 v30, 16, v42
	v_add_f32_e32 v21, v21, v23
	s_waitcnt lgkmcnt(4)
	v_pk_mul_f32 v[0:1], v[0:1], v[24:25]
	s_waitcnt vmcnt(5)
	v_lshlrev_b32_e32 v23, 16, v43
	s_waitcnt vmcnt(4)
	v_lshlrev_b32_e32 v31, 16, v44
	v_add_f32_e32 v21, v21, v0
	v_pk_mul_f32 v[22:23], v[22:23], v[30:31]
	s_waitcnt vmcnt(3)
	v_lshlrev_b32_e32 v0, 16, v45
	s_waitcnt vmcnt(2)
	v_lshlrev_b32_e32 v24, 16, v46
	v_add_f32_e32 v21, v21, v1
	s_waitcnt lgkmcnt(2)
	v_pk_mul_f32 v[22:23], v[22:23], v[26:27]
	s_waitcnt vmcnt(1)
	v_lshlrev_b32_e32 v1, 16, v47
	s_waitcnt vmcnt(0)
	v_lshlrev_b32_e32 v25, 16, v48
	v_add_f32_e32 v21, v21, v22
	v_pk_mul_f32 v[0:1], v[0:1], v[24:25]
	v_add_f32_e32 v21, v21, v23
	s_waitcnt lgkmcnt(0)
	v_pk_mul_f32 v[0:1], v[0:1], v[28:29]
	s_nop 0
	v_add_f32_e32 v0, v21, v0
	v_add_f32_e32 v1, v0, v1
	s_cbranch_vccz .LBB194_10
.LBB194_7:                              ; =>This Inner Loop Header: Depth=1
	v_mov_b32_e32 v0, 0
	s_and_saveexec_b64 s[22:23], s[0:1]
	s_cbranch_execz .LBB194_6
; %bb.8:                                ;   in Loop: Header=BB194_7 Depth=1
	v_cmp_gt_i64_e32 vcc, s[4:5], v[2:3]
	v_mov_b32_e32 v0, 0
	s_and_saveexec_b64 s[24:25], vcc
	s_cbranch_execz .LBB194_5
; %bb.9:                                ;   in Loop: Header=BB194_7 Depth=1
	global_load_dword v0, v[4:5], off
	s_branch .LBB194_5
.LBB194_10:
	v_mov_b32_e32 v2, v12
.LBB194_11:
	s_movk_i32 s0, 0x41
	v_mad_u32_u24 v0, v2, s0, v10
	v_lshl_add_u32 v0, v0, 2, 0
	ds_write_b32 v0, v1
	v_mov_b32_e32 v1, 0
	ds_write_b32 v0, v1 offset:4160
	v_lshrrev_b32_e32 v0, 6, v10
	v_add_u32_e32 v3, v0, v2
	s_mov_b32 s3, 0
	v_cmp_gt_u32_e32 vcc, 64, v3
	s_waitcnt lgkmcnt(0)
	s_barrier
	s_and_saveexec_b64 s[0:1], vcc
	s_cbranch_execz .LBB194_18
; %bb.12:
	v_mbcnt_hi_u32_b32 v7, -1, v11
	v_and_b32_e32 v4, 63, v10
	v_and_b32_e32 v5, 64, v7
	s_cmp_lg_u64 s[12:13], 0
	v_cmp_gt_u32_e32 vcc, 16, v4
	v_add_u32_e32 v8, 64, v5
	v_cmp_eq_u32_e64 s[0:1], 0, v10
	s_cselect_b64 s[6:7], -1, 0
	v_mul_u32_u24_e32 v9, 0x104, v4
	v_xor_b32_e32 v4, 8, v7
	s_and_b64 s[6:7], s[0:1], s[6:7]
	v_cmp_lt_i32_e64 s[0:1], v4, v8
	v_xor_b32_e32 v5, 4, v7
	v_xor_b32_e32 v6, 2, v7
	v_cndmask_b32_e64 v4, v7, v4, s[0:1]
	v_cmp_lt_i32_e64 s[0:1], v5, v8
	v_xor_b32_e32 v10, 1, v7
	s_mov_b64 s[4:5], 0
	v_cndmask_b32_e64 v5, v7, v5, s[0:1]
	v_cmp_lt_i32_e64 s[0:1], v6, v8
	v_lshlrev_b32_e32 v4, 2, v4
	v_lshlrev_b32_e32 v5, 2, v5
	v_cndmask_b32_e64 v6, v7, v6, s[0:1]
	v_cmp_lt_i32_e64 s[0:1], v10, v8
	v_lshlrev_b32_e32 v8, 2, v3
	v_add3_u32 v8, v9, v8, 0
	v_cndmask_b32_e64 v7, v7, v10, s[0:1]
	s_lshl_b64 s[0:1], s[2:3], 7
	v_add_u32_e32 v9, -16, v3
	v_mov_b32_e32 v3, v1
	s_add_u32 s0, s12, s0
	v_lshl_add_u64 v[0:1], v[0:1], 0, v[2:3]
	s_addc_u32 s1, s13, s1
	v_lshlrev_b32_e32 v6, 2, v6
	v_lshlrev_b32_e32 v7, 2, v7
	v_lshl_add_u64 v[0:1], v[0:1], 1, s[0:1]
	s_movk_i32 s8, 0x7fff
	v_mov_b32_e32 v2, 0x7fc0
                                        ; implicit-def: $vgpr3
	s_branch .LBB194_14
.LBB194_13:                             ;   in Loop: Header=BB194_14 Depth=1
	s_or_b64 exec, exec, s[2:3]
	v_add_u32_e32 v9, 16, v9
	v_cmp_lt_u32_e64 s[0:1], 47, v9
	v_add_u32_e32 v8, 64, v8
	s_or_b64 s[4:5], s[0:1], s[4:5]
	v_lshl_add_u64 v[0:1], v[0:1], 0, 32
	s_andn2_b64 exec, exec, s[4:5]
	s_cbranch_execz .LBB194_18
.LBB194_14:                             ; =>This Inner Loop Header: Depth=1
	s_and_saveexec_b64 s[0:1], vcc
	s_cbranch_execz .LBB194_16
; %bb.15:                               ;   in Loop: Header=BB194_14 Depth=1
	ds_read_b32 v3, v8
.LBB194_16:                             ;   in Loop: Header=BB194_14 Depth=1
	s_or_b64 exec, exec, s[0:1]
	s_waitcnt lgkmcnt(0)
	ds_bpermute_b32 v10, v4, v3
	s_waitcnt lgkmcnt(0)
	v_add_f32_e32 v3, v3, v10
	ds_bpermute_b32 v10, v5, v3
	s_waitcnt lgkmcnt(0)
	v_add_f32_e32 v3, v3, v10
	;; [unrolled: 3-line block ×4, first 2 shown]
	s_and_saveexec_b64 s[2:3], s[6:7]
	s_cbranch_execz .LBB194_13
; %bb.17:                               ;   in Loop: Header=BB194_14 Depth=1
	v_bfe_u32 v10, v3, 16, 1
	v_add3_u32 v10, v3, v10, s8
	v_lshrrev_b32_e32 v10, 16, v10
	v_cmp_o_f32_e64 s[0:1], v3, v3
	s_nop 1
	v_cndmask_b32_e64 v10, v2, v10, s[0:1]
	global_store_short v[0:1], v10, off
	s_branch .LBB194_13
.LBB194_18:
	s_endpgm
	.section	.rodata,"a",@progbits
	.p2align	6, 0x0
	.amdhsa_kernel _ZN2at6native12_GLOBAL__N_135GammaBetaBackwardCUDAKernelTemplateIN3c108BFloat16EfLj64ELj16ELj128ELb0ELb1ELb1EEEvllPKT_S7_PKT0_SA_PS5_SB_
		.amdhsa_group_segment_fixed_size 0
		.amdhsa_private_segment_fixed_size 0
		.amdhsa_kernarg_size 320
		.amdhsa_user_sgpr_count 2
		.amdhsa_user_sgpr_dispatch_ptr 0
		.amdhsa_user_sgpr_queue_ptr 0
		.amdhsa_user_sgpr_kernarg_segment_ptr 1
		.amdhsa_user_sgpr_dispatch_id 0
		.amdhsa_user_sgpr_kernarg_preload_length 0
		.amdhsa_user_sgpr_kernarg_preload_offset 0
		.amdhsa_user_sgpr_private_segment_size 0
		.amdhsa_uses_dynamic_stack 0
		.amdhsa_enable_private_segment 0
		.amdhsa_system_sgpr_workgroup_id_x 1
		.amdhsa_system_sgpr_workgroup_id_y 1
		.amdhsa_system_sgpr_workgroup_id_z 0
		.amdhsa_system_sgpr_workgroup_info 0
		.amdhsa_system_vgpr_workitem_id 1
		.amdhsa_next_free_vgpr 49
		.amdhsa_next_free_sgpr 26
		.amdhsa_accum_offset 52
		.amdhsa_reserve_vcc 1
		.amdhsa_float_round_mode_32 0
		.amdhsa_float_round_mode_16_64 0
		.amdhsa_float_denorm_mode_32 3
		.amdhsa_float_denorm_mode_16_64 3
		.amdhsa_dx10_clamp 1
		.amdhsa_ieee_mode 1
		.amdhsa_fp16_overflow 0
		.amdhsa_tg_split 0
		.amdhsa_exception_fp_ieee_invalid_op 0
		.amdhsa_exception_fp_denorm_src 0
		.amdhsa_exception_fp_ieee_div_zero 0
		.amdhsa_exception_fp_ieee_overflow 0
		.amdhsa_exception_fp_ieee_underflow 0
		.amdhsa_exception_fp_ieee_inexact 0
		.amdhsa_exception_int_div_zero 0
	.end_amdhsa_kernel
	.section	.text._ZN2at6native12_GLOBAL__N_135GammaBetaBackwardCUDAKernelTemplateIN3c108BFloat16EfLj64ELj16ELj128ELb0ELb1ELb1EEEvllPKT_S7_PKT0_SA_PS5_SB_,"axG",@progbits,_ZN2at6native12_GLOBAL__N_135GammaBetaBackwardCUDAKernelTemplateIN3c108BFloat16EfLj64ELj16ELj128ELb0ELb1ELb1EEEvllPKT_S7_PKT0_SA_PS5_SB_,comdat
.Lfunc_end194:
	.size	_ZN2at6native12_GLOBAL__N_135GammaBetaBackwardCUDAKernelTemplateIN3c108BFloat16EfLj64ELj16ELj128ELb0ELb1ELb1EEEvllPKT_S7_PKT0_SA_PS5_SB_, .Lfunc_end194-_ZN2at6native12_GLOBAL__N_135GammaBetaBackwardCUDAKernelTemplateIN3c108BFloat16EfLj64ELj16ELj128ELb0ELb1ELb1EEEvllPKT_S7_PKT0_SA_PS5_SB_
                                        ; -- End function
	.section	.AMDGPU.csdata,"",@progbits
; Kernel info:
; codeLenInByte = 1492
; NumSgprs: 32
; NumVgprs: 49
; NumAgprs: 0
; TotalNumVgprs: 49
; ScratchSize: 0
; MemoryBound: 0
; FloatMode: 240
; IeeeMode: 1
; LDSByteSize: 0 bytes/workgroup (compile time only)
; SGPRBlocks: 3
; VGPRBlocks: 6
; NumSGPRsForWavesPerEU: 32
; NumVGPRsForWavesPerEU: 49
; AccumOffset: 52
; Occupancy: 8
; WaveLimiterHint : 0
; COMPUTE_PGM_RSRC2:SCRATCH_EN: 0
; COMPUTE_PGM_RSRC2:USER_SGPR: 2
; COMPUTE_PGM_RSRC2:TRAP_HANDLER: 0
; COMPUTE_PGM_RSRC2:TGID_X_EN: 1
; COMPUTE_PGM_RSRC2:TGID_Y_EN: 1
; COMPUTE_PGM_RSRC2:TGID_Z_EN: 0
; COMPUTE_PGM_RSRC2:TIDIG_COMP_CNT: 1
; COMPUTE_PGM_RSRC3_GFX90A:ACCUM_OFFSET: 12
; COMPUTE_PGM_RSRC3_GFX90A:TG_SPLIT: 0
	.section	.text._ZN2at6native12_GLOBAL__N_135GammaBetaBackwardCUDAKernelTemplateIN3c108BFloat16EfLj64ELj16ELj128ELb0ELb0ELb1EEEvllPKT_S7_PKT0_SA_PS5_SB_,"axG",@progbits,_ZN2at6native12_GLOBAL__N_135GammaBetaBackwardCUDAKernelTemplateIN3c108BFloat16EfLj64ELj16ELj128ELb0ELb0ELb1EEEvllPKT_S7_PKT0_SA_PS5_SB_,comdat
	.globl	_ZN2at6native12_GLOBAL__N_135GammaBetaBackwardCUDAKernelTemplateIN3c108BFloat16EfLj64ELj16ELj128ELb0ELb0ELb1EEEvllPKT_S7_PKT0_SA_PS5_SB_ ; -- Begin function _ZN2at6native12_GLOBAL__N_135GammaBetaBackwardCUDAKernelTemplateIN3c108BFloat16EfLj64ELj16ELj128ELb0ELb0ELb1EEEvllPKT_S7_PKT0_SA_PS5_SB_
	.p2align	8
	.type	_ZN2at6native12_GLOBAL__N_135GammaBetaBackwardCUDAKernelTemplateIN3c108BFloat16EfLj64ELj16ELj128ELb0ELb0ELb1EEEvllPKT_S7_PKT0_SA_PS5_SB_,@function
_ZN2at6native12_GLOBAL__N_135GammaBetaBackwardCUDAKernelTemplateIN3c108BFloat16EfLj64ELj16ELj128ELb0ELb0ELb1EEEvllPKT_S7_PKT0_SA_PS5_SB_: ; @_ZN2at6native12_GLOBAL__N_135GammaBetaBackwardCUDAKernelTemplateIN3c108BFloat16EfLj64ELj16ELj128ELb0ELb0ELb1EEEvllPKT_S7_PKT0_SA_PS5_SB_
; %bb.0:
	s_load_dwordx8 s[8:15], s[0:1], 0x0
	s_load_dwordx2 s[24:25], s[0:1], 0x28
	s_lshl_b32 s33, s2, 6
	s_or_b32 s26, s33, 63
	s_mov_b32 s27, 0
	s_waitcnt lgkmcnt(0)
	v_mov_b64_e32 v[2:3], s[10:11]
	v_cmp_ge_i64_e32 vcc, s[26:27], v[2:3]
	s_lshl_b32 s26, s3, 7
	v_mov_b64_e32 v[2:3], s[8:9]
	v_cmp_lt_i64_e64 s[4:5], s[26:27], v[2:3]
	s_nop 1
	v_cndmask_b32_e64 v1, 0, 1, s[4:5]
	v_cmp_ne_u32_e64 s[4:5], 1, v1
	s_cbranch_vccz .LBB195_49
; %bb.1:
	s_and_b64 vcc, exec, s[4:5]
	v_mov_b32_e32 v4, 0
	s_cbranch_vccnz .LBB195_50
; %bb.2:
	v_mov_b32_e32 v3, 0
	v_bfe_u32 v64, v0, 10, 10
	s_load_dword s3, s[0:1], 0x44
	v_lshlrev_b32_e32 v26, 3, v64
	v_mov_b32_e32 v27, v3
	v_and_b32_e32 v1, 0x3ff, v0
	v_lshl_add_u64 v[4:5], v[26:27], 0, s[26:27]
	v_add_u32_e32 v2, s33, v1
	v_lshl_add_u64 v[6:7], v[4:5], 0, 7
	s_add_u32 s28, s0, 64
	v_cmp_gt_i64_e64 s[6:7], s[10:11], v[2:3]
	v_lshlrev_b64 v[28:29], 1, v[2:3]
	v_mul_lo_u32 v2, s11, v6
	v_mul_lo_u32 v8, s10, v7
	v_mad_u64_u32 v[6:7], s[18:19], s10, v6, 0
	s_addc_u32 s29, s1, 0
	s_waitcnt lgkmcnt(0)
	s_lshl_b32 s3, s3, 7
	v_add3_u32 v7, v7, v8, v2
	v_lshlrev_b64 v[6:7], 1, v[6:7]
	s_mul_i32 s17, s11, s3
	s_mul_hi_u32 s18, s10, s3
	v_lshl_add_u64 v[30:31], s[12:13], 0, v[6:7]
	s_add_i32 s19, s18, s17
	s_mul_i32 s18, s10, s3
	v_lshl_add_u64 v[32:33], s[14:15], 0, v[6:7]
	v_lshl_add_u64 v[6:7], v[4:5], 0, 6
	s_lshl_b64 s[30:31], s[18:19], 1
	v_mul_lo_u32 v2, s11, v6
	v_mul_lo_u32 v8, s10, v7
	v_mad_u64_u32 v[6:7], s[18:19], s10, v6, 0
	v_add3_u32 v7, v7, v8, v2
	v_lshlrev_b64 v[6:7], 1, v[6:7]
	v_lshl_add_u64 v[34:35], s[12:13], 0, v[6:7]
	v_lshl_add_u64 v[36:37], s[14:15], 0, v[6:7]
	v_lshl_add_u64 v[6:7], v[4:5], 0, 5
	v_mul_lo_u32 v2, s11, v6
	v_mul_lo_u32 v8, s10, v7
	v_mad_u64_u32 v[6:7], s[18:19], s10, v6, 0
	v_add3_u32 v7, v7, v8, v2
	v_lshlrev_b64 v[6:7], 1, v[6:7]
	v_lshl_add_u64 v[38:39], s[12:13], 0, v[6:7]
	v_lshl_add_u64 v[40:41], s[14:15], 0, v[6:7]
	v_lshl_add_u64 v[6:7], v[4:5], 0, 4
	;; [unrolled: 8-line block ×4, first 2 shown]
	v_mul_lo_u32 v2, s11, v6
	v_mul_lo_u32 v8, s10, v7
	v_mad_u64_u32 v[6:7], s[18:19], s10, v6, 0
	v_add3_u32 v7, v7, v8, v2
	v_lshlrev_b64 v[6:7], 1, v[6:7]
	v_lshl_add_u64 v[50:51], s[12:13], 0, v[6:7]
	v_lshl_add_u64 v[52:53], s[14:15], 0, v[6:7]
	v_mov_b64_e32 v[6:7], s[10:11]
	v_mad_u64_u32 v[6:7], s[18:19], s10, v4, v[6:7]
	v_mul_lo_u32 v2, s10, v5
	v_mul_lo_u32 v8, s11, v4
	v_mad_u64_u32 v[4:5], s[18:19], s10, v4, 0
	v_add3_u32 v7, v8, v7, v2
	v_add3_u32 v5, v5, v2, v8
	v_mbcnt_lo_u32_b32 v2, -1, 0
	v_mbcnt_hi_u32_b32 v2, -1, v2
	v_lshlrev_b64 v[6:7], 1, v[6:7]
	s_add_u32 s34, s26, 0x7f
	v_lshlrev_b64 v[4:5], 1, v[4:5]
	s_movk_i32 s36, 0xff81
	s_movk_i32 s38, 0xff82
	s_movk_i32 s40, 0xff83
	s_movk_i32 s42, 0xff84
	s_movk_i32 s44, 0xff85
	s_movk_i32 s46, 0xff86
	s_movk_i32 s48, 0xff87
	s_movk_i32 s50, 0xff88
	v_lshlrev_b32_e32 v2, 2, v2
	s_mov_b32 s16, 0
	v_lshl_add_u64 v[54:55], s[12:13], 0, v[6:7]
	v_lshl_add_u64 v[56:57], s[14:15], 0, v[6:7]
	s_addc_u32 s35, 0, 0
	v_lshl_add_u64 v[58:59], s[12:13], 0, v[4:5]
	v_lshl_add_u64 v[60:61], s[14:15], 0, v[4:5]
	s_mov_b32 s37, -1
	s_mov_b32 s39, -1
	;; [unrolled: 1-line block ×8, first 2 shown]
	v_and_b32_e32 v65, 0x100, v2
	s_mov_b64 s[52:53], s[26:27]
	v_mov_b32_e32 v66, 0
.LBB195_3:                              ; =>This Inner Loop Header: Depth=1
	v_mov_b64_e32 v[4:5], s[8:9]
	v_cmp_ge_i64_e32 vcc, s[34:35], v[4:5]
	v_lshl_add_u64 v[62:63], v[26:27], 0, s[34:35]
	s_cbranch_vccz .LBB195_25
; %bb.4:                                ;   in Loop: Header=BB195_3 Depth=1
	s_load_dword s17, s[28:29], 0xc
	v_mov_b32_e32 v67, 0
	s_waitcnt lgkmcnt(0)
	s_and_b32 s17, s17, 0xffff
	v_mad_u32_u24 v2, v64, s17, v1
	v_and_b32_e32 v2, 63, v2
	v_cmp_gt_u32_e32 vcc, 8, v2
	s_and_saveexec_b64 s[18:19], vcc
	s_cbranch_execz .LBB195_8
; %bb.5:                                ;   in Loop: Header=BB195_3 Depth=1
	v_lshl_add_u64 v[4:5], v[62:63], 0, v[2:3]
	v_lshl_add_u64 v[4:5], v[4:5], 0, s[36:37]
	v_cmp_gt_i64_e32 vcc, s[8:9], v[4:5]
	v_mov_b32_e32 v67, 0
	s_and_saveexec_b64 s[20:21], vcc
	s_cbranch_execz .LBB195_7
; %bb.6:                                ;   in Loop: Header=BB195_3 Depth=1
	v_lshl_add_u64 v[4:5], v[4:5], 2, s[24:25]
	global_load_dword v67, v[4:5], off
.LBB195_7:                              ;   in Loop: Header=BB195_3 Depth=1
	s_or_b64 exec, exec, s[20:21]
.LBB195_8:                              ;   in Loop: Header=BB195_3 Depth=1
	s_or_b64 exec, exec, s[18:19]
	s_mov_b32 s17, s16
	s_mov_b32 s18, s16
	;; [unrolled: 1-line block ×7, first 2 shown]
	v_mov_b64_e32 v[10:11], s[16:17]
	v_lshl_add_u64 v[4:5], v[62:63], 0, s[36:37]
	v_mov_b64_e32 v[16:17], s[22:23]
	v_cmp_gt_i64_e32 vcc, s[8:9], v[4:5]
	v_mov_b64_e32 v[12:13], s[18:19]
	v_mov_b64_e32 v[14:15], s[20:21]
	;; [unrolled: 1-line block ×3, first 2 shown]
	s_and_b64 s[54:55], s[6:7], vcc
	v_mov_b64_e32 v[22:23], v[14:15]
	v_mov_b64_e32 v[20:21], v[12:13]
	;; [unrolled: 1-line block ×3, first 2 shown]
	s_and_saveexec_b64 s[18:19], s[54:55]
	s_cbranch_execz .LBB195_10
; %bb.9:                                ;   in Loop: Header=BB195_3 Depth=1
	v_lshl_add_u64 v[4:5], v[58:59], 0, v[28:29]
	global_load_ushort v2, v[4:5], off
	v_lshl_add_u64 v[4:5], v[60:61], 0, v[28:29]
	global_load_ushort v10, v[4:5], off
	v_mov_b32_e32 v8, v3
	v_mov_b32_e32 v9, v3
	;; [unrolled: 1-line block ×13, first 2 shown]
	s_waitcnt vmcnt(1)
	v_lshlrev_b32_e32 v2, 16, v2
	v_mov_b64_e32 v[24:25], v[8:9]
	s_waitcnt vmcnt(0)
	v_lshlrev_b32_e32 v10, 16, v10
	v_mov_b64_e32 v[22:23], v[6:7]
	v_mov_b64_e32 v[20:21], v[4:5]
	;; [unrolled: 1-line block ×3, first 2 shown]
.LBB195_10:                             ;   in Loop: Header=BB195_3 Depth=1
	s_or_b64 exec, exec, s[18:19]
	v_lshl_add_u64 v[4:5], v[62:63], 0, s[38:39]
	v_cmp_gt_i64_e32 vcc, s[8:9], v[4:5]
	s_and_b64 s[20:21], s[6:7], vcc
	s_and_saveexec_b64 s[18:19], s[20:21]
	s_cbranch_execz .LBB195_12
; %bb.11:                               ;   in Loop: Header=BB195_3 Depth=1
	v_lshl_add_u64 v[4:5], v[54:55], 0, v[28:29]
	global_load_ushort v2, v[4:5], off
	v_lshl_add_u64 v[4:5], v[56:57], 0, v[28:29]
	global_load_ushort v4, v[4:5], off
	s_waitcnt vmcnt(1)
	v_lshlrev_b32_e32 v19, 16, v2
	s_waitcnt vmcnt(0)
	v_lshlrev_b32_e32 v11, 16, v4
.LBB195_12:                             ;   in Loop: Header=BB195_3 Depth=1
	s_or_b64 exec, exec, s[18:19]
	v_lshl_add_u64 v[4:5], v[62:63], 0, s[40:41]
	v_cmp_gt_i64_e32 vcc, s[8:9], v[4:5]
	s_and_b64 s[20:21], s[6:7], vcc
	s_and_saveexec_b64 s[18:19], s[20:21]
	s_cbranch_execz .LBB195_14
; %bb.13:                               ;   in Loop: Header=BB195_3 Depth=1
	v_lshl_add_u64 v[4:5], v[50:51], 0, v[28:29]
	global_load_ushort v2, v[4:5], off
	v_lshl_add_u64 v[4:5], v[52:53], 0, v[28:29]
	global_load_ushort v4, v[4:5], off
	s_waitcnt vmcnt(1)
	v_lshlrev_b32_e32 v20, 16, v2
	s_waitcnt vmcnt(0)
	v_lshlrev_b32_e32 v12, 16, v4
.LBB195_14:                             ;   in Loop: Header=BB195_3 Depth=1
	;; [unrolled: 16-line block ×7, first 2 shown]
	s_or_b64 exec, exec, s[18:19]
	s_waitcnt vmcnt(0)
	ds_bpermute_b32 v4, v65, v67 offset:4
	ds_bpermute_b32 v5, v65, v67 offset:8
	ds_bpermute_b32 v2, v65, v67
	v_mul_f32_e32 v8, v10, v18
	v_pk_mul_f32 v[10:11], v[10:11], v[18:19]
	v_pk_mul_f32 v[12:13], v[12:13], v[20:21]
	v_mov_b32_e32 v10, v11
	v_mov_b32_e32 v11, v12
	s_waitcnt lgkmcnt(1)
	v_pk_mul_f32 v[4:5], v[10:11], v[4:5]
	ds_bpermute_b32 v10, v65, v67 offset:12
	ds_bpermute_b32 v11, v65, v67 offset:16
	s_waitcnt lgkmcnt(2)
	v_fma_f32 v2, v8, v2, v66
	v_pk_mul_f32 v[8:9], v[14:15], v[22:23]
	v_add_f32_e32 v2, v2, v4
	v_add_f32_e32 v2, v2, v5
	v_mov_b32_e32 v4, v13
	v_mov_b32_e32 v5, v8
	s_waitcnt lgkmcnt(0)
	v_pk_mul_f32 v[4:5], v[4:5], v[10:11]
	ds_bpermute_b32 v10, v65, v67 offset:20
	ds_bpermute_b32 v11, v65, v67 offset:24
	v_pk_mul_f32 v[6:7], v[16:17], v[24:25]
	v_add_f32_e32 v2, v2, v4
	v_add_f32_e32 v7, v2, v5
	ds_bpermute_b32 v2, v65, v67 offset:28
	v_mov_b32_e32 v4, v9
	v_mov_b32_e32 v5, v6
	s_waitcnt lgkmcnt(1)
	v_pk_mul_f32 v[4:5], v[4:5], v[10:11]
	s_nop 0
	v_add_f32_e32 v4, v7, v4
	v_add_f32_e32 v4, v4, v5
	s_branch .LBB195_40
.LBB195_25:                             ;   in Loop: Header=BB195_3 Depth=1
                                        ; implicit-def: $vgpr4
                                        ; implicit-def: $vgpr10_vgpr11_vgpr12_vgpr13_vgpr14_vgpr15_vgpr16_vgpr17
                                        ; implicit-def: $vgpr18_vgpr19_vgpr20_vgpr21_vgpr22_vgpr23_vgpr24_vgpr25
                                        ; implicit-def: $vgpr2
	s_cbranch_execz .LBB195_40
; %bb.26:                               ;   in Loop: Header=BB195_3 Depth=1
	s_load_dword s17, s[28:29], 0x0
	v_mov_b32_e32 v67, 0
	s_waitcnt lgkmcnt(0)
	s_cmp_lt_u32 s2, s17
	s_cselect_b32 s17, 12, 18
	s_add_u32 s18, s28, s17
	s_addc_u32 s19, s29, 0
	global_load_ushort v2, v3, s[18:19]
	s_waitcnt vmcnt(0)
	v_mad_u32_u24 v2, v64, v2, v1
	v_and_b32_e32 v2, 63, v2
	v_cmp_gt_u32_e32 vcc, 8, v2
	s_and_saveexec_b64 s[18:19], vcc
	s_cbranch_execz .LBB195_30
; %bb.27:                               ;   in Loop: Header=BB195_3 Depth=1
	v_lshl_add_u64 v[4:5], v[62:63], 0, v[2:3]
	v_lshl_add_u64 v[4:5], v[4:5], 0, s[36:37]
	v_cmp_gt_i64_e32 vcc, s[8:9], v[4:5]
	v_mov_b32_e32 v67, 0
	s_and_saveexec_b64 s[20:21], vcc
	s_cbranch_execz .LBB195_29
; %bb.28:                               ;   in Loop: Header=BB195_3 Depth=1
	v_lshl_add_u64 v[4:5], v[4:5], 2, s[24:25]
	global_load_dword v67, v[4:5], off
.LBB195_29:                             ;   in Loop: Header=BB195_3 Depth=1
	s_or_b64 exec, exec, s[20:21]
.LBB195_30:                             ;   in Loop: Header=BB195_3 Depth=1
	s_or_b64 exec, exec, s[18:19]
	s_mov_b32 s17, s16
	s_mov_b32 s18, s16
	;; [unrolled: 1-line block ×7, first 2 shown]
	v_mov_b64_e32 v[10:11], s[16:17]
	v_mov_b64_e32 v[16:17], s[22:23]
	;; [unrolled: 1-line block ×8, first 2 shown]
	s_and_saveexec_b64 s[18:19], s[6:7]
	s_cbranch_execnz .LBB195_42
; %bb.31:                               ;   in Loop: Header=BB195_3 Depth=1
	s_or_b64 exec, exec, s[18:19]
	s_and_saveexec_b64 s[18:19], s[6:7]
	s_cbranch_execnz .LBB195_43
.LBB195_32:                             ;   in Loop: Header=BB195_3 Depth=1
	s_or_b64 exec, exec, s[18:19]
	s_and_saveexec_b64 s[18:19], s[6:7]
	s_cbranch_execnz .LBB195_44
.LBB195_33:                             ;   in Loop: Header=BB195_3 Depth=1
	s_or_b64 exec, exec, s[18:19]
	s_and_saveexec_b64 s[18:19], s[6:7]
	s_cbranch_execnz .LBB195_45
.LBB195_34:                             ;   in Loop: Header=BB195_3 Depth=1
	s_or_b64 exec, exec, s[18:19]
	s_and_saveexec_b64 s[18:19], s[6:7]
	s_cbranch_execnz .LBB195_46
.LBB195_35:                             ;   in Loop: Header=BB195_3 Depth=1
	s_or_b64 exec, exec, s[18:19]
	s_and_saveexec_b64 s[18:19], s[6:7]
	s_cbranch_execnz .LBB195_47
.LBB195_36:                             ;   in Loop: Header=BB195_3 Depth=1
	s_or_b64 exec, exec, s[18:19]
	s_and_saveexec_b64 s[18:19], s[6:7]
	s_cbranch_execnz .LBB195_48
.LBB195_37:                             ;   in Loop: Header=BB195_3 Depth=1
	s_or_b64 exec, exec, s[18:19]
	s_and_saveexec_b64 s[18:19], s[6:7]
	s_cbranch_execz .LBB195_39
.LBB195_38:                             ;   in Loop: Header=BB195_3 Depth=1
	v_lshl_add_u64 v[4:5], v[30:31], 0, v[28:29]
	global_load_ushort v2, v[4:5], off
	v_lshl_add_u64 v[4:5], v[32:33], 0, v[28:29]
	global_load_ushort v4, v[4:5], off
	s_waitcnt vmcnt(1)
	v_lshlrev_b32_e32 v25, 16, v2
	s_waitcnt vmcnt(0)
	v_lshlrev_b32_e32 v17, 16, v4
.LBB195_39:                             ;   in Loop: Header=BB195_3 Depth=1
	s_or_b64 exec, exec, s[18:19]
	s_waitcnt vmcnt(0)
	ds_bpermute_b32 v4, v65, v67 offset:4
	ds_bpermute_b32 v5, v65, v67 offset:8
	ds_bpermute_b32 v2, v65, v67
	v_mul_f32_e32 v8, v10, v18
	v_pk_mul_f32 v[10:11], v[10:11], v[18:19]
	v_pk_mul_f32 v[12:13], v[12:13], v[20:21]
	v_mov_b32_e32 v10, v11
	v_mov_b32_e32 v11, v12
	s_waitcnt lgkmcnt(1)
	v_pk_mul_f32 v[4:5], v[10:11], v[4:5]
	ds_bpermute_b32 v10, v65, v67 offset:12
	ds_bpermute_b32 v11, v65, v67 offset:16
	s_waitcnt lgkmcnt(2)
	v_fmac_f32_e32 v66, v8, v2
	v_pk_mul_f32 v[8:9], v[14:15], v[22:23]
	v_add_f32_e32 v2, v66, v4
	v_add_f32_e32 v2, v2, v5
	v_mov_b32_e32 v4, v13
	v_mov_b32_e32 v5, v8
	s_waitcnt lgkmcnt(0)
	v_pk_mul_f32 v[4:5], v[4:5], v[10:11]
	ds_bpermute_b32 v10, v65, v67 offset:20
	ds_bpermute_b32 v11, v65, v67 offset:24
	v_pk_mul_f32 v[6:7], v[16:17], v[24:25]
	v_add_f32_e32 v2, v2, v4
	v_add_f32_e32 v7, v2, v5
	v_mov_b32_e32 v4, v9
	v_mov_b32_e32 v5, v6
	s_waitcnt lgkmcnt(0)
	v_pk_mul_f32 v[4:5], v[4:5], v[10:11]
	ds_bpermute_b32 v2, v65, v67 offset:28
	v_add_f32_e32 v4, v7, v4
	v_add_f32_e32 v4, v4, v5
.LBB195_40:                             ;   in Loop: Header=BB195_3 Depth=1
	s_add_u32 s52, s52, s3
	s_addc_u32 s53, s53, 0
	v_mov_b64_e32 v[6:7], s[8:9]
	v_mul_f32_e32 v5, v25, v17
	s_add_u32 s34, s34, s3
	v_cmp_lt_i64_e32 vcc, s[52:53], v[6:7]
	s_waitcnt lgkmcnt(0)
	v_fmac_f32_e32 v4, v5, v2
	v_lshl_add_u64 v[30:31], v[30:31], 0, s[30:31]
	v_lshl_add_u64 v[32:33], v[32:33], 0, s[30:31]
	;; [unrolled: 1-line block ×14, first 2 shown]
	s_addc_u32 s35, s35, 0
	v_lshl_add_u64 v[58:59], v[58:59], 0, s[30:31]
	v_lshl_add_u64 v[60:61], v[60:61], 0, s[30:31]
	s_cbranch_vccz .LBB195_50
; %bb.41:                               ;   in Loop: Header=BB195_3 Depth=1
	v_mov_b32_e32 v66, v4
	s_branch .LBB195_3
.LBB195_42:                             ;   in Loop: Header=BB195_3 Depth=1
	v_lshl_add_u64 v[4:5], v[58:59], 0, v[28:29]
	global_load_ushort v2, v[4:5], off
	v_lshl_add_u64 v[4:5], v[60:61], 0, v[28:29]
	global_load_ushort v10, v[4:5], off
	v_mov_b32_e32 v8, v3
	v_mov_b32_e32 v9, v3
	;; [unrolled: 1-line block ×13, first 2 shown]
	s_waitcnt vmcnt(1)
	v_lshlrev_b32_e32 v2, 16, v2
	v_mov_b64_e32 v[24:25], v[8:9]
	s_waitcnt vmcnt(0)
	v_lshlrev_b32_e32 v10, 16, v10
	v_mov_b64_e32 v[22:23], v[6:7]
	v_mov_b64_e32 v[20:21], v[4:5]
	;; [unrolled: 1-line block ×3, first 2 shown]
	s_or_b64 exec, exec, s[18:19]
	s_and_saveexec_b64 s[18:19], s[6:7]
	s_cbranch_execz .LBB195_32
.LBB195_43:                             ;   in Loop: Header=BB195_3 Depth=1
	v_lshl_add_u64 v[4:5], v[54:55], 0, v[28:29]
	global_load_ushort v2, v[4:5], off
	v_lshl_add_u64 v[4:5], v[56:57], 0, v[28:29]
	global_load_ushort v4, v[4:5], off
	s_waitcnt vmcnt(1)
	v_lshlrev_b32_e32 v19, 16, v2
	s_waitcnt vmcnt(0)
	v_lshlrev_b32_e32 v11, 16, v4
	s_or_b64 exec, exec, s[18:19]
	s_and_saveexec_b64 s[18:19], s[6:7]
	s_cbranch_execz .LBB195_33
.LBB195_44:                             ;   in Loop: Header=BB195_3 Depth=1
	v_lshl_add_u64 v[4:5], v[50:51], 0, v[28:29]
	global_load_ushort v2, v[4:5], off
	v_lshl_add_u64 v[4:5], v[52:53], 0, v[28:29]
	global_load_ushort v4, v[4:5], off
	s_waitcnt vmcnt(1)
	v_lshlrev_b32_e32 v20, 16, v2
	s_waitcnt vmcnt(0)
	v_lshlrev_b32_e32 v12, 16, v4
	s_or_b64 exec, exec, s[18:19]
	s_and_saveexec_b64 s[18:19], s[6:7]
	s_cbranch_execz .LBB195_34
.LBB195_45:                             ;   in Loop: Header=BB195_3 Depth=1
	v_lshl_add_u64 v[4:5], v[46:47], 0, v[28:29]
	global_load_ushort v2, v[4:5], off
	v_lshl_add_u64 v[4:5], v[48:49], 0, v[28:29]
	global_load_ushort v4, v[4:5], off
	s_waitcnt vmcnt(1)
	v_lshlrev_b32_e32 v21, 16, v2
	s_waitcnt vmcnt(0)
	v_lshlrev_b32_e32 v13, 16, v4
	s_or_b64 exec, exec, s[18:19]
	s_and_saveexec_b64 s[18:19], s[6:7]
	s_cbranch_execz .LBB195_35
.LBB195_46:                             ;   in Loop: Header=BB195_3 Depth=1
	v_lshl_add_u64 v[4:5], v[42:43], 0, v[28:29]
	global_load_ushort v2, v[4:5], off
	v_lshl_add_u64 v[4:5], v[44:45], 0, v[28:29]
	global_load_ushort v4, v[4:5], off
	s_waitcnt vmcnt(1)
	v_lshlrev_b32_e32 v22, 16, v2
	s_waitcnt vmcnt(0)
	v_lshlrev_b32_e32 v14, 16, v4
	s_or_b64 exec, exec, s[18:19]
	s_and_saveexec_b64 s[18:19], s[6:7]
	s_cbranch_execz .LBB195_36
.LBB195_47:                             ;   in Loop: Header=BB195_3 Depth=1
	v_lshl_add_u64 v[4:5], v[38:39], 0, v[28:29]
	global_load_ushort v2, v[4:5], off
	v_lshl_add_u64 v[4:5], v[40:41], 0, v[28:29]
	global_load_ushort v4, v[4:5], off
	s_waitcnt vmcnt(1)
	v_lshlrev_b32_e32 v23, 16, v2
	s_waitcnt vmcnt(0)
	v_lshlrev_b32_e32 v15, 16, v4
	s_or_b64 exec, exec, s[18:19]
	s_and_saveexec_b64 s[18:19], s[6:7]
	s_cbranch_execz .LBB195_37
.LBB195_48:                             ;   in Loop: Header=BB195_3 Depth=1
	v_lshl_add_u64 v[4:5], v[34:35], 0, v[28:29]
	global_load_ushort v2, v[4:5], off
	v_lshl_add_u64 v[4:5], v[36:37], 0, v[28:29]
	global_load_ushort v4, v[4:5], off
	s_waitcnt vmcnt(1)
	v_lshlrev_b32_e32 v24, 16, v2
	s_waitcnt vmcnt(0)
	v_lshlrev_b32_e32 v16, 16, v4
	s_or_b64 exec, exec, s[18:19]
	s_and_saveexec_b64 s[18:19], s[6:7]
	s_cbranch_execnz .LBB195_38
	s_branch .LBB195_39
.LBB195_49:
                                        ; implicit-def: $vgpr4
	s_branch .LBB195_51
.LBB195_50:
	s_cbranch_execnz .LBB195_83
.LBB195_51:
	s_and_b64 vcc, exec, s[4:5]
	v_mov_b32_e32 v4, 0
	s_cbranch_vccnz .LBB195_83
; %bb.52:
	v_and_b32_e32 v1, 0x3ff, v0
	v_add_u32_e32 v2, s33, v1
	v_mov_b32_e32 v3, 0
	v_bfe_u32 v92, v0, 10, 10
	v_lshlrev_b64 v[28:29], 1, v[2:3]
	v_lshlrev_b32_e32 v2, 4, v92
	v_lshl_add_u64 v[4:5], s[26:27], 1, v[2:3]
	v_lshl_add_u64 v[6:7], v[4:5], 0, 2
	v_mov_b64_e32 v[8:9], s[12:13]
	v_lshl_add_u64 v[10:11], v[4:5], 0, 4
	v_lshl_add_u64 v[12:13], v[4:5], 0, 6
	;; [unrolled: 1-line block ×6, first 2 shown]
	v_mad_u64_u32 v[30:31], s[4:5], s10, v6, v[8:9]
	v_mad_u64_u32 v[32:33], s[4:5], s10, v10, v[8:9]
	v_mad_u64_u32 v[34:35], s[4:5], s10, v12, v[8:9]
	v_mad_u64_u32 v[36:37], s[4:5], s10, v14, v[8:9]
	v_mad_u64_u32 v[38:39], s[4:5], s10, v16, v[8:9]
	v_mad_u64_u32 v[40:41], s[4:5], s10, v18, v[8:9]
	v_mad_u64_u32 v[42:43], s[4:5], s10, v4, v[8:9]
	v_mov_b64_e32 v[8:9], s[14:15]
	v_lshlrev_b32_e32 v26, 3, v92
	v_mov_b32_e32 v27, v3
	v_mul_lo_u32 v2, s10, v7
	v_mul_lo_u32 v7, s11, v6
	v_mad_u64_u32 v[44:45], s[4:5], s10, v6, v[8:9]
	v_add3_u32 v31, v7, v31, v2
	v_mul_lo_u32 v5, s10, v5
	v_mul_lo_u32 v25, s11, v4
	v_add3_u32 v45, v7, v45, v2
	v_lshl_add_u64 v[6:7], v[26:27], 0, s[26:27]
	v_mad_u64_u32 v[56:57], s[4:5], s10, v4, v[8:9]
	v_add3_u32 v43, v25, v43, v5
	v_add3_u32 v57, v25, v57, v5
	v_lshl_add_u64 v[4:5], v[6:7], 0, 7
	v_mad_u64_u32 v[46:47], s[4:5], s10, v10, v[8:9]
	v_mad_u64_u32 v[48:49], s[4:5], s10, v12, v[8:9]
	;; [unrolled: 1-line block ×5, first 2 shown]
	v_mul_lo_u32 v8, s11, v4
	v_mul_lo_u32 v9, s10, v5
	v_mad_u64_u32 v[4:5], s[4:5], s10, v4, 0
	v_mul_lo_u32 v11, s10, v11
	v_mul_lo_u32 v20, s11, v10
	v_add3_u32 v5, v5, v9, v8
	v_lshl_add_u64 v[8:9], v[6:7], 0, 6
	v_add3_u32 v33, v20, v33, v11
	v_add3_u32 v47, v20, v47, v11
	v_mul_lo_u32 v10, s11, v8
	v_mul_lo_u32 v11, s10, v9
	v_mad_u64_u32 v[8:9], s[4:5], s10, v8, 0
	v_mul_lo_u32 v13, s10, v13
	v_mul_lo_u32 v21, s11, v12
	v_add3_u32 v9, v9, v11, v10
	v_lshl_add_u64 v[10:11], v[6:7], 0, 5
	v_add3_u32 v35, v21, v35, v13
	v_add3_u32 v49, v21, v49, v13
	;; [unrolled: 9-line block ×4, first 2 shown]
	v_mul_lo_u32 v16, s11, v14
	v_mul_lo_u32 v17, s10, v15
	v_mad_u64_u32 v[14:15], s[4:5], s10, v14, 0
	v_mul_lo_u32 v19, s10, v19
	v_mul_lo_u32 v24, s11, v18
	v_add3_u32 v15, v15, v17, v16
	v_lshl_add_u64 v[16:17], v[6:7], 0, 2
	s_load_dword s3, s[0:1], 0x44
	v_lshlrev_b64 v[4:5], 1, v[4:5]
	v_add3_u32 v41, v24, v41, v19
	v_add3_u32 v55, v24, v55, v19
	v_mul_lo_u32 v18, s11, v16
	v_mul_lo_u32 v19, s10, v17
	v_mad_u64_u32 v[16:17], s[4:5], s10, v16, 0
	v_lshl_add_u64 v[62:63], s[12:13], 0, v[4:5]
	v_lshl_add_u64 v[64:65], s[14:15], 0, v[4:5]
	v_lshlrev_b64 v[4:5], 1, v[8:9]
	v_add3_u32 v17, v17, v19, v18
	v_mov_b64_e32 v[18:19], s[10:11]
	v_lshl_add_u64 v[66:67], s[12:13], 0, v[4:5]
	v_lshl_add_u64 v[68:69], s[14:15], 0, v[4:5]
	v_lshlrev_b64 v[4:5], 1, v[10:11]
	v_mul_lo_u32 v2, s11, v6
	v_mad_u64_u32 v[18:19], s[4:5], s10, v6, v[18:19]
	v_mul_lo_u32 v20, s10, v7
	v_mad_u64_u32 v[6:7], s[4:5], s10, v6, 0
	v_lshl_add_u64 v[70:71], s[12:13], 0, v[4:5]
	v_lshl_add_u64 v[72:73], s[14:15], 0, v[4:5]
	v_lshlrev_b64 v[4:5], 1, v[12:13]
	s_add_u32 s4, s0, 64
	v_lshl_add_u64 v[74:75], s[12:13], 0, v[4:5]
	v_lshl_add_u64 v[76:77], s[14:15], 0, v[4:5]
	v_lshlrev_b64 v[4:5], 1, v[14:15]
	v_add3_u32 v7, v7, v20, v2
	v_add3_u32 v19, v2, v19, v20
	s_addc_u32 s5, s1, 0
	s_waitcnt lgkmcnt(0)
	s_lshl_b32 s3, s3, 7
	v_lshl_add_u64 v[78:79], s[12:13], 0, v[4:5]
	v_lshl_add_u64 v[80:81], s[14:15], 0, v[4:5]
	v_lshlrev_b64 v[4:5], 1, v[16:17]
	v_mbcnt_lo_u32_b32 v2, -1, 0
	s_add_u32 s6, s26, 0x7f
	s_mul_i32 s17, s11, s3
	s_mul_hi_u32 s18, s10, s3
	v_lshlrev_b64 v[6:7], 1, v[6:7]
	v_lshl_add_u64 v[82:83], s[12:13], 0, v[4:5]
	v_lshl_add_u64 v[84:85], s[14:15], 0, v[4:5]
	v_lshlrev_b64 v[4:5], 1, v[18:19]
	v_mbcnt_hi_u32_b32 v2, -1, v2
	s_addc_u32 s7, 0, 0
	s_add_i32 s19, s18, s17
	s_mul_i32 s18, s10, s3
	v_lshl_add_u64 v[58:59], s[12:13], 0, v[6:7]
	v_lshl_add_u64 v[60:61], s[14:15], 0, v[6:7]
	;; [unrolled: 1-line block ×4, first 2 shown]
	s_movk_i32 s12, 0xff81
	s_movk_i32 s14, 0xff82
	;; [unrolled: 1-line block ×8, first 2 shown]
	v_lshlrev_b32_e32 v2, 2, v2
	s_mov_b32 s16, 0
	s_lshl_b64 s[28:29], s[18:19], 1
	s_mov_b32 s13, -1
	s_mov_b32 s15, -1
	;; [unrolled: 1-line block ×8, first 2 shown]
	v_and_b32_e32 v93, 0x100, v2
	v_mov_b32_e32 v94, 0
.LBB195_53:                             ; =>This Inner Loop Header: Depth=1
	v_mov_b64_e32 v[4:5], s[8:9]
	v_cmp_ge_i64_e32 vcc, s[6:7], v[4:5]
	v_lshl_add_u64 v[90:91], v[26:27], 0, s[6:7]
	s_cbranch_vccz .LBB195_75
; %bb.54:                               ;   in Loop: Header=BB195_53 Depth=1
	s_load_dword s17, s[4:5], 0xc
	v_mov_b32_e32 v95, 0
	s_waitcnt lgkmcnt(0)
	s_and_b32 s17, s17, 0xffff
	v_mad_u32_u24 v2, v92, s17, v1
	v_and_b32_e32 v2, 63, v2
	v_cmp_gt_u32_e32 vcc, 8, v2
	s_and_saveexec_b64 s[18:19], vcc
	s_cbranch_execz .LBB195_58
; %bb.55:                               ;   in Loop: Header=BB195_53 Depth=1
	v_lshl_add_u64 v[4:5], v[90:91], 0, v[2:3]
	v_lshl_add_u64 v[4:5], v[4:5], 0, s[12:13]
	v_cmp_gt_i64_e32 vcc, s[8:9], v[4:5]
	v_mov_b32_e32 v95, 0
	s_and_saveexec_b64 s[20:21], vcc
	s_cbranch_execz .LBB195_57
; %bb.56:                               ;   in Loop: Header=BB195_53 Depth=1
	v_lshl_add_u64 v[4:5], v[4:5], 2, s[24:25]
	global_load_dword v95, v[4:5], off
.LBB195_57:                             ;   in Loop: Header=BB195_53 Depth=1
	s_or_b64 exec, exec, s[20:21]
.LBB195_58:                             ;   in Loop: Header=BB195_53 Depth=1
	s_or_b64 exec, exec, s[18:19]
	s_mov_b32 s17, s16
	s_mov_b32 s18, s16
	;; [unrolled: 1-line block ×7, first 2 shown]
	v_mov_b64_e32 v[10:11], s[16:17]
	v_mov_b64_e32 v[16:17], s[22:23]
	v_lshl_add_u64 v[4:5], v[90:91], 0, s[12:13]
	v_mov_b64_e32 v[12:13], s[18:19]
	v_mov_b64_e32 v[14:15], s[20:21]
	;; [unrolled: 1-line block ×3, first 2 shown]
	v_cmp_gt_i64_e32 vcc, s[8:9], v[4:5]
	v_mov_b64_e32 v[22:23], v[14:15]
	v_mov_b64_e32 v[20:21], v[12:13]
	v_mov_b64_e32 v[18:19], v[10:11]
	s_and_saveexec_b64 s[18:19], vcc
	s_cbranch_execz .LBB195_60
; %bb.59:                               ;   in Loop: Header=BB195_53 Depth=1
	v_lshl_add_u64 v[4:5], v[58:59], 0, v[28:29]
	global_load_ushort v2, v[4:5], off
	v_lshl_add_u64 v[4:5], v[60:61], 0, v[28:29]
	global_load_ushort v10, v[4:5], off
	v_mov_b32_e32 v8, v3
	v_mov_b32_e32 v9, v3
	;; [unrolled: 1-line block ×13, first 2 shown]
	s_waitcnt vmcnt(1)
	v_lshlrev_b32_e32 v2, 16, v2
	v_mov_b64_e32 v[24:25], v[8:9]
	s_waitcnt vmcnt(0)
	v_lshlrev_b32_e32 v10, 16, v10
	v_mov_b64_e32 v[22:23], v[6:7]
	v_mov_b64_e32 v[20:21], v[4:5]
	;; [unrolled: 1-line block ×3, first 2 shown]
.LBB195_60:                             ;   in Loop: Header=BB195_53 Depth=1
	s_or_b64 exec, exec, s[18:19]
	v_lshl_add_u64 v[4:5], v[90:91], 0, s[14:15]
	v_cmp_gt_i64_e32 vcc, s[8:9], v[4:5]
	s_and_saveexec_b64 s[18:19], vcc
	s_cbranch_execz .LBB195_62
; %bb.61:                               ;   in Loop: Header=BB195_53 Depth=1
	v_lshl_add_u64 v[4:5], v[86:87], 0, v[28:29]
	global_load_ushort v2, v[4:5], off
	v_lshl_add_u64 v[4:5], v[88:89], 0, v[28:29]
	global_load_ushort v4, v[4:5], off
	s_waitcnt vmcnt(1)
	v_lshlrev_b32_e32 v19, 16, v2
	s_waitcnt vmcnt(0)
	v_lshlrev_b32_e32 v11, 16, v4
.LBB195_62:                             ;   in Loop: Header=BB195_53 Depth=1
	s_or_b64 exec, exec, s[18:19]
	v_lshl_add_u64 v[4:5], v[90:91], 0, s[30:31]
	v_cmp_gt_i64_e32 vcc, s[8:9], v[4:5]
	s_and_saveexec_b64 s[18:19], vcc
	s_cbranch_execz .LBB195_64
; %bb.63:                               ;   in Loop: Header=BB195_53 Depth=1
	v_lshl_add_u64 v[4:5], v[82:83], 0, v[28:29]
	global_load_ushort v2, v[4:5], off
	v_lshl_add_u64 v[4:5], v[84:85], 0, v[28:29]
	global_load_ushort v4, v[4:5], off
	s_waitcnt vmcnt(1)
	v_lshlrev_b32_e32 v20, 16, v2
	s_waitcnt vmcnt(0)
	v_lshlrev_b32_e32 v12, 16, v4
.LBB195_64:                             ;   in Loop: Header=BB195_53 Depth=1
	;; [unrolled: 15-line block ×7, first 2 shown]
	s_or_b64 exec, exec, s[18:19]
	s_waitcnt vmcnt(0)
	ds_bpermute_b32 v4, v93, v95
	ds_bpermute_b32 v5, v93, v95 offset:4
	v_pk_mul_f32 v[8:9], v[14:15], v[22:23]
	ds_bpermute_b32 v14, v93, v95 offset:8
	ds_bpermute_b32 v15, v93, v95 offset:12
	v_pk_mul_f32 v[10:11], v[10:11], v[18:19]
	v_pk_mul_f32 v[12:13], v[12:13], v[20:21]
	s_waitcnt lgkmcnt(2)
	v_pk_mul_f32 v[4:5], v[10:11], v[4:5]
	ds_bpermute_b32 v10, v93, v95 offset:16
	ds_bpermute_b32 v11, v93, v95 offset:20
	v_add_f32_e32 v2, v94, v4
	v_add_f32_e32 v2, v2, v5
	s_waitcnt lgkmcnt(2)
	v_pk_mul_f32 v[4:5], v[12:13], v[14:15]
	ds_bpermute_b32 v12, v93, v95 offset:24
	ds_bpermute_b32 v13, v93, v95 offset:28
	v_add_f32_e32 v2, v2, v4
	v_add_f32_e32 v2, v2, v5
	s_waitcnt lgkmcnt(2)
	v_pk_mul_f32 v[4:5], v[8:9], v[10:11]
	v_pk_mul_f32 v[6:7], v[16:17], v[24:25]
	v_add_f32_e32 v2, v2, v4
	v_add_f32_e32 v2, v2, v5
	s_waitcnt lgkmcnt(0)
	v_pk_mul_f32 v[4:5], v[6:7], v[12:13]
	s_nop 0
	v_add_f32_e32 v2, v2, v4
	v_add_f32_e32 v4, v2, v5
	s_branch .LBB195_81
.LBB195_75:                             ;   in Loop: Header=BB195_53 Depth=1
                                        ; implicit-def: $vgpr4
	s_cbranch_execz .LBB195_81
; %bb.76:                               ;   in Loop: Header=BB195_53 Depth=1
	s_load_dword s17, s[4:5], 0x0
	v_mov_b32_e32 v6, 0
	s_waitcnt lgkmcnt(0)
	s_cmp_lt_u32 s2, s17
	s_cselect_b32 s17, 12, 18
	s_add_u32 s18, s4, s17
	s_addc_u32 s19, s5, 0
	global_load_ushort v2, v3, s[18:19]
	s_waitcnt vmcnt(0)
	v_mad_u32_u24 v2, v92, v2, v1
	v_and_b32_e32 v2, 63, v2
	v_cmp_gt_u32_e32 vcc, 8, v2
	s_and_saveexec_b64 s[18:19], vcc
	s_cbranch_execz .LBB195_80
; %bb.77:                               ;   in Loop: Header=BB195_53 Depth=1
	v_lshl_add_u64 v[4:5], v[90:91], 0, v[2:3]
	v_lshl_add_u64 v[4:5], v[4:5], 0, s[12:13]
	v_cmp_gt_i64_e32 vcc, s[8:9], v[4:5]
	v_mov_b32_e32 v6, 0
	s_and_saveexec_b64 s[20:21], vcc
	s_cbranch_execz .LBB195_79
; %bb.78:                               ;   in Loop: Header=BB195_53 Depth=1
	v_lshl_add_u64 v[4:5], v[4:5], 2, s[24:25]
	global_load_dword v6, v[4:5], off
.LBB195_79:                             ;   in Loop: Header=BB195_53 Depth=1
	s_or_b64 exec, exec, s[20:21]
.LBB195_80:                             ;   in Loop: Header=BB195_53 Depth=1
	s_or_b64 exec, exec, s[18:19]
	v_lshl_add_u64 v[10:11], v[30:31], 0, v[28:29]
	v_lshl_add_u64 v[18:19], v[34:35], 0, v[28:29]
	;; [unrolled: 1-line block ×16, first 2 shown]
	global_load_ushort v2, v[10:11], off
	global_load_ushort v95, v[4:5], off
	global_load_ushort v106, v[12:13], off
	global_load_ushort v107, v[8:9], off
	s_nop 0
	global_load_ushort v18, v[18:19], off
	s_nop 0
	global_load_ushort v19, v[14:15], off
	;; [unrolled: 2-line block ×9, first 2 shown]
	global_load_ushort v91, v[98:99], off
	global_load_ushort v96, v[104:105], off
	;; [unrolled: 1-line block ×3, first 2 shown]
	s_waitcnt vmcnt(16)
	ds_bpermute_b32 v4, v93, v6
	ds_bpermute_b32 v5, v93, v6 offset:4
	ds_bpermute_b32 v8, v93, v6 offset:8
	;; [unrolled: 1-line block ×7, first 2 shown]
	s_waitcnt vmcnt(15)
	v_lshlrev_b32_e32 v7, 16, v2
	s_waitcnt vmcnt(14)
	v_lshlrev_b32_e32 v6, 16, v95
	;; [unrolled: 2-line block ×4, first 2 shown]
	v_pk_mul_f32 v[6:7], v[6:7], v[14:15]
	s_waitcnt vmcnt(11)
	v_lshlrev_b32_e32 v17, 16, v18
	s_waitcnt vmcnt(10)
	v_lshlrev_b32_e32 v16, 16, v19
	;; [unrolled: 2-line block ×4, first 2 shown]
	s_waitcnt lgkmcnt(6)
	v_pk_mul_f32 v[4:5], v[6:7], v[4:5]
	v_pk_mul_f32 v[14:15], v[16:17], v[18:19]
	v_add_f32_e32 v2, v94, v4
	s_waitcnt vmcnt(7)
	v_lshlrev_b32_e32 v21, 16, v90
	s_waitcnt vmcnt(6)
	v_lshlrev_b32_e32 v20, 16, v22
	s_waitcnt vmcnt(5)
	v_lshlrev_b32_e32 v23, 16, v23
	s_waitcnt vmcnt(4)
	v_lshlrev_b32_e32 v22, 16, v24
	s_waitcnt lgkmcnt(4)
	v_pk_mul_f32 v[6:7], v[14:15], v[8:9]
	v_add_f32_e32 v2, v2, v5
	v_pk_mul_f32 v[16:17], v[20:21], v[22:23]
	v_add_f32_e32 v2, v2, v6
	s_waitcnt vmcnt(3)
	v_lshlrev_b32_e32 v25, 16, v25
	s_waitcnt vmcnt(2)
	v_lshlrev_b32_e32 v24, 16, v91
	s_waitcnt vmcnt(1)
	v_lshlrev_b32_e32 v91, 16, v96
	s_waitcnt vmcnt(0)
	v_lshlrev_b32_e32 v90, 16, v97
	s_waitcnt lgkmcnt(2)
	v_pk_mul_f32 v[8:9], v[16:17], v[10:11]
	v_add_f32_e32 v2, v2, v7
	v_pk_mul_f32 v[18:19], v[24:25], v[90:91]
	v_add_f32_e32 v2, v2, v8
	v_add_f32_e32 v2, v2, v9
	s_waitcnt lgkmcnt(0)
	v_pk_mul_f32 v[4:5], v[18:19], v[12:13]
	s_nop 0
	v_add_f32_e32 v2, v2, v4
	v_add_f32_e32 v4, v2, v5
.LBB195_81:                             ;   in Loop: Header=BB195_53 Depth=1
	s_add_u32 s26, s26, s3
	s_addc_u32 s27, s27, 0
	v_mov_b64_e32 v[6:7], s[8:9]
	s_add_u32 s6, s6, s3
	v_cmp_ge_i64_e32 vcc, s[26:27], v[6:7]
	s_addc_u32 s7, s7, 0
	v_lshl_add_u64 v[30:31], v[30:31], 0, s[28:29]
	v_lshl_add_u64 v[32:33], v[32:33], 0, s[28:29]
	;; [unrolled: 1-line block ×30, first 2 shown]
	s_cbranch_vccnz .LBB195_83
; %bb.82:                               ;   in Loop: Header=BB195_53 Depth=1
	v_mov_b32_e32 v94, v4
	s_branch .LBB195_53
.LBB195_83:
	v_bfe_u32 v2, v0, 10, 10
	v_and_b32_e32 v5, 0x3ff, v0
	s_movk_i32 s3, 0x41
	v_mad_u32_u24 v0, v2, s3, v5
	v_lshl_add_u32 v0, v0, 2, 0
	v_mov_b32_e32 v1, 0
	ds_write_b32 v0, v4
	ds_write_b32 v0, v1 offset:4160
	v_lshrrev_b32_e32 v0, 6, v5
	v_add_u32_e32 v3, v0, v2
	s_mov_b32 s3, 0
	v_cmp_gt_u32_e32 vcc, 64, v3
	s_waitcnt lgkmcnt(0)
	s_barrier
	s_and_saveexec_b64 s[4:5], vcc
	s_cbranch_execz .LBB195_90
; %bb.84:
	v_mbcnt_lo_u32_b32 v6, -1, 0
	v_mbcnt_hi_u32_b32 v7, -1, v6
	v_and_b32_e32 v4, 63, v5
	v_and_b32_e32 v6, 64, v7
	v_cmp_gt_u32_e32 vcc, 16, v4
	v_add_u32_e32 v8, 64, v6
	v_mul_u32_u24_e32 v9, 0x104, v4
	v_xor_b32_e32 v4, 8, v7
	s_load_dwordx2 s[12:13], s[0:1], 0x30
	s_lshl_b64 s[4:5], s[2:3], 6
	v_cmp_ne_u32_e64 s[0:1], 0, v5
	v_cmp_lt_i32_e64 s[2:3], v4, v8
	v_xor_b32_e32 v5, 4, v7
	v_xor_b32_e32 v6, 2, v7
	v_cndmask_b32_e64 v4, v7, v4, s[2:3]
	v_cmp_lt_i32_e64 s[2:3], v5, v8
	v_xor_b32_e32 v10, 1, v7
	v_lshlrev_b32_e32 v3, 2, v3
	v_cndmask_b32_e64 v5, v7, v5, s[2:3]
	v_cmp_lt_i32_e64 s[2:3], v6, v8
	s_waitcnt lgkmcnt(0)
	s_cmp_eq_u64 s[12:13], 0
	s_mov_b64 s[6:7], 0
	v_cndmask_b32_e64 v6, v7, v6, s[2:3]
	v_cmp_lt_i32_e64 s[2:3], v10, v8
	v_add3_u32 v8, v9, v3, 0
	v_mov_b32_e32 v3, v1
	v_lshl_add_u64 v[0:1], v[0:1], 0, v[2:3]
	v_cndmask_b32_e64 v7, v7, v10, s[2:3]
	v_lshl_add_u64 v[2:3], v[0:1], 0, s[4:5]
	s_cselect_b64 s[8:9], -1, 0
	v_lshlrev_b32_e32 v4, 2, v4
	v_lshlrev_b32_e32 v5, 2, v5
	;; [unrolled: 1-line block ×4, first 2 shown]
	v_lshl_add_u64 v[2:3], v[2:3], 1, s[12:13]
	s_movk_i32 s14, 0x7fff
	v_mov_b32_e32 v9, 0x7fc0
                                        ; implicit-def: $vgpr10
	s_branch .LBB195_86
.LBB195_85:                             ;   in Loop: Header=BB195_86 Depth=1
	s_or_b64 exec, exec, s[12:13]
	v_lshl_add_u64 v[0:1], v[0:1], 0, 16
	v_add_u32_e32 v11, -16, v0
	v_cmp_lt_u32_e64 s[2:3], 47, v11
	v_add_u32_e32 v8, 64, v8
	s_or_b64 s[6:7], s[2:3], s[6:7]
	v_lshl_add_u64 v[2:3], v[2:3], 0, 32
	s_andn2_b64 exec, exec, s[6:7]
	s_cbranch_execz .LBB195_90
.LBB195_86:                             ; =>This Inner Loop Header: Depth=1
	s_and_saveexec_b64 s[2:3], vcc
	s_cbranch_execz .LBB195_88
; %bb.87:                               ;   in Loop: Header=BB195_86 Depth=1
	ds_read_b32 v10, v8
.LBB195_88:                             ;   in Loop: Header=BB195_86 Depth=1
	s_or_b64 exec, exec, s[2:3]
	s_waitcnt lgkmcnt(0)
	ds_bpermute_b32 v11, v4, v10
	s_waitcnt lgkmcnt(0)
	v_add_f32_e32 v10, v10, v11
	ds_bpermute_b32 v11, v5, v10
	s_waitcnt lgkmcnt(0)
	v_add_f32_e32 v10, v10, v11
	;; [unrolled: 3-line block ×3, first 2 shown]
	ds_bpermute_b32 v13, v7, v12
	v_lshl_add_u64 v[10:11], s[4:5], 0, v[0:1]
	v_cmp_le_i64_e64 s[2:3], s[10:11], v[10:11]
	s_or_b64 s[2:3], s[0:1], s[2:3]
	s_or_b64 s[2:3], s[8:9], s[2:3]
	s_waitcnt lgkmcnt(0)
	v_add_f32_e32 v10, v12, v13
	s_xor_b64 s[2:3], s[2:3], -1
	s_and_saveexec_b64 s[12:13], s[2:3]
	s_cbranch_execz .LBB195_85
; %bb.89:                               ;   in Loop: Header=BB195_86 Depth=1
	v_bfe_u32 v11, v10, 16, 1
	v_add3_u32 v11, v10, v11, s14
	v_lshrrev_b32_e32 v11, 16, v11
	v_cmp_o_f32_e64 s[2:3], v10, v10
	s_nop 1
	v_cndmask_b32_e64 v11, v9, v11, s[2:3]
	global_store_short v[2:3], v11, off
	s_branch .LBB195_85
.LBB195_90:
	s_endpgm
	.section	.rodata,"a",@progbits
	.p2align	6, 0x0
	.amdhsa_kernel _ZN2at6native12_GLOBAL__N_135GammaBetaBackwardCUDAKernelTemplateIN3c108BFloat16EfLj64ELj16ELj128ELb0ELb0ELb1EEEvllPKT_S7_PKT0_SA_PS5_SB_
		.amdhsa_group_segment_fixed_size 0
		.amdhsa_private_segment_fixed_size 0
		.amdhsa_kernarg_size 320
		.amdhsa_user_sgpr_count 2
		.amdhsa_user_sgpr_dispatch_ptr 0
		.amdhsa_user_sgpr_queue_ptr 0
		.amdhsa_user_sgpr_kernarg_segment_ptr 1
		.amdhsa_user_sgpr_dispatch_id 0
		.amdhsa_user_sgpr_kernarg_preload_length 0
		.amdhsa_user_sgpr_kernarg_preload_offset 0
		.amdhsa_user_sgpr_private_segment_size 0
		.amdhsa_uses_dynamic_stack 0
		.amdhsa_enable_private_segment 0
		.amdhsa_system_sgpr_workgroup_id_x 1
		.amdhsa_system_sgpr_workgroup_id_y 1
		.amdhsa_system_sgpr_workgroup_id_z 0
		.amdhsa_system_sgpr_workgroup_info 0
		.amdhsa_system_vgpr_workitem_id 1
		.amdhsa_next_free_vgpr 108
		.amdhsa_next_free_sgpr 56
		.amdhsa_accum_offset 108
		.amdhsa_reserve_vcc 1
		.amdhsa_float_round_mode_32 0
		.amdhsa_float_round_mode_16_64 0
		.amdhsa_float_denorm_mode_32 3
		.amdhsa_float_denorm_mode_16_64 3
		.amdhsa_dx10_clamp 1
		.amdhsa_ieee_mode 1
		.amdhsa_fp16_overflow 0
		.amdhsa_tg_split 0
		.amdhsa_exception_fp_ieee_invalid_op 0
		.amdhsa_exception_fp_denorm_src 0
		.amdhsa_exception_fp_ieee_div_zero 0
		.amdhsa_exception_fp_ieee_overflow 0
		.amdhsa_exception_fp_ieee_underflow 0
		.amdhsa_exception_fp_ieee_inexact 0
		.amdhsa_exception_int_div_zero 0
	.end_amdhsa_kernel
	.section	.text._ZN2at6native12_GLOBAL__N_135GammaBetaBackwardCUDAKernelTemplateIN3c108BFloat16EfLj64ELj16ELj128ELb0ELb0ELb1EEEvllPKT_S7_PKT0_SA_PS5_SB_,"axG",@progbits,_ZN2at6native12_GLOBAL__N_135GammaBetaBackwardCUDAKernelTemplateIN3c108BFloat16EfLj64ELj16ELj128ELb0ELb0ELb1EEEvllPKT_S7_PKT0_SA_PS5_SB_,comdat
.Lfunc_end195:
	.size	_ZN2at6native12_GLOBAL__N_135GammaBetaBackwardCUDAKernelTemplateIN3c108BFloat16EfLj64ELj16ELj128ELb0ELb0ELb1EEEvllPKT_S7_PKT0_SA_PS5_SB_, .Lfunc_end195-_ZN2at6native12_GLOBAL__N_135GammaBetaBackwardCUDAKernelTemplateIN3c108BFloat16EfLj64ELj16ELj128ELb0ELb0ELb1EEEvllPKT_S7_PKT0_SA_PS5_SB_
                                        ; -- End function
	.section	.AMDGPU.csdata,"",@progbits
; Kernel info:
; codeLenInByte = 6744
; NumSgprs: 62
; NumVgprs: 108
; NumAgprs: 0
; TotalNumVgprs: 108
; ScratchSize: 0
; MemoryBound: 0
; FloatMode: 240
; IeeeMode: 1
; LDSByteSize: 0 bytes/workgroup (compile time only)
; SGPRBlocks: 7
; VGPRBlocks: 13
; NumSGPRsForWavesPerEU: 62
; NumVGPRsForWavesPerEU: 108
; AccumOffset: 108
; Occupancy: 4
; WaveLimiterHint : 0
; COMPUTE_PGM_RSRC2:SCRATCH_EN: 0
; COMPUTE_PGM_RSRC2:USER_SGPR: 2
; COMPUTE_PGM_RSRC2:TRAP_HANDLER: 0
; COMPUTE_PGM_RSRC2:TGID_X_EN: 1
; COMPUTE_PGM_RSRC2:TGID_Y_EN: 1
; COMPUTE_PGM_RSRC2:TGID_Z_EN: 0
; COMPUTE_PGM_RSRC2:TIDIG_COMP_CNT: 1
; COMPUTE_PGM_RSRC3_GFX90A:ACCUM_OFFSET: 26
; COMPUTE_PGM_RSRC3_GFX90A:TG_SPLIT: 0
	.section	.text._ZN2at6native12_GLOBAL__N_135GammaBetaBackwardCUDAKernelTemplateIN3c108BFloat16EfLj64ELj16ELj256ELb0ELb1ELb1EEEvllPKT_S7_PKT0_SA_PS5_SB_,"axG",@progbits,_ZN2at6native12_GLOBAL__N_135GammaBetaBackwardCUDAKernelTemplateIN3c108BFloat16EfLj64ELj16ELj256ELb0ELb1ELb1EEEvllPKT_S7_PKT0_SA_PS5_SB_,comdat
	.globl	_ZN2at6native12_GLOBAL__N_135GammaBetaBackwardCUDAKernelTemplateIN3c108BFloat16EfLj64ELj16ELj256ELb0ELb1ELb1EEEvllPKT_S7_PKT0_SA_PS5_SB_ ; -- Begin function _ZN2at6native12_GLOBAL__N_135GammaBetaBackwardCUDAKernelTemplateIN3c108BFloat16EfLj64ELj16ELj256ELb0ELb1ELb1EEEvllPKT_S7_PKT0_SA_PS5_SB_
	.p2align	8
	.type	_ZN2at6native12_GLOBAL__N_135GammaBetaBackwardCUDAKernelTemplateIN3c108BFloat16EfLj64ELj16ELj256ELb0ELb1ELb1EEEvllPKT_S7_PKT0_SA_PS5_SB_,@function
_ZN2at6native12_GLOBAL__N_135GammaBetaBackwardCUDAKernelTemplateIN3c108BFloat16EfLj64ELj16ELj256ELb0ELb1ELb1EEEvllPKT_S7_PKT0_SA_PS5_SB_: ; @_ZN2at6native12_GLOBAL__N_135GammaBetaBackwardCUDAKernelTemplateIN3c108BFloat16EfLj64ELj16ELj256ELb0ELb1ELb1EEEvllPKT_S7_PKT0_SA_PS5_SB_
; %bb.0:
	s_load_dwordx4 s[4:7], s[0:1], 0x0
	s_lshl_b32 s14, s3, 8
	s_mov_b32 s15, 0
	v_bfe_u32 v12, v0, 10, 10
	s_waitcnt lgkmcnt(0)
	v_mov_b64_e32 v[2:3], s[4:5]
	v_cmp_lt_i64_e32 vcc, s[14:15], v[2:3]
	s_cbranch_vccnz .LBB196_2
; %bb.1:
	s_mov_b64 s[8:9], 0
	v_bfe_u32 v2, v0, 10, 10
	s_branch .LBB196_3
.LBB196_2:
	s_mov_b64 s[8:9], -1
                                        ; implicit-def: $vgpr2
.LBB196_3:
	s_load_dwordx2 s[12:13], s[0:1], 0x30
	v_and_b32_e32 v10, 0x3ff, v0
	s_andn2_b64 vcc, exec, s[8:9]
	v_mov_b32_e32 v1, s15
	v_mbcnt_lo_u32_b32 v11, -1, 0
	s_cbranch_vccnz .LBB196_11
; %bb.4:
	s_load_dword s3, s[0:1], 0x4c
	s_load_dword s16, s[0:1], 0x44
	s_load_dwordx2 s[18:19], s[0:1], 0x28
	s_load_dwordx4 s[8:11], s[0:1], 0x10
	v_lshlrev_b32_e32 v0, 4, v12
	s_waitcnt lgkmcnt(0)
	s_and_b32 s0, s3, 0xffff
	v_mad_u32_u24 v1, v12, s0, v10
	v_and_b32_e32 v2, 63, v1
	v_mov_b32_e32 v1, 0
	v_mov_b32_e32 v3, v1
	v_lshl_add_u64 v[8:9], v[0:1], 0, s[14:15]
	v_cmp_gt_u32_e64 s[0:1], 16, v2
	v_mbcnt_hi_u32_b32 v4, -1, v11
	s_lshl_b32 s16, s16, 8
	v_lshl_add_u64 v[2:3], v[8:9], 0, v[2:3]
	v_mul_lo_u32 v0, s7, v8
	v_mul_lo_u32 v29, s6, v9
	v_mad_u64_u32 v[8:9], s[20:21], s6, v8, 0
	v_lshl_add_u32 v6, s2, 6, v10
	v_mov_b32_e32 v7, v1
	v_lshlrev_b32_e32 v4, 2, v4
	s_mul_i32 s3, s7, s16
	s_mul_hi_u32 s20, s6, s16
	s_mov_b32 s17, 0
	v_and_b32_e32 v13, 0x100, v4
	v_add3_u32 v9, v9, v29, v0
	v_lshlrev_b64 v[6:7], 1, v[6:7]
	s_add_i32 s21, s20, s3
	s_mul_i32 s20, s6, s16
	v_or_b32_e32 v14, 4, v13
	v_or_b32_e32 v15, 8, v13
	;; [unrolled: 1-line block ×15, first 2 shown]
	v_lshl_add_u64 v[4:5], v[2:3], 2, s[18:19]
	s_lshl_b64 s[18:19], s[16:17], 2
	v_lshl_add_u64 v[6:7], v[8:9], 1, v[6:7]
	s_lshl_b64 s[20:21], s[20:21], 1
	s_lshl_b64 s[6:7], s[6:7], 1
	v_mov_b64_e32 v[8:9], s[4:5]
	s_branch .LBB196_7
.LBB196_5:                              ;   in Loop: Header=BB196_7 Depth=1
	s_or_b64 exec, exec, s[24:25]
.LBB196_6:                              ;   in Loop: Header=BB196_7 Depth=1
	s_or_b64 exec, exec, s[22:23]
	v_lshl_add_u64 v[30:31], s[8:9], 0, v[6:7]
	v_lshl_add_u64 v[32:33], s[10:11], 0, v[6:7]
	global_load_ushort v29, v[30:31], off
	global_load_ushort v38, v[32:33], off
	v_lshl_add_u64 v[30:31], v[30:31], 0, s[6:7]
	v_lshl_add_u64 v[32:33], v[32:33], 0, s[6:7]
	global_load_ushort v39, v[30:31], off
	global_load_ushort v40, v[32:33], off
	;; [unrolled: 4-line block ×4, first 2 shown]
	v_lshl_add_u64 v[30:31], v[30:31], 0, s[6:7]
	v_lshl_add_u64 v[32:33], v[32:33], 0, s[6:7]
	;; [unrolled: 1-line block ×3, first 2 shown]
	global_load_ushort v45, v[30:31], off
	v_lshl_add_u64 v[30:31], v[32:33], 0, s[6:7]
	global_load_ushort v46, v[34:35], off
	global_load_ushort v47, v[32:33], off
	global_load_ushort v48, v[30:31], off
	v_lshl_add_u64 v[32:33], v[34:35], 0, s[6:7]
	v_lshl_add_u64 v[30:31], v[30:31], 0, s[6:7]
	v_lshl_add_u64 v[34:35], v[32:33], 0, s[6:7]
	v_lshl_add_u64 v[36:37], v[30:31], 0, s[6:7]
	global_load_ushort v49, v[32:33], off
	global_load_ushort v50, v[34:35], off
	global_load_ushort v51, v[30:31], off
	global_load_ushort v52, v[36:37], off
	v_lshl_add_u64 v[30:31], v[34:35], 0, s[6:7]
	v_lshl_add_u64 v[32:33], v[36:37], 0, s[6:7]
	v_lshl_add_u64 v[34:35], v[30:31], 0, s[6:7]
	v_lshl_add_u64 v[36:37], v[32:33], 0, s[6:7]
	global_load_ushort v53, v[30:31], off
	;; [unrolled: 8-line block ×4, first 2 shown]
	global_load_ushort v62, v[34:35], off
	global_load_ushort v63, v[32:33], off
                                        ; kill: killed $vgpr30_vgpr31
                                        ; kill: killed $vgpr32_vgpr33
	global_load_ushort v64, v[36:37], off
	v_lshl_add_u64 v[30:31], v[34:35], 0, s[6:7]
	v_lshl_add_u64 v[32:33], v[36:37], 0, s[6:7]
	global_load_ushort v36, v[30:31], off
	v_lshl_add_u64 v[30:31], v[30:31], 0, s[6:7]
	global_load_ushort v37, v[30:31], off
	global_load_ushort v65, v[32:33], off
	v_lshl_add_u64 v[30:31], v[32:33], 0, s[6:7]
	global_load_ushort v66, v[30:31], off
	s_waitcnt vmcnt(32)
	ds_bpermute_b32 v30, v13, v0
	ds_bpermute_b32 v33, v16, v0
	s_add_u32 s14, s14, s16
	s_addc_u32 s15, s15, 0
	v_cmp_lt_i64_e32 vcc, s[14:15], v[8:9]
	v_lshl_add_u64 v[4:5], v[4:5], 0, s[18:19]
	v_lshl_add_u64 v[2:3], v[2:3], 0, s[16:17]
	;; [unrolled: 1-line block ×3, first 2 shown]
	s_and_b64 vcc, exec, vcc
	s_waitcnt vmcnt(31)
	v_lshlrev_b32_e32 v29, 16, v29
	s_waitcnt vmcnt(30)
	v_lshlrev_b32_e32 v31, 16, v38
	v_mul_f32_e32 v29, v29, v31
	ds_bpermute_b32 v31, v14, v0
	s_waitcnt lgkmcnt(2)
	v_fmac_f32_e32 v1, v29, v30
	ds_bpermute_b32 v29, v15, v0
	s_waitcnt vmcnt(29)
	v_lshlrev_b32_e32 v30, 16, v39
	s_waitcnt vmcnt(28)
	v_lshlrev_b32_e32 v32, 16, v40
	v_mul_f32_e32 v30, v30, v32
	s_waitcnt lgkmcnt(1)
	v_fmac_f32_e32 v1, v30, v31
	ds_bpermute_b32 v30, v17, v0
	ds_bpermute_b32 v31, v18, v0
	s_waitcnt vmcnt(27)
	v_lshlrev_b32_e32 v32, 16, v41
	s_waitcnt vmcnt(26)
	v_lshlrev_b32_e32 v34, 16, v42
	;; [unrolled: 2-line block ×4, first 2 shown]
	v_mul_f32_e32 v32, v32, v34
	s_waitcnt lgkmcnt(2)
	v_fmac_f32_e32 v1, v32, v29
	v_mul_f32_e32 v29, v35, v38
	s_waitcnt vmcnt(23)
	v_lshlrev_b32_e32 v32, 16, v45
	v_fmac_f32_e32 v1, v29, v33
	s_waitcnt vmcnt(22)
	v_lshlrev_b32_e32 v33, 16, v46
	s_waitcnt vmcnt(21)
	v_lshlrev_b32_e32 v34, 16, v47
	;; [unrolled: 2-line block ×3, first 2 shown]
	v_pk_mul_f32 v[32:33], v[32:33], v[34:35]
	s_waitcnt vmcnt(17)
	v_lshlrev_b32_e32 v34, 16, v51
	s_waitcnt lgkmcnt(0)
	v_pk_mul_f32 v[30:31], v[32:33], v[30:31]
	v_lshlrev_b32_e32 v32, 16, v49
	v_add_f32_e32 v1, v1, v30
	v_add_f32_e32 v1, v1, v31
	ds_bpermute_b32 v30, v19, v0
	ds_bpermute_b32 v31, v20, v0
	v_lshlrev_b32_e32 v33, 16, v50
	s_waitcnt vmcnt(16)
	v_lshlrev_b32_e32 v35, 16, v52
	v_pk_mul_f32 v[32:33], v[32:33], v[34:35]
	s_waitcnt vmcnt(13)
	v_lshlrev_b32_e32 v34, 16, v55
	s_waitcnt lgkmcnt(0)
	v_pk_mul_f32 v[30:31], v[32:33], v[30:31]
	v_lshlrev_b32_e32 v32, 16, v53
	v_add_f32_e32 v1, v1, v30
	v_add_f32_e32 v1, v1, v31
	ds_bpermute_b32 v30, v21, v0
	ds_bpermute_b32 v31, v22, v0
	v_lshlrev_b32_e32 v33, 16, v54
	s_waitcnt vmcnt(12)
	v_lshlrev_b32_e32 v35, 16, v56
	;; [unrolled: 13-line block ×4, first 2 shown]
	v_pk_mul_f32 v[32:33], v[32:33], v[34:35]
	s_waitcnt lgkmcnt(0)
	v_pk_mul_f32 v[30:31], v[32:33], v[30:31]
	s_waitcnt vmcnt(1)
	v_lshlrev_b32_e32 v32, 16, v65
	v_add_f32_e32 v1, v1, v30
	v_add_f32_e32 v29, v1, v31
	ds_bpermute_b32 v30, v27, v0
	ds_bpermute_b32 v31, v28, v0
	v_lshlrev_b32_e32 v0, 16, v36
	v_lshlrev_b32_e32 v1, 16, v37
	s_waitcnt vmcnt(0)
	v_lshlrev_b32_e32 v33, 16, v66
	v_pk_mul_f32 v[0:1], v[0:1], v[32:33]
	s_waitcnt lgkmcnt(0)
	v_pk_mul_f32 v[0:1], v[0:1], v[30:31]
	s_nop 0
	v_add_f32_e32 v0, v29, v0
	v_add_f32_e32 v1, v0, v1
	s_cbranch_vccz .LBB196_10
.LBB196_7:                              ; =>This Inner Loop Header: Depth=1
	v_mov_b32_e32 v0, 0
	s_and_saveexec_b64 s[22:23], s[0:1]
	s_cbranch_execz .LBB196_6
; %bb.8:                                ;   in Loop: Header=BB196_7 Depth=1
	v_cmp_gt_i64_e32 vcc, s[4:5], v[2:3]
	v_mov_b32_e32 v0, 0
	s_and_saveexec_b64 s[24:25], vcc
	s_cbranch_execz .LBB196_5
; %bb.9:                                ;   in Loop: Header=BB196_7 Depth=1
	global_load_dword v0, v[4:5], off
	s_branch .LBB196_5
.LBB196_10:
	v_mov_b32_e32 v2, v12
.LBB196_11:
	s_movk_i32 s0, 0x41
	v_mad_u32_u24 v0, v2, s0, v10
	v_lshl_add_u32 v0, v0, 2, 0
	ds_write_b32 v0, v1
	v_mov_b32_e32 v1, 0
	ds_write_b32 v0, v1 offset:4160
	v_lshrrev_b32_e32 v0, 6, v10
	v_add_u32_e32 v3, v0, v2
	s_mov_b32 s3, 0
	v_cmp_gt_u32_e32 vcc, 64, v3
	s_waitcnt lgkmcnt(0)
	s_barrier
	s_and_saveexec_b64 s[0:1], vcc
	s_cbranch_execz .LBB196_18
; %bb.12:
	v_mbcnt_hi_u32_b32 v7, -1, v11
	v_and_b32_e32 v4, 63, v10
	v_and_b32_e32 v5, 64, v7
	s_cmp_lg_u64 s[12:13], 0
	v_cmp_gt_u32_e32 vcc, 16, v4
	v_add_u32_e32 v8, 64, v5
	v_cmp_eq_u32_e64 s[0:1], 0, v10
	s_cselect_b64 s[6:7], -1, 0
	v_mul_u32_u24_e32 v9, 0x104, v4
	v_xor_b32_e32 v4, 8, v7
	s_and_b64 s[6:7], s[0:1], s[6:7]
	v_cmp_lt_i32_e64 s[0:1], v4, v8
	v_xor_b32_e32 v5, 4, v7
	v_xor_b32_e32 v6, 2, v7
	v_cndmask_b32_e64 v4, v7, v4, s[0:1]
	v_cmp_lt_i32_e64 s[0:1], v5, v8
	v_xor_b32_e32 v10, 1, v7
	s_mov_b64 s[4:5], 0
	v_cndmask_b32_e64 v5, v7, v5, s[0:1]
	v_cmp_lt_i32_e64 s[0:1], v6, v8
	v_lshlrev_b32_e32 v4, 2, v4
	v_lshlrev_b32_e32 v5, 2, v5
	v_cndmask_b32_e64 v6, v7, v6, s[0:1]
	v_cmp_lt_i32_e64 s[0:1], v10, v8
	v_lshlrev_b32_e32 v8, 2, v3
	v_add3_u32 v8, v9, v8, 0
	v_cndmask_b32_e64 v7, v7, v10, s[0:1]
	s_lshl_b64 s[0:1], s[2:3], 7
	v_add_u32_e32 v9, -16, v3
	v_mov_b32_e32 v3, v1
	s_add_u32 s0, s12, s0
	v_lshl_add_u64 v[0:1], v[0:1], 0, v[2:3]
	s_addc_u32 s1, s13, s1
	v_lshlrev_b32_e32 v6, 2, v6
	v_lshlrev_b32_e32 v7, 2, v7
	v_lshl_add_u64 v[0:1], v[0:1], 1, s[0:1]
	s_movk_i32 s8, 0x7fff
	v_mov_b32_e32 v2, 0x7fc0
                                        ; implicit-def: $vgpr3
	s_branch .LBB196_14
.LBB196_13:                             ;   in Loop: Header=BB196_14 Depth=1
	s_or_b64 exec, exec, s[2:3]
	v_add_u32_e32 v9, 16, v9
	v_cmp_lt_u32_e64 s[0:1], 47, v9
	v_add_u32_e32 v8, 64, v8
	s_or_b64 s[4:5], s[0:1], s[4:5]
	v_lshl_add_u64 v[0:1], v[0:1], 0, 32
	s_andn2_b64 exec, exec, s[4:5]
	s_cbranch_execz .LBB196_18
.LBB196_14:                             ; =>This Inner Loop Header: Depth=1
	s_and_saveexec_b64 s[0:1], vcc
	s_cbranch_execz .LBB196_16
; %bb.15:                               ;   in Loop: Header=BB196_14 Depth=1
	ds_read_b32 v3, v8
.LBB196_16:                             ;   in Loop: Header=BB196_14 Depth=1
	s_or_b64 exec, exec, s[0:1]
	s_waitcnt lgkmcnt(0)
	ds_bpermute_b32 v10, v4, v3
	s_waitcnt lgkmcnt(0)
	v_add_f32_e32 v3, v3, v10
	ds_bpermute_b32 v10, v5, v3
	s_waitcnt lgkmcnt(0)
	v_add_f32_e32 v3, v3, v10
	;; [unrolled: 3-line block ×4, first 2 shown]
	s_and_saveexec_b64 s[2:3], s[6:7]
	s_cbranch_execz .LBB196_13
; %bb.17:                               ;   in Loop: Header=BB196_14 Depth=1
	v_bfe_u32 v10, v3, 16, 1
	v_add3_u32 v10, v3, v10, s8
	v_lshrrev_b32_e32 v10, 16, v10
	v_cmp_o_f32_e64 s[0:1], v3, v3
	s_nop 1
	v_cndmask_b32_e64 v10, v2, v10, s[0:1]
	global_store_short v[0:1], v10, off
	s_branch .LBB196_13
.LBB196_18:
	s_endpgm
	.section	.rodata,"a",@progbits
	.p2align	6, 0x0
	.amdhsa_kernel _ZN2at6native12_GLOBAL__N_135GammaBetaBackwardCUDAKernelTemplateIN3c108BFloat16EfLj64ELj16ELj256ELb0ELb1ELb1EEEvllPKT_S7_PKT0_SA_PS5_SB_
		.amdhsa_group_segment_fixed_size 0
		.amdhsa_private_segment_fixed_size 0
		.amdhsa_kernarg_size 320
		.amdhsa_user_sgpr_count 2
		.amdhsa_user_sgpr_dispatch_ptr 0
		.amdhsa_user_sgpr_queue_ptr 0
		.amdhsa_user_sgpr_kernarg_segment_ptr 1
		.amdhsa_user_sgpr_dispatch_id 0
		.amdhsa_user_sgpr_kernarg_preload_length 0
		.amdhsa_user_sgpr_kernarg_preload_offset 0
		.amdhsa_user_sgpr_private_segment_size 0
		.amdhsa_uses_dynamic_stack 0
		.amdhsa_enable_private_segment 0
		.amdhsa_system_sgpr_workgroup_id_x 1
		.amdhsa_system_sgpr_workgroup_id_y 1
		.amdhsa_system_sgpr_workgroup_id_z 0
		.amdhsa_system_sgpr_workgroup_info 0
		.amdhsa_system_vgpr_workitem_id 1
		.amdhsa_next_free_vgpr 67
		.amdhsa_next_free_sgpr 26
		.amdhsa_accum_offset 68
		.amdhsa_reserve_vcc 1
		.amdhsa_float_round_mode_32 0
		.amdhsa_float_round_mode_16_64 0
		.amdhsa_float_denorm_mode_32 3
		.amdhsa_float_denorm_mode_16_64 3
		.amdhsa_dx10_clamp 1
		.amdhsa_ieee_mode 1
		.amdhsa_fp16_overflow 0
		.amdhsa_tg_split 0
		.amdhsa_exception_fp_ieee_invalid_op 0
		.amdhsa_exception_fp_denorm_src 0
		.amdhsa_exception_fp_ieee_div_zero 0
		.amdhsa_exception_fp_ieee_overflow 0
		.amdhsa_exception_fp_ieee_underflow 0
		.amdhsa_exception_fp_ieee_inexact 0
		.amdhsa_exception_int_div_zero 0
	.end_amdhsa_kernel
	.section	.text._ZN2at6native12_GLOBAL__N_135GammaBetaBackwardCUDAKernelTemplateIN3c108BFloat16EfLj64ELj16ELj256ELb0ELb1ELb1EEEvllPKT_S7_PKT0_SA_PS5_SB_,"axG",@progbits,_ZN2at6native12_GLOBAL__N_135GammaBetaBackwardCUDAKernelTemplateIN3c108BFloat16EfLj64ELj16ELj256ELb0ELb1ELb1EEEvllPKT_S7_PKT0_SA_PS5_SB_,comdat
.Lfunc_end196:
	.size	_ZN2at6native12_GLOBAL__N_135GammaBetaBackwardCUDAKernelTemplateIN3c108BFloat16EfLj64ELj16ELj256ELb0ELb1ELb1EEEvllPKT_S7_PKT0_SA_PS5_SB_, .Lfunc_end196-_ZN2at6native12_GLOBAL__N_135GammaBetaBackwardCUDAKernelTemplateIN3c108BFloat16EfLj64ELj16ELj256ELb0ELb1ELb1EEEvllPKT_S7_PKT0_SA_PS5_SB_
                                        ; -- End function
	.section	.AMDGPU.csdata,"",@progbits
; Kernel info:
; codeLenInByte = 2032
; NumSgprs: 32
; NumVgprs: 67
; NumAgprs: 0
; TotalNumVgprs: 67
; ScratchSize: 0
; MemoryBound: 0
; FloatMode: 240
; IeeeMode: 1
; LDSByteSize: 0 bytes/workgroup (compile time only)
; SGPRBlocks: 3
; VGPRBlocks: 8
; NumSGPRsForWavesPerEU: 32
; NumVGPRsForWavesPerEU: 67
; AccumOffset: 68
; Occupancy: 7
; WaveLimiterHint : 0
; COMPUTE_PGM_RSRC2:SCRATCH_EN: 0
; COMPUTE_PGM_RSRC2:USER_SGPR: 2
; COMPUTE_PGM_RSRC2:TRAP_HANDLER: 0
; COMPUTE_PGM_RSRC2:TGID_X_EN: 1
; COMPUTE_PGM_RSRC2:TGID_Y_EN: 1
; COMPUTE_PGM_RSRC2:TGID_Z_EN: 0
; COMPUTE_PGM_RSRC2:TIDIG_COMP_CNT: 1
; COMPUTE_PGM_RSRC3_GFX90A:ACCUM_OFFSET: 16
; COMPUTE_PGM_RSRC3_GFX90A:TG_SPLIT: 0
	.section	.text._ZN2at6native12_GLOBAL__N_135GammaBetaBackwardCUDAKernelTemplateIN3c108BFloat16EfLj64ELj16ELj256ELb0ELb0ELb1EEEvllPKT_S7_PKT0_SA_PS5_SB_,"axG",@progbits,_ZN2at6native12_GLOBAL__N_135GammaBetaBackwardCUDAKernelTemplateIN3c108BFloat16EfLj64ELj16ELj256ELb0ELb0ELb1EEEvllPKT_S7_PKT0_SA_PS5_SB_,comdat
	.globl	_ZN2at6native12_GLOBAL__N_135GammaBetaBackwardCUDAKernelTemplateIN3c108BFloat16EfLj64ELj16ELj256ELb0ELb0ELb1EEEvllPKT_S7_PKT0_SA_PS5_SB_ ; -- Begin function _ZN2at6native12_GLOBAL__N_135GammaBetaBackwardCUDAKernelTemplateIN3c108BFloat16EfLj64ELj16ELj256ELb0ELb0ELb1EEEvllPKT_S7_PKT0_SA_PS5_SB_
	.p2align	8
	.type	_ZN2at6native12_GLOBAL__N_135GammaBetaBackwardCUDAKernelTemplateIN3c108BFloat16EfLj64ELj16ELj256ELb0ELb0ELb1EEEvllPKT_S7_PKT0_SA_PS5_SB_,@function
_ZN2at6native12_GLOBAL__N_135GammaBetaBackwardCUDAKernelTemplateIN3c108BFloat16EfLj64ELj16ELj256ELb0ELb0ELb1EEEvllPKT_S7_PKT0_SA_PS5_SB_: ; @_ZN2at6native12_GLOBAL__N_135GammaBetaBackwardCUDAKernelTemplateIN3c108BFloat16EfLj64ELj16ELj256ELb0ELb0ELb1EEEvllPKT_S7_PKT0_SA_PS5_SB_
; %bb.0:
	s_load_dwordx8 s[24:31], s[0:1], 0x0
	s_load_dwordx2 s[34:35], s[0:1], 0x28
	s_lshl_b32 s33, s2, 6
	v_mov_b32_e32 v103, v0
	s_or_b32 s36, s33, 63
	s_mov_b32 s37, 0
	s_waitcnt lgkmcnt(0)
	v_mov_b64_e32 v[0:1], s[26:27]
	v_cmp_ge_i64_e32 vcc, s[36:37], v[0:1]
	s_lshl_b32 s36, s3, 8
	v_mov_b64_e32 v[0:1], s[24:25]
	v_cmp_lt_i64_e64 s[4:5], s[36:37], v[0:1]
	s_nop 1
	v_cndmask_b32_e64 v0, 0, 1, s[4:5]
	v_cmp_ne_u32_e64 s[4:5], 1, v0
	s_cbranch_vccz .LBB197_81
; %bb.1:
	s_and_b64 vcc, exec, s[4:5]
	v_mov_b32_e32 v2, 0
	s_cbranch_vccnz .LBB197_83
; %bb.2:
	v_mov_b32_e32 v3, 0
	v_bfe_u32 v119, v103, 10, 10
	s_load_dword s3, s[0:1], 0x44
	v_lshlrev_b32_e32 v50, 4, v119
	v_mov_b32_e32 v51, v3
	v_and_b32_e32 v118, 0x3ff, v103
	v_lshl_add_u64 v[0:1], v[50:51], 0, s[36:37]
	v_add_u32_e32 v2, s33, v118
	v_lshl_add_u64 v[4:5], v[0:1], 0, 15
	s_add_u32 s38, s0, 64
	v_cmp_gt_i64_e64 s[6:7], s[26:27], v[2:3]
	v_lshlrev_b64 v[52:53], 1, v[2:3]
	v_mul_lo_u32 v2, s27, v4
	v_mul_lo_u32 v6, s26, v5
	v_mad_u64_u32 v[4:5], s[10:11], s26, v4, 0
	s_addc_u32 s39, s1, 0
	s_waitcnt lgkmcnt(0)
	s_lshl_b32 s3, s3, 8
	v_add3_u32 v5, v5, v6, v2
	v_lshlrev_b64 v[4:5], 1, v[4:5]
	s_mul_i32 s9, s27, s3
	s_mul_hi_u32 s10, s26, s3
	v_lshl_add_u64 v[54:55], s[28:29], 0, v[4:5]
	s_add_i32 s11, s10, s9
	s_mul_i32 s10, s26, s3
	v_lshl_add_u64 v[56:57], s[30:31], 0, v[4:5]
	v_lshl_add_u64 v[4:5], v[0:1], 0, 14
	s_lshl_b64 s[40:41], s[10:11], 1
	v_mul_lo_u32 v2, s27, v4
	v_mul_lo_u32 v6, s26, v5
	v_mad_u64_u32 v[4:5], s[10:11], s26, v4, 0
	v_add3_u32 v5, v5, v6, v2
	v_lshlrev_b64 v[4:5], 1, v[4:5]
	v_lshl_add_u64 v[58:59], s[28:29], 0, v[4:5]
	v_lshl_add_u64 v[60:61], s[30:31], 0, v[4:5]
	v_lshl_add_u64 v[4:5], v[0:1], 0, 13
	v_mul_lo_u32 v2, s27, v4
	v_mul_lo_u32 v6, s26, v5
	v_mad_u64_u32 v[4:5], s[10:11], s26, v4, 0
	v_add3_u32 v5, v5, v6, v2
	v_lshlrev_b64 v[4:5], 1, v[4:5]
	v_lshl_add_u64 v[62:63], s[28:29], 0, v[4:5]
	v_lshl_add_u64 v[64:65], s[30:31], 0, v[4:5]
	v_lshl_add_u64 v[4:5], v[0:1], 0, 12
	;; [unrolled: 8-line block ×11, first 2 shown]
	v_mul_lo_u32 v2, s27, v4
	v_mul_lo_u32 v6, s26, v5
	v_mad_u64_u32 v[4:5], s[10:11], s26, v4, 0
	v_add3_u32 v5, v5, v6, v2
	v_lshlrev_b64 v[4:5], 1, v[4:5]
	v_mov_b32_e32 v123, v103
	v_lshl_add_u64 v[102:103], s[28:29], 0, v[4:5]
	v_lshl_add_u64 v[104:105], s[30:31], 0, v[4:5]
	;; [unrolled: 1-line block ×3, first 2 shown]
	v_mul_lo_u32 v2, s27, v4
	v_mul_lo_u32 v6, s26, v5
	v_mad_u64_u32 v[4:5], s[10:11], s26, v4, 0
	v_add3_u32 v5, v5, v6, v2
	v_lshlrev_b64 v[4:5], 1, v[4:5]
	v_lshl_add_u64 v[106:107], s[28:29], 0, v[4:5]
	v_lshl_add_u64 v[108:109], s[30:31], 0, v[4:5]
	v_mov_b64_e32 v[4:5], s[26:27]
	v_mad_u64_u32 v[4:5], s[10:11], s26, v0, v[4:5]
	v_mul_lo_u32 v2, s26, v1
	v_mul_lo_u32 v6, s27, v0
	v_mad_u64_u32 v[0:1], s[10:11], s26, v0, 0
	v_add3_u32 v1, v1, v2, v6
	v_lshlrev_b64 v[0:1], 1, v[0:1]
	v_lshl_add_u64 v[114:115], s[28:29], 0, v[0:1]
	v_lshl_add_u64 v[116:117], s[30:31], 0, v[0:1]
	v_mbcnt_lo_u32_b32 v0, -1, 0
	v_add3_u32 v5, v6, v5, v2
	v_mbcnt_hi_u32_b32 v0, -1, v0
	v_lshlrev_b64 v[4:5], 1, v[4:5]
	s_add_u32 s42, s36, 0xff
	s_movk_i32 s44, 0xff01
	s_movk_i32 s46, 0xff02
	;; [unrolled: 1-line block ×16, first 2 shown]
	v_lshlrev_b32_e32 v0, 2, v0
	s_mov_b32 s8, 0
	v_lshl_add_u64 v[110:111], s[28:29], 0, v[4:5]
	v_lshl_add_u64 v[112:113], s[30:31], 0, v[4:5]
	s_addc_u32 s43, 0, 0
	s_mov_b32 s45, -1
	s_mov_b32 s47, -1
	;; [unrolled: 1-line block ×16, first 2 shown]
	v_and_b32_e32 v120, 0x100, v0
	s_mov_b64 s[76:77], s[36:37]
	v_mov_b32_e32 v121, 0
.LBB197_3:                              ; =>This Inner Loop Header: Depth=1
	v_mov_b64_e32 v[0:1], s[24:25]
	v_cmp_ge_i64_e32 vcc, s[42:43], v[0:1]
	v_lshl_add_u64 v[0:1], v[50:51], 0, s[42:43]
	s_cbranch_vccz .LBB197_41
; %bb.4:                                ;   in Loop: Header=BB197_3 Depth=1
	s_load_dword s9, s[38:39], 0xc
	v_mov_b32_e32 v122, 0
	s_waitcnt lgkmcnt(0)
	s_and_b32 s9, s9, 0xffff
	v_mad_u32_u24 v2, v119, s9, v118
	v_and_b32_e32 v2, 63, v2
	v_cmp_gt_u32_e32 vcc, 16, v2
	s_and_saveexec_b64 s[10:11], vcc
	s_cbranch_execz .LBB197_8
; %bb.5:                                ;   in Loop: Header=BB197_3 Depth=1
	v_lshl_add_u64 v[4:5], v[0:1], 0, v[2:3]
	v_lshl_add_u64 v[4:5], v[4:5], 0, s[44:45]
	v_cmp_gt_i64_e32 vcc, s[24:25], v[4:5]
	v_mov_b32_e32 v122, 0
	s_and_saveexec_b64 s[12:13], vcc
	s_cbranch_execz .LBB197_7
; %bb.6:                                ;   in Loop: Header=BB197_3 Depth=1
	v_lshl_add_u64 v[4:5], v[4:5], 2, s[34:35]
	global_load_dword v122, v[4:5], off
.LBB197_7:                              ;   in Loop: Header=BB197_3 Depth=1
	s_or_b64 exec, exec, s[12:13]
.LBB197_8:                              ;   in Loop: Header=BB197_3 Depth=1
	s_or_b64 exec, exec, s[10:11]
	s_mov_b32 s22, s8
	s_mov_b32 s23, s8
	v_lshl_add_u64 v[4:5], v[0:1], 0, s[44:45]
	s_mov_b32 s9, s8
	s_mov_b32 s10, s8
	s_mov_b32 s11, s8
	s_mov_b32 s12, s8
	s_mov_b32 s13, s8
	s_mov_b32 s14, s8
	s_mov_b32 s15, s8
	s_mov_b32 s16, s8
	s_mov_b32 s17, s8
	s_mov_b32 s18, s8
	s_mov_b32 s19, s8
	s_mov_b32 s20, s8
	s_mov_b32 s21, s8
	v_mov_b64_e32 v[32:33], s[22:23]
	v_cmp_gt_i64_e32 vcc, s[24:25], v[4:5]
	v_mov_b64_e32 v[30:31], s[20:21]
	v_mov_b64_e32 v[28:29], s[18:19]
	;; [unrolled: 1-line block ×8, first 2 shown]
	s_and_b64 s[78:79], s[6:7], vcc
	v_mov_b64_e32 v[46:47], v[30:31]
	v_mov_b64_e32 v[44:45], v[28:29]
	;; [unrolled: 1-line block ×7, first 2 shown]
	s_and_saveexec_b64 s[10:11], s[78:79]
	s_cbranch_execz .LBB197_10
; %bb.9:                                ;   in Loop: Header=BB197_3 Depth=1
	v_lshl_add_u64 v[4:5], v[114:115], 0, v[52:53]
	global_load_ushort v2, v[4:5], off
	v_lshl_add_u64 v[4:5], v[116:117], 0, v[52:53]
	global_load_ushort v18, v[4:5], off
	v_mov_b32_e32 v16, v3
	v_mov_b32_e32 v17, v3
	;; [unrolled: 1-line block ×29, first 2 shown]
	s_waitcnt vmcnt(1)
	v_lshlrev_b32_e32 v2, 16, v2
	v_mov_b64_e32 v[48:49], v[16:17]
	s_waitcnt vmcnt(0)
	v_lshlrev_b32_e32 v18, 16, v18
	v_mov_b64_e32 v[46:47], v[14:15]
	v_mov_b64_e32 v[44:45], v[12:13]
	;; [unrolled: 1-line block ×7, first 2 shown]
.LBB197_10:                             ;   in Loop: Header=BB197_3 Depth=1
	s_or_b64 exec, exec, s[10:11]
	v_lshl_add_u64 v[4:5], v[0:1], 0, s[46:47]
	v_cmp_gt_i64_e32 vcc, s[24:25], v[4:5]
	s_and_b64 s[12:13], s[6:7], vcc
	s_and_saveexec_b64 s[10:11], s[12:13]
	s_cbranch_execz .LBB197_12
; %bb.11:                               ;   in Loop: Header=BB197_3 Depth=1
	v_lshl_add_u64 v[4:5], v[110:111], 0, v[52:53]
	global_load_ushort v2, v[4:5], off
	v_lshl_add_u64 v[4:5], v[112:113], 0, v[52:53]
	global_load_ushort v4, v[4:5], off
	s_waitcnt vmcnt(1)
	v_lshlrev_b32_e32 v35, 16, v2
	s_waitcnt vmcnt(0)
	v_lshlrev_b32_e32 v19, 16, v4
.LBB197_12:                             ;   in Loop: Header=BB197_3 Depth=1
	s_or_b64 exec, exec, s[10:11]
	v_lshl_add_u64 v[4:5], v[0:1], 0, s[48:49]
	v_cmp_gt_i64_e32 vcc, s[24:25], v[4:5]
	s_and_b64 s[12:13], s[6:7], vcc
	s_and_saveexec_b64 s[10:11], s[12:13]
	s_cbranch_execz .LBB197_14
; %bb.13:                               ;   in Loop: Header=BB197_3 Depth=1
	v_lshl_add_u64 v[4:5], v[106:107], 0, v[52:53]
	global_load_ushort v2, v[4:5], off
	v_lshl_add_u64 v[4:5], v[108:109], 0, v[52:53]
	global_load_ushort v4, v[4:5], off
	s_waitcnt vmcnt(1)
	v_lshlrev_b32_e32 v36, 16, v2
	s_waitcnt vmcnt(0)
	v_lshlrev_b32_e32 v20, 16, v4
.LBB197_14:                             ;   in Loop: Header=BB197_3 Depth=1
	;; [unrolled: 16-line block ×15, first 2 shown]
	s_or_b64 exec, exec, s[10:11]
	s_waitcnt vmcnt(0)
	ds_bpermute_b32 v2, v120, v122
	ds_bpermute_b32 v4, v120, v122 offset:4
	ds_bpermute_b32 v6, v120, v122 offset:8
	v_mul_f32_e32 v5, v18, v34
	v_mul_f32_e32 v7, v19, v35
	s_waitcnt lgkmcnt(2)
	v_fma_f32 v2, v5, v2, v121
	s_waitcnt lgkmcnt(1)
	v_fmac_f32_e32 v2, v7, v4
	v_mul_f32_e32 v4, v20, v36
	s_waitcnt lgkmcnt(0)
	v_fmac_f32_e32 v2, v4, v6
	ds_bpermute_b32 v4, v120, v122 offset:12
	ds_bpermute_b32 v5, v120, v122 offset:16
	v_pk_mul_f32 v[16:17], v[20:21], v[36:37]
	v_pk_mul_f32 v[18:19], v[22:23], v[38:39]
	v_mov_b32_e32 v16, v17
	v_mov_b32_e32 v17, v18
	s_waitcnt lgkmcnt(0)
	v_pk_mul_f32 v[4:5], v[16:17], v[4:5]
	ds_bpermute_b32 v16, v120, v122 offset:20
	ds_bpermute_b32 v17, v120, v122 offset:24
	v_pk_mul_f32 v[14:15], v[24:25], v[40:41]
	v_add_f32_e32 v2, v2, v4
	v_add_f32_e32 v2, v2, v5
	v_mov_b32_e32 v4, v19
	v_mov_b32_e32 v5, v14
	s_waitcnt lgkmcnt(0)
	v_pk_mul_f32 v[4:5], v[4:5], v[16:17]
	ds_bpermute_b32 v16, v120, v122 offset:28
	ds_bpermute_b32 v17, v120, v122 offset:32
	v_pk_mul_f32 v[12:13], v[26:27], v[42:43]
	v_add_f32_e32 v2, v2, v4
	v_mov_b32_e32 v4, v15
	ds_bpermute_b32 v14, v120, v122 offset:36
	ds_bpermute_b32 v15, v120, v122 offset:40
	v_add_f32_e32 v2, v2, v5
	v_mov_b32_e32 v5, v12
	s_waitcnt lgkmcnt(2)
	v_pk_mul_f32 v[4:5], v[4:5], v[16:17]
	v_pk_mul_f32 v[10:11], v[28:29], v[44:45]
	v_add_f32_e32 v2, v2, v4
	v_mov_b32_e32 v4, v13
	ds_bpermute_b32 v12, v120, v122 offset:44
	ds_bpermute_b32 v13, v120, v122 offset:48
	v_add_f32_e32 v2, v2, v5
	v_mov_b32_e32 v5, v10
	s_waitcnt lgkmcnt(2)
	v_pk_mul_f32 v[4:5], v[4:5], v[14:15]
	;; [unrolled: 9-line block ×3, first 2 shown]
	v_pk_mul_f32 v[6:7], v[32:33], v[48:49]
	v_add_f32_e32 v2, v2, v4
	ds_bpermute_b32 v4, v120, v122 offset:60
	v_mov_b32_e32 v8, v9
	v_mov_b32_e32 v9, v6
	v_add_f32_e32 v2, v2, v5
	s_waitcnt lgkmcnt(1)
	v_pk_mul_f32 v[6:7], v[8:9], v[10:11]
	s_nop 0
	v_add_f32_e32 v2, v2, v6
	v_add_f32_e32 v2, v2, v7
	s_branch .LBB197_64
.LBB197_41:                             ;   in Loop: Header=BB197_3 Depth=1
                                        ; implicit-def: $vgpr2
                                        ; implicit-def: $vgpr18_vgpr19_vgpr20_vgpr21_vgpr22_vgpr23_vgpr24_vgpr25_vgpr26_vgpr27_vgpr28_vgpr29_vgpr30_vgpr31_vgpr32_vgpr33
                                        ; implicit-def: $vgpr34_vgpr35_vgpr36_vgpr37_vgpr38_vgpr39_vgpr40_vgpr41_vgpr42_vgpr43_vgpr44_vgpr45_vgpr46_vgpr47_vgpr48_vgpr49
                                        ; implicit-def: $vgpr4
	s_cbranch_execz .LBB197_64
; %bb.42:                               ;   in Loop: Header=BB197_3 Depth=1
	s_load_dword s9, s[38:39], 0x0
	v_mov_b32_e32 v122, 0
	s_waitcnt lgkmcnt(0)
	s_cmp_lt_u32 s2, s9
	s_cselect_b32 s9, 12, 18
	s_add_u32 s10, s38, s9
	s_addc_u32 s11, s39, 0
	global_load_ushort v2, v3, s[10:11]
	s_waitcnt vmcnt(0)
	v_mad_u32_u24 v2, v119, v2, v118
	v_and_b32_e32 v2, 63, v2
	v_cmp_gt_u32_e32 vcc, 16, v2
	s_and_saveexec_b64 s[10:11], vcc
	s_cbranch_execz .LBB197_46
; %bb.43:                               ;   in Loop: Header=BB197_3 Depth=1
	v_lshl_add_u64 v[0:1], v[0:1], 0, v[2:3]
	v_lshl_add_u64 v[0:1], v[0:1], 0, s[44:45]
	v_cmp_gt_i64_e32 vcc, s[24:25], v[0:1]
	v_mov_b32_e32 v122, 0
	s_and_saveexec_b64 s[12:13], vcc
	s_cbranch_execz .LBB197_45
; %bb.44:                               ;   in Loop: Header=BB197_3 Depth=1
	v_lshl_add_u64 v[0:1], v[0:1], 2, s[34:35]
	global_load_dword v122, v[0:1], off
.LBB197_45:                             ;   in Loop: Header=BB197_3 Depth=1
	s_or_b64 exec, exec, s[12:13]
.LBB197_46:                             ;   in Loop: Header=BB197_3 Depth=1
	s_or_b64 exec, exec, s[10:11]
	s_mov_b32 s22, s8
	s_mov_b32 s23, s8
	;; [unrolled: 1-line block ×15, first 2 shown]
	v_mov_b64_e32 v[32:33], s[22:23]
	v_mov_b64_e32 v[30:31], s[20:21]
	;; [unrolled: 1-line block ×16, first 2 shown]
	s_and_saveexec_b64 s[10:11], s[6:7]
	s_cbranch_execnz .LBB197_66
; %bb.47:                               ;   in Loop: Header=BB197_3 Depth=1
	s_or_b64 exec, exec, s[10:11]
	s_and_saveexec_b64 s[10:11], s[6:7]
	s_cbranch_execnz .LBB197_67
.LBB197_48:                             ;   in Loop: Header=BB197_3 Depth=1
	s_or_b64 exec, exec, s[10:11]
	s_and_saveexec_b64 s[10:11], s[6:7]
	s_cbranch_execnz .LBB197_68
.LBB197_49:                             ;   in Loop: Header=BB197_3 Depth=1
	s_or_b64 exec, exec, s[10:11]
	s_and_saveexec_b64 s[10:11], s[6:7]
	s_cbranch_execnz .LBB197_69
.LBB197_50:                             ;   in Loop: Header=BB197_3 Depth=1
	s_or_b64 exec, exec, s[10:11]
	s_and_saveexec_b64 s[10:11], s[6:7]
	s_cbranch_execnz .LBB197_70
.LBB197_51:                             ;   in Loop: Header=BB197_3 Depth=1
	s_or_b64 exec, exec, s[10:11]
	s_and_saveexec_b64 s[10:11], s[6:7]
	s_cbranch_execnz .LBB197_71
.LBB197_52:                             ;   in Loop: Header=BB197_3 Depth=1
	s_or_b64 exec, exec, s[10:11]
	s_and_saveexec_b64 s[10:11], s[6:7]
	s_cbranch_execnz .LBB197_72
.LBB197_53:                             ;   in Loop: Header=BB197_3 Depth=1
	s_or_b64 exec, exec, s[10:11]
	s_and_saveexec_b64 s[10:11], s[6:7]
	s_cbranch_execnz .LBB197_73
.LBB197_54:                             ;   in Loop: Header=BB197_3 Depth=1
	s_or_b64 exec, exec, s[10:11]
	s_and_saveexec_b64 s[10:11], s[6:7]
	s_cbranch_execnz .LBB197_74
.LBB197_55:                             ;   in Loop: Header=BB197_3 Depth=1
	s_or_b64 exec, exec, s[10:11]
	s_and_saveexec_b64 s[10:11], s[6:7]
	s_cbranch_execnz .LBB197_75
.LBB197_56:                             ;   in Loop: Header=BB197_3 Depth=1
	s_or_b64 exec, exec, s[10:11]
	s_and_saveexec_b64 s[10:11], s[6:7]
	s_cbranch_execnz .LBB197_76
.LBB197_57:                             ;   in Loop: Header=BB197_3 Depth=1
	s_or_b64 exec, exec, s[10:11]
	s_and_saveexec_b64 s[10:11], s[6:7]
	s_cbranch_execnz .LBB197_77
.LBB197_58:                             ;   in Loop: Header=BB197_3 Depth=1
	s_or_b64 exec, exec, s[10:11]
	s_and_saveexec_b64 s[10:11], s[6:7]
	s_cbranch_execnz .LBB197_78
.LBB197_59:                             ;   in Loop: Header=BB197_3 Depth=1
	s_or_b64 exec, exec, s[10:11]
	s_and_saveexec_b64 s[10:11], s[6:7]
	s_cbranch_execnz .LBB197_79
.LBB197_60:                             ;   in Loop: Header=BB197_3 Depth=1
	s_or_b64 exec, exec, s[10:11]
	s_and_saveexec_b64 s[10:11], s[6:7]
	s_cbranch_execnz .LBB197_80
.LBB197_61:                             ;   in Loop: Header=BB197_3 Depth=1
	s_or_b64 exec, exec, s[10:11]
	s_and_saveexec_b64 s[10:11], s[6:7]
	s_cbranch_execz .LBB197_63
.LBB197_62:                             ;   in Loop: Header=BB197_3 Depth=1
	v_lshl_add_u64 v[0:1], v[54:55], 0, v[52:53]
	global_load_ushort v2, v[0:1], off
	v_lshl_add_u64 v[0:1], v[56:57], 0, v[52:53]
	global_load_ushort v0, v[0:1], off
	s_waitcnt vmcnt(1)
	v_lshlrev_b32_e32 v49, 16, v2
	s_waitcnt vmcnt(0)
	v_lshlrev_b32_e32 v33, 16, v0
.LBB197_63:                             ;   in Loop: Header=BB197_3 Depth=1
	s_or_b64 exec, exec, s[10:11]
	s_waitcnt vmcnt(0)
	ds_bpermute_b32 v0, v120, v122
	ds_bpermute_b32 v1, v120, v122 offset:4
	ds_bpermute_b32 v4, v120, v122 offset:8
	v_mul_f32_e32 v2, v18, v34
	v_mul_f32_e32 v5, v19, v35
	s_waitcnt lgkmcnt(2)
	v_fmac_f32_e32 v121, v2, v0
	s_waitcnt lgkmcnt(1)
	v_fmac_f32_e32 v121, v5, v1
	v_mul_f32_e32 v0, v20, v36
	s_waitcnt lgkmcnt(0)
	v_fmac_f32_e32 v121, v0, v4
	ds_bpermute_b32 v0, v120, v122 offset:12
	ds_bpermute_b32 v1, v120, v122 offset:16
	v_pk_mul_f32 v[14:15], v[20:21], v[36:37]
	v_pk_mul_f32 v[16:17], v[22:23], v[38:39]
	v_mov_b32_e32 v14, v15
	v_mov_b32_e32 v15, v16
	s_waitcnt lgkmcnt(0)
	v_pk_mul_f32 v[0:1], v[14:15], v[0:1]
	ds_bpermute_b32 v14, v120, v122 offset:20
	ds_bpermute_b32 v15, v120, v122 offset:24
	v_pk_mul_f32 v[12:13], v[24:25], v[40:41]
	v_add_f32_e32 v0, v121, v0
	v_add_f32_e32 v2, v0, v1
	v_mov_b32_e32 v0, v17
	v_mov_b32_e32 v1, v12
	s_waitcnt lgkmcnt(0)
	v_pk_mul_f32 v[0:1], v[0:1], v[14:15]
	ds_bpermute_b32 v14, v120, v122 offset:28
	ds_bpermute_b32 v15, v120, v122 offset:32
	v_add_f32_e32 v0, v2, v0
	v_pk_mul_f32 v[10:11], v[26:27], v[42:43]
	v_add_f32_e32 v2, v0, v1
	v_mov_b32_e32 v0, v13
	ds_bpermute_b32 v12, v120, v122 offset:36
	ds_bpermute_b32 v13, v120, v122 offset:40
	v_mov_b32_e32 v1, v10
	s_waitcnt lgkmcnt(2)
	v_pk_mul_f32 v[0:1], v[0:1], v[14:15]
	v_pk_mul_f32 v[8:9], v[28:29], v[44:45]
	v_add_f32_e32 v0, v2, v0
	v_add_f32_e32 v2, v0, v1
	v_mov_b32_e32 v0, v11
	v_mov_b32_e32 v1, v8
	ds_bpermute_b32 v10, v120, v122 offset:44
	ds_bpermute_b32 v11, v120, v122 offset:48
	s_waitcnt lgkmcnt(2)
	v_pk_mul_f32 v[0:1], v[0:1], v[12:13]
	v_pk_mul_f32 v[4:5], v[30:31], v[46:47]
	v_add_f32_e32 v0, v2, v0
	v_add_f32_e32 v2, v0, v1
	v_mov_b32_e32 v0, v9
	ds_bpermute_b32 v8, v120, v122 offset:52
	ds_bpermute_b32 v9, v120, v122 offset:56
	v_mov_b32_e32 v1, v4
	s_waitcnt lgkmcnt(2)
	v_pk_mul_f32 v[0:1], v[0:1], v[10:11]
	v_pk_mul_f32 v[6:7], v[32:33], v[48:49]
	v_add_f32_e32 v0, v2, v0
	v_add_f32_e32 v2, v0, v1
	v_mov_b32_e32 v0, v5
	v_mov_b32_e32 v1, v6
	s_waitcnt lgkmcnt(0)
	v_pk_mul_f32 v[0:1], v[0:1], v[8:9]
	ds_bpermute_b32 v4, v120, v122 offset:60
	v_add_f32_e32 v0, v2, v0
	v_add_f32_e32 v2, v0, v1
.LBB197_64:                             ;   in Loop: Header=BB197_3 Depth=1
	v_mul_f32_e32 v0, v49, v33
	s_add_u32 s76, s76, s3
	s_waitcnt lgkmcnt(0)
	v_fmac_f32_e32 v2, v0, v4
	s_addc_u32 s77, s77, 0
	v_mov_b64_e32 v[0:1], s[24:25]
	s_add_u32 s42, s42, s3
	v_cmp_lt_i64_e32 vcc, s[76:77], v[0:1]
	v_lshl_add_u64 v[54:55], v[54:55], 0, s[40:41]
	v_lshl_add_u64 v[56:57], v[56:57], 0, s[40:41]
	;; [unrolled: 1-line block ×30, first 2 shown]
	s_addc_u32 s43, s43, 0
	v_lshl_add_u64 v[114:115], v[114:115], 0, s[40:41]
	v_lshl_add_u64 v[116:117], v[116:117], 0, s[40:41]
	s_cbranch_vccz .LBB197_82
; %bb.65:                               ;   in Loop: Header=BB197_3 Depth=1
	v_mov_b32_e32 v121, v2
	s_branch .LBB197_3
.LBB197_66:                             ;   in Loop: Header=BB197_3 Depth=1
	v_lshl_add_u64 v[0:1], v[114:115], 0, v[52:53]
	global_load_ushort v2, v[0:1], off
	v_lshl_add_u64 v[0:1], v[116:117], 0, v[52:53]
	global_load_ushort v0, v[0:1], off
	v_mov_b32_e32 v16, v3
	v_mov_b32_e32 v17, v3
	;; [unrolled: 1-line block ×29, first 2 shown]
	s_waitcnt vmcnt(1)
	v_lshlrev_b32_e32 v2, 16, v2
	v_mov_b64_e32 v[48:49], v[16:17]
	s_waitcnt vmcnt(0)
	v_lshlrev_b32_e32 v18, 16, v0
	v_mov_b64_e32 v[46:47], v[14:15]
	v_mov_b64_e32 v[44:45], v[12:13]
	;; [unrolled: 1-line block ×7, first 2 shown]
	s_or_b64 exec, exec, s[10:11]
	s_and_saveexec_b64 s[10:11], s[6:7]
	s_cbranch_execz .LBB197_48
.LBB197_67:                             ;   in Loop: Header=BB197_3 Depth=1
	v_lshl_add_u64 v[0:1], v[110:111], 0, v[52:53]
	global_load_ushort v2, v[0:1], off
	v_lshl_add_u64 v[0:1], v[112:113], 0, v[52:53]
	global_load_ushort v0, v[0:1], off
	s_waitcnt vmcnt(1)
	v_lshlrev_b32_e32 v35, 16, v2
	s_waitcnt vmcnt(0)
	v_lshlrev_b32_e32 v19, 16, v0
	s_or_b64 exec, exec, s[10:11]
	s_and_saveexec_b64 s[10:11], s[6:7]
	s_cbranch_execz .LBB197_49
.LBB197_68:                             ;   in Loop: Header=BB197_3 Depth=1
	v_lshl_add_u64 v[0:1], v[106:107], 0, v[52:53]
	global_load_ushort v2, v[0:1], off
	v_lshl_add_u64 v[0:1], v[108:109], 0, v[52:53]
	global_load_ushort v0, v[0:1], off
	s_waitcnt vmcnt(1)
	v_lshlrev_b32_e32 v36, 16, v2
	s_waitcnt vmcnt(0)
	v_lshlrev_b32_e32 v20, 16, v0
	s_or_b64 exec, exec, s[10:11]
	s_and_saveexec_b64 s[10:11], s[6:7]
	s_cbranch_execz .LBB197_50
.LBB197_69:                             ;   in Loop: Header=BB197_3 Depth=1
	v_lshl_add_u64 v[0:1], v[102:103], 0, v[52:53]
	global_load_ushort v2, v[0:1], off
	v_lshl_add_u64 v[0:1], v[104:105], 0, v[52:53]
	global_load_ushort v0, v[0:1], off
	s_waitcnt vmcnt(1)
	v_lshlrev_b32_e32 v37, 16, v2
	s_waitcnt vmcnt(0)
	v_lshlrev_b32_e32 v21, 16, v0
	s_or_b64 exec, exec, s[10:11]
	s_and_saveexec_b64 s[10:11], s[6:7]
	s_cbranch_execz .LBB197_51
.LBB197_70:                             ;   in Loop: Header=BB197_3 Depth=1
	v_lshl_add_u64 v[0:1], v[98:99], 0, v[52:53]
	global_load_ushort v2, v[0:1], off
	v_lshl_add_u64 v[0:1], v[100:101], 0, v[52:53]
	global_load_ushort v0, v[0:1], off
	s_waitcnt vmcnt(1)
	v_lshlrev_b32_e32 v38, 16, v2
	s_waitcnt vmcnt(0)
	v_lshlrev_b32_e32 v22, 16, v0
	s_or_b64 exec, exec, s[10:11]
	s_and_saveexec_b64 s[10:11], s[6:7]
	s_cbranch_execz .LBB197_52
.LBB197_71:                             ;   in Loop: Header=BB197_3 Depth=1
	v_lshl_add_u64 v[0:1], v[94:95], 0, v[52:53]
	global_load_ushort v2, v[0:1], off
	v_lshl_add_u64 v[0:1], v[96:97], 0, v[52:53]
	global_load_ushort v0, v[0:1], off
	s_waitcnt vmcnt(1)
	v_lshlrev_b32_e32 v39, 16, v2
	s_waitcnt vmcnt(0)
	v_lshlrev_b32_e32 v23, 16, v0
	s_or_b64 exec, exec, s[10:11]
	s_and_saveexec_b64 s[10:11], s[6:7]
	s_cbranch_execz .LBB197_53
.LBB197_72:                             ;   in Loop: Header=BB197_3 Depth=1
	v_lshl_add_u64 v[0:1], v[90:91], 0, v[52:53]
	global_load_ushort v2, v[0:1], off
	v_lshl_add_u64 v[0:1], v[92:93], 0, v[52:53]
	global_load_ushort v0, v[0:1], off
	s_waitcnt vmcnt(1)
	v_lshlrev_b32_e32 v40, 16, v2
	s_waitcnt vmcnt(0)
	v_lshlrev_b32_e32 v24, 16, v0
	s_or_b64 exec, exec, s[10:11]
	s_and_saveexec_b64 s[10:11], s[6:7]
	s_cbranch_execz .LBB197_54
.LBB197_73:                             ;   in Loop: Header=BB197_3 Depth=1
	v_lshl_add_u64 v[0:1], v[86:87], 0, v[52:53]
	global_load_ushort v2, v[0:1], off
	v_lshl_add_u64 v[0:1], v[88:89], 0, v[52:53]
	global_load_ushort v0, v[0:1], off
	s_waitcnt vmcnt(1)
	v_lshlrev_b32_e32 v41, 16, v2
	s_waitcnt vmcnt(0)
	v_lshlrev_b32_e32 v25, 16, v0
	s_or_b64 exec, exec, s[10:11]
	s_and_saveexec_b64 s[10:11], s[6:7]
	s_cbranch_execz .LBB197_55
.LBB197_74:                             ;   in Loop: Header=BB197_3 Depth=1
	v_lshl_add_u64 v[0:1], v[82:83], 0, v[52:53]
	global_load_ushort v2, v[0:1], off
	v_lshl_add_u64 v[0:1], v[84:85], 0, v[52:53]
	global_load_ushort v0, v[0:1], off
	s_waitcnt vmcnt(1)
	v_lshlrev_b32_e32 v42, 16, v2
	s_waitcnt vmcnt(0)
	v_lshlrev_b32_e32 v26, 16, v0
	s_or_b64 exec, exec, s[10:11]
	s_and_saveexec_b64 s[10:11], s[6:7]
	s_cbranch_execz .LBB197_56
.LBB197_75:                             ;   in Loop: Header=BB197_3 Depth=1
	v_lshl_add_u64 v[0:1], v[78:79], 0, v[52:53]
	global_load_ushort v2, v[0:1], off
	v_lshl_add_u64 v[0:1], v[80:81], 0, v[52:53]
	global_load_ushort v0, v[0:1], off
	s_waitcnt vmcnt(1)
	v_lshlrev_b32_e32 v43, 16, v2
	s_waitcnt vmcnt(0)
	v_lshlrev_b32_e32 v27, 16, v0
	s_or_b64 exec, exec, s[10:11]
	s_and_saveexec_b64 s[10:11], s[6:7]
	s_cbranch_execz .LBB197_57
.LBB197_76:                             ;   in Loop: Header=BB197_3 Depth=1
	v_lshl_add_u64 v[0:1], v[74:75], 0, v[52:53]
	global_load_ushort v2, v[0:1], off
	v_lshl_add_u64 v[0:1], v[76:77], 0, v[52:53]
	global_load_ushort v0, v[0:1], off
	s_waitcnt vmcnt(1)
	v_lshlrev_b32_e32 v44, 16, v2
	s_waitcnt vmcnt(0)
	v_lshlrev_b32_e32 v28, 16, v0
	s_or_b64 exec, exec, s[10:11]
	s_and_saveexec_b64 s[10:11], s[6:7]
	s_cbranch_execz .LBB197_58
.LBB197_77:                             ;   in Loop: Header=BB197_3 Depth=1
	v_lshl_add_u64 v[0:1], v[70:71], 0, v[52:53]
	global_load_ushort v2, v[0:1], off
	v_lshl_add_u64 v[0:1], v[72:73], 0, v[52:53]
	global_load_ushort v0, v[0:1], off
	s_waitcnt vmcnt(1)
	v_lshlrev_b32_e32 v45, 16, v2
	s_waitcnt vmcnt(0)
	v_lshlrev_b32_e32 v29, 16, v0
	s_or_b64 exec, exec, s[10:11]
	s_and_saveexec_b64 s[10:11], s[6:7]
	s_cbranch_execz .LBB197_59
.LBB197_78:                             ;   in Loop: Header=BB197_3 Depth=1
	v_lshl_add_u64 v[0:1], v[66:67], 0, v[52:53]
	global_load_ushort v2, v[0:1], off
	v_lshl_add_u64 v[0:1], v[68:69], 0, v[52:53]
	global_load_ushort v0, v[0:1], off
	s_waitcnt vmcnt(1)
	v_lshlrev_b32_e32 v46, 16, v2
	s_waitcnt vmcnt(0)
	v_lshlrev_b32_e32 v30, 16, v0
	s_or_b64 exec, exec, s[10:11]
	s_and_saveexec_b64 s[10:11], s[6:7]
	s_cbranch_execz .LBB197_60
.LBB197_79:                             ;   in Loop: Header=BB197_3 Depth=1
	v_lshl_add_u64 v[0:1], v[62:63], 0, v[52:53]
	global_load_ushort v2, v[0:1], off
	v_lshl_add_u64 v[0:1], v[64:65], 0, v[52:53]
	global_load_ushort v0, v[0:1], off
	s_waitcnt vmcnt(1)
	v_lshlrev_b32_e32 v47, 16, v2
	s_waitcnt vmcnt(0)
	v_lshlrev_b32_e32 v31, 16, v0
	s_or_b64 exec, exec, s[10:11]
	s_and_saveexec_b64 s[10:11], s[6:7]
	s_cbranch_execz .LBB197_61
.LBB197_80:                             ;   in Loop: Header=BB197_3 Depth=1
	v_lshl_add_u64 v[0:1], v[58:59], 0, v[52:53]
	global_load_ushort v2, v[0:1], off
	v_lshl_add_u64 v[0:1], v[60:61], 0, v[52:53]
	global_load_ushort v0, v[0:1], off
	s_waitcnt vmcnt(1)
	v_lshlrev_b32_e32 v48, 16, v2
	s_waitcnt vmcnt(0)
	v_lshlrev_b32_e32 v32, 16, v0
	s_or_b64 exec, exec, s[10:11]
	s_and_saveexec_b64 s[10:11], s[6:7]
	s_cbranch_execnz .LBB197_62
	s_branch .LBB197_63
.LBB197_81:
                                        ; implicit-def: $vgpr2
	s_branch .LBB197_84
.LBB197_82:
	v_mov_b32_e32 v103, v123
.LBB197_83:
	s_cbranch_execnz .LBB197_132
.LBB197_84:
	s_and_b64 vcc, exec, s[4:5]
	v_mov_b32_e32 v2, 0
	s_cbranch_vccnz .LBB197_132
; %bb.85:
	v_mov_b32_e32 v1, v103
	v_and_b32_e32 v0, 0x3ff, v1
	v_add_u32_e32 v2, s33, v0
	v_mov_b32_e32 v3, 0
	v_bfe_u32 v24, v1, 10, 10
	v_lshlrev_b64 v[50:51], 1, v[2:3]
	v_lshlrev_b32_e32 v2, 5, v24
	v_lshl_add_u64 v[0:1], s[36:37], 1, v[2:3]
	v_lshl_add_u64 v[6:7], v[0:1], 0, 2
	v_mov_b64_e32 v[4:5], s[28:29]
	v_mad_u64_u32 v[8:9], s[4:5], s26, v6, v[4:5]
	v_mul_lo_u32 v2, s26, v7
	v_mul_lo_u32 v7, s27, v6
	v_add3_u32 v9, v7, v9, v2
	scratch_store_dwordx2 off, v[8:9], off  ; 8-byte Folded Spill
	v_lshl_add_u64 v[8:9], v[0:1], 0, 4
	v_mad_u64_u32 v[10:11], s[4:5], s26, v8, v[4:5]
	v_mul_lo_u32 v9, s26, v9
	v_mul_lo_u32 v20, s27, v8
	v_add3_u32 v11, v20, v11, v9
	scratch_store_dwordx2 off, v[10:11], off offset:8 ; 8-byte Folded Spill
	v_lshl_add_u64 v[10:11], v[0:1], 0, 6
	v_mad_u64_u32 v[12:13], s[4:5], s26, v10, v[4:5]
	v_mul_lo_u32 v11, s26, v11
	v_mul_lo_u32 v21, s27, v10
	v_add3_u32 v13, v21, v13, v11
	scratch_store_dwordx2 off, v[12:13], off offset:16 ; 8-byte Folded Spill
	;; [unrolled: 6-line block ×3, first 2 shown]
	v_lshl_add_u64 v[14:15], v[0:1], 0, 10
	v_mad_u64_u32 v[16:17], s[4:5], s26, v14, v[4:5]
	v_mul_lo_u32 v15, s26, v15
	v_mul_lo_u32 v23, s27, v14
	v_mov_b64_e32 v[18:19], s[30:31]
	v_add3_u32 v17, v23, v17, v15
	v_mad_u64_u32 v[26:27], s[4:5], s26, v6, v[18:19]
	scratch_store_dwordx2 off, v[16:17], off offset:32 ; 8-byte Folded Spill
	v_lshl_add_u64 v[16:17], v[0:1], 0, 12
	v_add3_u32 v27, v7, v27, v2
	scratch_store_dwordx2 off, v[26:27], off offset:40 ; 8-byte Folded Spill
	v_mad_u64_u32 v[6:7], s[4:5], s26, v16, v[4:5]
	v_mul_lo_u32 v2, s26, v17
	v_mad_u64_u32 v[26:27], s[4:5], s26, v8, v[18:19]
	v_mul_lo_u32 v8, s27, v16
	v_add3_u32 v7, v8, v7, v2
	scratch_store_dwordx2 off, v[6:7], off offset:48 ; 8-byte Folded Spill
	v_mad_u64_u32 v[6:7], s[4:5], s26, v10, v[18:19]
	v_add3_u32 v7, v21, v7, v11
	v_mad_u64_u32 v[10:11], s[4:5], s26, v12, v[18:19]
	v_add3_u32 v11, v22, v11, v13
	scratch_store_dwordx2 off, v[10:11], off offset:72 ; 8-byte Folded Spill
	v_mad_u64_u32 v[10:11], s[4:5], s26, v14, v[18:19]
	scratch_store_dwordx2 off, v[6:7], off offset:64 ; 8-byte Folded Spill
	v_lshl_add_u64 v[6:7], v[0:1], 0, 14
	v_add3_u32 v11, v23, v11, v15
	v_mad_u64_u32 v[12:13], s[4:5], s26, v6, v[4:5]
	v_mul_lo_u32 v7, s26, v7
	scratch_store_dwordx2 off, v[10:11], off offset:88 ; 8-byte Folded Spill
	v_mul_lo_u32 v10, s27, v6
	v_add3_u32 v13, v10, v13, v7
	scratch_store_dwordx2 off, v[12:13], off offset:80 ; 8-byte Folded Spill
	v_mad_u64_u32 v[12:13], s[4:5], s26, v16, v[18:19]
	v_add3_u32 v13, v8, v13, v2
	v_add3_u32 v27, v20, v27, v9
	scratch_store_dwordx2 off, v[12:13], off offset:96 ; 8-byte Folded Spill
	v_lshl_add_u64 v[8:9], v[0:1], 0, 16
	v_mad_u64_u32 v[12:13], s[4:5], s26, v6, v[18:19]
	v_add3_u32 v13, v10, v13, v7
	v_mad_u64_u32 v[10:11], s[4:5], s26, v8, v[4:5]
	v_mul_lo_u32 v2, s26, v9
	v_mul_lo_u32 v6, s27, v8
	v_mad_u64_u32 v[8:9], s[4:5], s26, v8, v[18:19]
	v_add3_u32 v11, v6, v11, v2
	v_add3_u32 v9, v6, v9, v2
	v_lshl_add_u64 v[6:7], v[0:1], 0, 18
	scratch_store_dwordx2 off, v[8:9], off offset:120 ; 8-byte Folded Spill
	v_mul_lo_u32 v2, s26, v7
	v_mul_lo_u32 v7, s27, v6
	v_mad_u64_u32 v[8:9], s[4:5], s26, v6, v[4:5]
	v_add3_u32 v9, v7, v9, v2
	scratch_store_dwordx2 off, v[8:9], off offset:128 ; 8-byte Folded Spill
	v_mad_u64_u32 v[8:9], s[4:5], s26, v6, v[18:19]
	v_add3_u32 v9, v7, v9, v2
	v_lshl_add_u64 v[6:7], v[0:1], 0, 20
	scratch_store_dwordx2 off, v[8:9], off offset:136 ; 8-byte Folded Spill
	v_mul_lo_u32 v2, s26, v7
	v_mul_lo_u32 v7, s27, v6
	v_mad_u64_u32 v[8:9], s[4:5], s26, v6, v[4:5]
	v_add3_u32 v9, v7, v9, v2
	scratch_store_dwordx2 off, v[8:9], off offset:144 ; 8-byte Folded Spill
	v_mad_u64_u32 v[8:9], s[4:5], s26, v6, v[18:19]
	;; [unrolled: 9-line block ×5, first 2 shown]
	v_add3_u32 v9, v7, v9, v2
	v_lshl_add_u64 v[6:7], v[0:1], 0, 28
	v_lshl_add_u64 v[0:1], v[0:1], 0, 30
	v_mad_u64_u32 v[108:109], s[4:5], s26, v0, v[4:5]
	v_mad_u64_u32 v[110:111], s[4:5], s26, v0, v[18:19]
	v_mul_lo_u32 v1, s26, v1
	v_mul_lo_u32 v0, s27, v0
	;; [unrolled: 1-line block ×4, first 2 shown]
	v_mad_u64_u32 v[104:105], s[4:5], s26, v6, v[4:5]
	v_mad_u64_u32 v[106:107], s[4:5], s26, v6, v[18:19]
	v_add3_u32 v109, v0, v109, v1
	v_add3_u32 v111, v0, v111, v1
	v_lshlrev_b32_e32 v0, 4, v24
	v_mov_b32_e32 v1, v3
	v_add3_u32 v105, v7, v105, v2
	v_add3_u32 v107, v7, v107, v2
	v_lshl_add_u64 v[6:7], v[0:1], 0, s[36:37]
	scratch_store_dwordx2 off, v[0:1], off offset:212 ; 8-byte Folded Spill
	v_lshl_add_u64 v[0:1], v[6:7], 0, 15
	v_mul_lo_u32 v2, s27, v0
	v_mul_lo_u32 v4, s26, v1
	v_mad_u64_u32 v[0:1], s[4:5], s26, v0, 0
	v_add3_u32 v1, v1, v4, v2
	v_lshl_add_u64 v[4:5], v[6:7], 0, 14
	scratch_store_dwordx2 off, v[8:9], off offset:200 ; 8-byte Folded Spill
	v_mul_lo_u32 v2, s27, v4
	v_mul_lo_u32 v8, s26, v5
	v_mad_u64_u32 v[4:5], s[4:5], s26, v4, 0
	v_add3_u32 v5, v5, v8, v2
	v_lshl_add_u64 v[8:9], v[6:7], 0, 13
	scratch_store_dwordx2 off, v[10:11], off offset:112 ; 8-byte Folded Spill
	;; [unrolled: 6-line block ×3, first 2 shown]
	v_mul_lo_u32 v2, s27, v10
	v_mul_lo_u32 v12, s26, v11
	v_mad_u64_u32 v[10:11], s[4:5], s26, v10, 0
	v_add3_u32 v11, v11, v12, v2
	v_lshl_add_u64 v[12:13], v[6:7], 0, 11
	v_mul_lo_u32 v2, s27, v12
	v_mul_lo_u32 v14, s26, v13
	v_mad_u64_u32 v[12:13], s[4:5], s26, v12, 0
	v_add3_u32 v13, v13, v14, v2
	v_lshl_add_u64 v[14:15], v[6:7], 0, 10
	;; [unrolled: 5-line block ×6, first 2 shown]
	v_lshlrev_b64 v[0:1], 1, v[0:1]
	scratch_store_dword off, v24, off offset:208 ; 4-byte Folded Spill
	v_mul_lo_u32 v2, s27, v22
	v_mul_lo_u32 v24, s26, v23
	v_mad_u64_u32 v[22:23], s[4:5], s26, v22, 0
	v_lshl_add_u64 v[118:119], s[28:29], 0, v[0:1]
	v_lshl_add_u64 v[120:121], s[30:31], 0, v[0:1]
	v_lshlrev_b64 v[0:1], 1, v[4:5]
	v_add3_u32 v23, v23, v24, v2
	v_lshl_add_u64 v[24:25], v[6:7], 0, 5
	v_lshl_add_u64 v[122:123], s[28:29], 0, v[0:1]
	;; [unrolled: 1-line block ×3, first 2 shown]
	v_lshlrev_b64 v[0:1], 1, v[8:9]
	v_lshlrev_b64 v[4:5], 1, v[10:11]
	scratch_store_dwordx2 off, v[26:27], off offset:56 ; 8-byte Folded Spill
	v_mul_lo_u32 v2, s27, v24
	v_mul_lo_u32 v26, s26, v25
	v_mad_u64_u32 v[24:25], s[4:5], s26, v24, 0
	v_lshl_add_u64 v[126:127], s[28:29], 0, v[0:1]
	v_lshl_add_u64 v[112:113], s[30:31], 0, v[0:1]
	;; [unrolled: 1-line block ×4, first 2 shown]
	v_lshlrev_b64 v[4:5], 1, v[12:13]
	v_add3_u32 v25, v25, v26, v2
	v_lshl_add_u64 v[26:27], v[6:7], 0, 4
	v_lshl_add_u64 v[54:55], s[28:29], 0, v[4:5]
	;; [unrolled: 1-line block ×3, first 2 shown]
	v_lshlrev_b64 v[4:5], 1, v[14:15]
	v_mul_lo_u32 v2, s27, v26
	v_mul_lo_u32 v28, s26, v27
	v_mad_u64_u32 v[26:27], s[4:5], s26, v26, 0
	v_lshl_add_u64 v[58:59], s[28:29], 0, v[4:5]
	v_lshl_add_u64 v[60:61], s[30:31], 0, v[4:5]
	v_lshlrev_b64 v[4:5], 1, v[16:17]
	v_add3_u32 v27, v27, v28, v2
	v_lshl_add_u64 v[28:29], v[6:7], 0, 3
	v_lshl_add_u64 v[62:63], s[28:29], 0, v[4:5]
	;; [unrolled: 1-line block ×3, first 2 shown]
	v_lshlrev_b64 v[4:5], 1, v[18:19]
	v_mul_lo_u32 v2, s27, v28
	v_mul_lo_u32 v30, s26, v29
	v_mad_u64_u32 v[28:29], s[4:5], s26, v28, 0
	s_load_dword s3, s[0:1], 0x44
	v_lshl_add_u64 v[66:67], s[28:29], 0, v[4:5]
	v_lshl_add_u64 v[68:69], s[30:31], 0, v[4:5]
	v_lshlrev_b64 v[4:5], 1, v[20:21]
	v_add3_u32 v29, v29, v30, v2
	v_lshl_add_u64 v[30:31], v[6:7], 0, 2
	v_lshl_add_u64 v[70:71], s[28:29], 0, v[4:5]
	;; [unrolled: 1-line block ×3, first 2 shown]
	v_lshlrev_b64 v[4:5], 1, v[22:23]
	v_mul_lo_u32 v2, s27, v30
	v_mul_lo_u32 v32, s26, v31
	v_mad_u64_u32 v[30:31], s[4:5], s26, v30, 0
	v_lshl_add_u64 v[74:75], s[28:29], 0, v[4:5]
	v_lshl_add_u64 v[76:77], s[30:31], 0, v[4:5]
	v_lshlrev_b64 v[4:5], 1, v[24:25]
	v_add3_u32 v31, v31, v32, v2
	v_mov_b64_e32 v[32:33], s[26:27]
	v_lshl_add_u64 v[78:79], s[28:29], 0, v[4:5]
	v_lshl_add_u64 v[80:81], s[30:31], 0, v[4:5]
	v_lshlrev_b64 v[4:5], 1, v[26:27]
	v_mad_u64_u32 v[32:33], s[4:5], s26, v6, v[32:33]
	v_mul_lo_u32 v2, s27, v6
	v_mul_lo_u32 v34, s26, v7
	v_mad_u64_u32 v[6:7], s[4:5], s26, v6, 0
	s_add_u32 s20, s0, 64
	v_lshl_add_u64 v[82:83], s[28:29], 0, v[4:5]
	v_lshl_add_u64 v[84:85], s[30:31], 0, v[4:5]
	v_lshlrev_b64 v[4:5], 1, v[28:29]
	v_add3_u32 v7, v7, v34, v2
	v_add3_u32 v33, v2, v33, v34
	s_addc_u32 s21, s1, 0
	s_waitcnt lgkmcnt(0)
	s_lshl_b32 s3, s3, 8
	v_lshl_add_u64 v[86:87], s[28:29], 0, v[4:5]
	v_lshl_add_u64 v[88:89], s[30:31], 0, v[4:5]
	v_lshlrev_b64 v[4:5], 1, v[30:31]
	v_mbcnt_lo_u32_b32 v2, -1, 0
	s_add_u32 s22, s36, 0xff
	s_mul_i32 s5, s27, s3
	s_mul_hi_u32 s6, s26, s3
	v_lshlrev_b64 v[6:7], 1, v[6:7]
	v_lshl_add_u64 v[90:91], s[28:29], 0, v[4:5]
	v_lshl_add_u64 v[92:93], s[30:31], 0, v[4:5]
	v_lshlrev_b64 v[4:5], 1, v[32:33]
	v_mbcnt_hi_u32_b32 v2, -1, v2
	s_addc_u32 s23, 0, 0
	s_add_i32 s7, s6, s5
	s_mul_i32 s6, s26, s3
	v_lshl_add_u64 v[114:115], s[28:29], 0, v[6:7]
	v_lshl_add_u64 v[116:117], s[30:31], 0, v[6:7]
	;; [unrolled: 1-line block ×4, first 2 shown]
	s_movk_i32 s28, 0xff01
	s_movk_i32 s30, 0xff02
	;; [unrolled: 1-line block ×16, first 2 shown]
	v_lshlrev_b32_e32 v2, 2, v2
	s_mov_b32 s4, 0
	s_lshl_b64 s[38:39], s[6:7], 1
	s_mov_b32 s29, -1
	s_mov_b32 s31, -1
	;; [unrolled: 1-line block ×16, first 2 shown]
	v_and_b32_e32 v100, 0x100, v2
	v_mov_b32_e32 v101, 0
.LBB197_86:                             ; =>This Inner Loop Header: Depth=1
	v_mov_b64_e32 v[4:5], s[24:25]
	v_cmp_ge_i64_e32 vcc, s[22:23], v[4:5]
	scratch_load_dwordx2 v[4:5], off, off offset:212 ; 8-byte Folded Reload
	s_waitcnt vmcnt(0)
	v_lshl_add_u64 v[98:99], v[4:5], 0, s[22:23]
	s_cbranch_vccz .LBB197_124
; %bb.87:                               ;   in Loop: Header=BB197_86 Depth=1
	scratch_load_dword v4, off, off offset:208 ; 4-byte Folded Reload
	s_load_dword s5, s[20:21], 0xc
	v_mov_b32_e32 v2, v103
	v_and_b32_e32 v2, 0x3ff, v2
	v_mov_b32_e32 v102, 0
	s_waitcnt lgkmcnt(0)
	s_and_b32 s5, s5, 0xffff
	s_waitcnt vmcnt(0)
	v_mad_u32_u24 v2, v4, s5, v2
	v_and_b32_e32 v2, 63, v2
	v_cmp_gt_u32_e32 vcc, 16, v2
	s_and_saveexec_b64 s[6:7], vcc
	s_cbranch_execz .LBB197_91
; %bb.88:                               ;   in Loop: Header=BB197_86 Depth=1
	v_lshl_add_u64 v[4:5], v[98:99], 0, v[2:3]
	v_lshl_add_u64 v[4:5], v[4:5], 0, s[28:29]
	v_cmp_gt_i64_e32 vcc, s[24:25], v[4:5]
	v_mov_b32_e32 v102, 0
	s_and_saveexec_b64 s[8:9], vcc
	s_cbranch_execz .LBB197_90
; %bb.89:                               ;   in Loop: Header=BB197_86 Depth=1
	v_lshl_add_u64 v[4:5], v[4:5], 2, s[34:35]
	global_load_dword v102, v[4:5], off
.LBB197_90:                             ;   in Loop: Header=BB197_86 Depth=1
	s_or_b64 exec, exec, s[8:9]
.LBB197_91:                             ;   in Loop: Header=BB197_86 Depth=1
	s_or_b64 exec, exec, s[6:7]
	s_mov_b32 s18, s4
	s_mov_b32 s19, s4
	;; [unrolled: 1-line block ×15, first 2 shown]
	v_mov_b64_e32 v[32:33], s[18:19]
	v_lshl_add_u64 v[4:5], v[98:99], 0, s[28:29]
	v_mov_b64_e32 v[30:31], s[16:17]
	v_mov_b64_e32 v[28:29], s[14:15]
	;; [unrolled: 1-line block ×8, first 2 shown]
	v_cmp_gt_i64_e32 vcc, s[24:25], v[4:5]
	v_mov_b64_e32 v[46:47], v[30:31]
	v_mov_b64_e32 v[44:45], v[28:29]
	;; [unrolled: 1-line block ×7, first 2 shown]
	s_and_saveexec_b64 s[6:7], vcc
	s_cbranch_execz .LBB197_93
; %bb.92:                               ;   in Loop: Header=BB197_86 Depth=1
	v_lshl_add_u64 v[4:5], v[114:115], 0, v[50:51]
	global_load_ushort v2, v[4:5], off
	v_lshl_add_u64 v[4:5], v[116:117], 0, v[50:51]
	global_load_ushort v18, v[4:5], off
	v_mov_b32_e32 v16, v3
	v_mov_b32_e32 v17, v3
	;; [unrolled: 1-line block ×29, first 2 shown]
	s_waitcnt vmcnt(1)
	v_lshlrev_b32_e32 v2, 16, v2
	v_mov_b64_e32 v[48:49], v[16:17]
	s_waitcnt vmcnt(0)
	v_lshlrev_b32_e32 v18, 16, v18
	v_mov_b64_e32 v[46:47], v[14:15]
	v_mov_b64_e32 v[44:45], v[12:13]
	;; [unrolled: 1-line block ×7, first 2 shown]
.LBB197_93:                             ;   in Loop: Header=BB197_86 Depth=1
	s_or_b64 exec, exec, s[6:7]
	v_lshl_add_u64 v[4:5], v[98:99], 0, s[30:31]
	v_cmp_gt_i64_e32 vcc, s[24:25], v[4:5]
	s_and_saveexec_b64 s[6:7], vcc
	s_cbranch_execz .LBB197_95
; %bb.94:                               ;   in Loop: Header=BB197_86 Depth=1
	v_lshl_add_u64 v[4:5], v[94:95], 0, v[50:51]
	global_load_ushort v2, v[4:5], off
	v_lshl_add_u64 v[4:5], v[96:97], 0, v[50:51]
	global_load_ushort v4, v[4:5], off
	s_waitcnt vmcnt(1)
	v_lshlrev_b32_e32 v35, 16, v2
	s_waitcnt vmcnt(0)
	v_lshlrev_b32_e32 v19, 16, v4
.LBB197_95:                             ;   in Loop: Header=BB197_86 Depth=1
	s_or_b64 exec, exec, s[6:7]
	v_lshl_add_u64 v[4:5], v[98:99], 0, s[40:41]
	v_cmp_gt_i64_e32 vcc, s[24:25], v[4:5]
	s_and_saveexec_b64 s[6:7], vcc
	s_cbranch_execz .LBB197_97
; %bb.96:                               ;   in Loop: Header=BB197_86 Depth=1
	v_lshl_add_u64 v[4:5], v[90:91], 0, v[50:51]
	global_load_ushort v2, v[4:5], off
	v_lshl_add_u64 v[4:5], v[92:93], 0, v[50:51]
	global_load_ushort v4, v[4:5], off
	s_waitcnt vmcnt(1)
	v_lshlrev_b32_e32 v36, 16, v2
	s_waitcnt vmcnt(0)
	v_lshlrev_b32_e32 v20, 16, v4
.LBB197_97:                             ;   in Loop: Header=BB197_86 Depth=1
	;; [unrolled: 15-line block ×3, first 2 shown]
	s_or_b64 exec, exec, s[6:7]
	v_lshl_add_u64 v[4:5], v[98:99], 0, s[44:45]
	v_cmp_gt_i64_e32 vcc, s[24:25], v[4:5]
	s_and_saveexec_b64 s[6:7], vcc
	s_cbranch_execz .LBB197_101
; %bb.100:                              ;   in Loop: Header=BB197_86 Depth=1
	v_lshl_add_u64 v[4:5], v[82:83], 0, v[50:51]
	global_load_ushort v2, v[4:5], off
	v_lshl_add_u64 v[4:5], v[84:85], 0, v[50:51]
	global_load_ushort v4, v[4:5], off
	s_waitcnt vmcnt(1)
	v_lshlrev_b32_e32 v38, 16, v2
	s_waitcnt vmcnt(0)
	v_lshlrev_b32_e32 v22, 16, v4
.LBB197_101:                            ;   in Loop: Header=BB197_86 Depth=1
	s_or_b64 exec, exec, s[6:7]
	v_lshl_add_u64 v[4:5], v[98:99], 0, s[46:47]
	v_cmp_gt_i64_e32 vcc, s[24:25], v[4:5]
	s_and_saveexec_b64 s[6:7], vcc
	s_cbranch_execz .LBB197_103
; %bb.102:                              ;   in Loop: Header=BB197_86 Depth=1
	v_lshl_add_u64 v[4:5], v[78:79], 0, v[50:51]
	global_load_ushort v2, v[4:5], off
	v_lshl_add_u64 v[4:5], v[80:81], 0, v[50:51]
	global_load_ushort v4, v[4:5], off
	s_waitcnt vmcnt(1)
	v_lshlrev_b32_e32 v39, 16, v2
	s_waitcnt vmcnt(0)
	v_lshlrev_b32_e32 v23, 16, v4
.LBB197_103:                            ;   in Loop: Header=BB197_86 Depth=1
	;; [unrolled: 15-line block ×12, first 2 shown]
	s_or_b64 exec, exec, s[6:7]
	s_waitcnt vmcnt(0)
	ds_bpermute_b32 v2, v100, v102
	v_mul_f32_e32 v4, v18, v34
	v_mul_f32_e32 v5, v19, v35
	ds_bpermute_b32 v6, v100, v102 offset:16
	ds_bpermute_b32 v7, v100, v102 offset:20
	s_waitcnt lgkmcnt(2)
	v_fma_f32 v2, v4, v2, v101
	ds_bpermute_b32 v4, v100, v102 offset:4
	v_pk_mul_f32 v[16:17], v[22:23], v[38:39]
	v_pk_mul_f32 v[14:15], v[24:25], v[40:41]
	s_waitcnt lgkmcnt(1)
	v_pk_mul_f32 v[6:7], v[16:17], v[6:7]
	v_pk_mul_f32 v[12:13], v[26:27], v[42:43]
	s_waitcnt lgkmcnt(0)
	v_fmac_f32_e32 v2, v5, v4
	ds_bpermute_b32 v4, v100, v102 offset:8
	v_mul_f32_e32 v5, v20, v36
	v_pk_mul_f32 v[10:11], v[28:29], v[44:45]
	v_pk_mul_f32 v[8:9], v[30:31], v[46:47]
	s_waitcnt lgkmcnt(0)
	v_fmac_f32_e32 v2, v5, v4
	ds_bpermute_b32 v4, v100, v102 offset:12
	v_mul_f32_e32 v5, v21, v37
	s_waitcnt lgkmcnt(0)
	v_fmac_f32_e32 v2, v5, v4
	v_add_f32_e32 v2, v2, v6
	v_add_f32_e32 v2, v2, v7
	ds_bpermute_b32 v6, v100, v102 offset:24
	ds_bpermute_b32 v7, v100, v102 offset:28
	v_pk_mul_f32 v[4:5], v[32:33], v[48:49]
	s_waitcnt lgkmcnt(0)
	v_pk_mul_f32 v[6:7], v[14:15], v[6:7]
	s_nop 0
	v_add_f32_e32 v2, v2, v6
	v_add_f32_e32 v2, v2, v7
	ds_bpermute_b32 v6, v100, v102 offset:32
	ds_bpermute_b32 v7, v100, v102 offset:36
	s_waitcnt lgkmcnt(0)
	v_pk_mul_f32 v[6:7], v[12:13], v[6:7]
	s_nop 0
	v_add_f32_e32 v2, v2, v6
	v_add_f32_e32 v2, v2, v7
	ds_bpermute_b32 v6, v100, v102 offset:40
	ds_bpermute_b32 v7, v100, v102 offset:44
	s_waitcnt lgkmcnt(0)
	v_pk_mul_f32 v[6:7], v[10:11], v[6:7]
	s_nop 0
	v_add_f32_e32 v2, v2, v6
	v_add_f32_e32 v2, v2, v7
	ds_bpermute_b32 v6, v100, v102 offset:48
	ds_bpermute_b32 v7, v100, v102 offset:52
	s_waitcnt lgkmcnt(0)
	v_pk_mul_f32 v[6:7], v[8:9], v[6:7]
	s_nop 0
	v_add_f32_e32 v2, v2, v6
	v_add_f32_e32 v2, v2, v7
	ds_bpermute_b32 v6, v100, v102 offset:56
	ds_bpermute_b32 v7, v100, v102 offset:60
	s_waitcnt lgkmcnt(0)
	v_pk_mul_f32 v[4:5], v[4:5], v[6:7]
	s_nop 0
	v_add_f32_e32 v2, v2, v4
	v_add_f32_e32 v2, v2, v5
	s_branch .LBB197_130
.LBB197_124:                            ;   in Loop: Header=BB197_86 Depth=1
                                        ; implicit-def: $vgpr2
	s_cbranch_execz .LBB197_130
; %bb.125:                              ;   in Loop: Header=BB197_86 Depth=1
	s_load_dword s5, s[20:21], 0x0
	scratch_load_dword v5, off, off offset:208 ; 4-byte Folded Reload
	v_mov_b32_e32 v4, v103
	v_and_b32_e32 v4, 0x3ff, v4
	v_mov_b32_e32 v6, 0
	s_waitcnt lgkmcnt(0)
	s_cmp_lt_u32 s2, s5
	s_cselect_b32 s5, 12, 18
	s_add_u32 s6, s20, s5
	s_addc_u32 s7, s21, 0
	global_load_ushort v2, v3, s[6:7]
	s_waitcnt vmcnt(0)
	v_mad_u32_u24 v2, v5, v2, v4
	v_and_b32_e32 v2, 63, v2
	v_cmp_gt_u32_e32 vcc, 16, v2
	s_and_saveexec_b64 s[6:7], vcc
	s_cbranch_execz .LBB197_129
; %bb.126:                              ;   in Loop: Header=BB197_86 Depth=1
	v_lshl_add_u64 v[4:5], v[98:99], 0, v[2:3]
	v_lshl_add_u64 v[4:5], v[4:5], 0, s[28:29]
	v_cmp_gt_i64_e32 vcc, s[24:25], v[4:5]
	v_mov_b32_e32 v6, 0
	s_and_saveexec_b64 s[8:9], vcc
	s_cbranch_execz .LBB197_128
; %bb.127:                              ;   in Loop: Header=BB197_86 Depth=1
	v_lshl_add_u64 v[4:5], v[4:5], 2, s[34:35]
	global_load_dword v6, v[4:5], off
.LBB197_128:                            ;   in Loop: Header=BB197_86 Depth=1
	s_or_b64 exec, exec, s[8:9]
.LBB197_129:                            ;   in Loop: Header=BB197_86 Depth=1
	s_or_b64 exec, exec, s[6:7]
	v_lshl_add_u64 v[4:5], v[114:115], 0, v[50:51]
	global_load_ushort v2, v[4:5], off
	v_lshl_add_u64 v[4:5], v[116:117], 0, v[50:51]
	global_load_ushort v7, v[4:5], off
	s_nop 0
	scratch_load_dwordx2 v[4:5], off, off   ; 8-byte Folded Reload
	s_waitcnt vmcnt(3)
	ds_bpermute_b32 v42, v100, v6 offset:12
	s_waitcnt vmcnt(2)
	v_lshlrev_b32_e32 v2, 16, v2
	s_waitcnt vmcnt(1)
	v_lshlrev_b32_e32 v7, 16, v7
	s_waitcnt vmcnt(0)
	v_lshl_add_u64 v[4:5], v[4:5], 0, v[50:51]
	global_load_ushort v14, v[4:5], off
	s_nop 0
	scratch_load_dwordx2 v[4:5], off, off offset:40 ; 8-byte Folded Reload
	v_mul_f32_e32 v2, v2, v7
	s_waitcnt vmcnt(1)
	v_lshlrev_b32_e32 v14, 16, v14
	s_waitcnt vmcnt(0)
	v_lshl_add_u64 v[4:5], v[4:5], 0, v[50:51]
	global_load_ushort v15, v[4:5], off
	s_nop 0
	scratch_load_dwordx2 v[4:5], off, off offset:8 ; 8-byte Folded Reload
	s_waitcnt vmcnt(1)
	v_lshlrev_b32_e32 v15, 16, v15
	s_waitcnt vmcnt(0)
	v_lshl_add_u64 v[4:5], v[4:5], 0, v[50:51]
	global_load_ushort v16, v[4:5], off
	s_nop 0
	scratch_load_dwordx2 v[4:5], off, off offset:56 ; 8-byte Folded Reload
	v_mul_f32_e32 v7, v14, v15
	s_waitcnt vmcnt(1)
	v_lshlrev_b32_e32 v16, 16, v16
	s_waitcnt vmcnt(0)
	v_lshl_add_u64 v[4:5], v[4:5], 0, v[50:51]
	global_load_ushort v17, v[4:5], off
	s_nop 0
	scratch_load_dwordx2 v[4:5], off, off offset:16 ; 8-byte Folded Reload
	;; [unrolled: 15-line block ×3, first 2 shown]
	s_waitcnt vmcnt(1)
	v_lshlrev_b32_e32 v19, 16, v19
	s_waitcnt vmcnt(0)
	v_lshl_add_u64 v[4:5], v[4:5], 0, v[50:51]
	global_load_ushort v20, v[4:5], off
	s_nop 0
	scratch_load_dwordx2 v[4:5], off, off offset:24 ; 8-byte Folded Reload
	scratch_load_dwordx2 v[8:9], off, off offset:72 ; 8-byte Folded Reload
	;; [unrolled: 1-line block ×3, first 2 shown]
	v_mul_f32_e32 v15, v18, v19
	s_waitcnt vmcnt(2)
	v_lshl_add_u64 v[4:5], v[4:5], 0, v[50:51]
	s_waitcnt vmcnt(1)
	v_lshl_add_u64 v[8:9], v[8:9], 0, v[50:51]
	;; [unrolled: 2-line block ×3, first 2 shown]
	global_load_ushort v21, v[4:5], off
	global_load_ushort v22, v[10:11], off
	global_load_ushort v23, v[8:9], off
	s_nop 0
	scratch_load_dwordx2 v[4:5], off, off offset:48 ; 8-byte Folded Reload
	scratch_load_dwordx2 v[8:9], off, off offset:96 ; 8-byte Folded Reload
	scratch_load_dwordx2 v[12:13], off, off offset:104 ; 8-byte Folded Reload
	scratch_load_dwordx2 v[10:11], off, off offset:80 ; 8-byte Folded Reload
	s_waitcnt vmcnt(3)
	v_lshl_add_u64 v[4:5], v[4:5], 0, v[50:51]
	s_waitcnt vmcnt(2)
	v_lshl_add_u64 v[8:9], v[8:9], 0, v[50:51]
	s_waitcnt vmcnt(1)
	v_lshl_add_u64 v[12:13], v[12:13], 0, v[50:51]
	s_waitcnt vmcnt(0)
	v_lshl_add_u64 v[10:11], v[10:11], 0, v[50:51]
	global_load_ushort v24, v[10:11], off
	global_load_ushort v25, v[4:5], off
	global_load_ushort v26, v[12:13], off
	global_load_ushort v27, v[8:9], off
	s_nop 0
	scratch_load_dwordx2 v[4:5], off, off offset:112 ; 8-byte Folded Reload
	scratch_load_dwordx2 v[8:9], off, off offset:120 ; 8-byte Folded Reload
	scratch_load_dwordx2 v[10:11], off, off offset:128 ; 8-byte Folded Reload
	scratch_load_dwordx2 v[12:13], off, off offset:136 ; 8-byte Folded Reload
	s_waitcnt vmcnt(3)
	v_lshl_add_u64 v[4:5], v[4:5], 0, v[50:51]
	s_waitcnt vmcnt(2)
	v_lshl_add_u64 v[8:9], v[8:9], 0, v[50:51]
	s_waitcnt vmcnt(1)
	v_lshl_add_u64 v[10:11], v[10:11], 0, v[50:51]
	s_waitcnt vmcnt(0)
	v_lshl_add_u64 v[12:13], v[12:13], 0, v[50:51]
	global_load_ushort v28, v[10:11], off
	;; [unrolled: 17-line block ×4, first 2 shown]
	global_load_ushort v37, v[4:5], off
	global_load_ushort v38, v[12:13], off
	;; [unrolled: 1-line block ×3, first 2 shown]
	v_lshl_add_u64 v[10:11], v[108:109], 0, v[50:51]
	v_lshl_add_u64 v[12:13], v[110:111], 0, v[50:51]
	;; [unrolled: 1-line block ×4, first 2 shown]
	global_load_ushort v40, v[10:11], off
	global_load_ushort v41, v[4:5], off
	s_nop 0
	global_load_ushort v12, v[12:13], off
	s_nop 0
	global_load_ushort v13, v[8:9], off
	ds_bpermute_b32 v8, v100, v6
	ds_bpermute_b32 v10, v100, v6 offset:4
	ds_bpermute_b32 v11, v100, v6 offset:8
	;; [unrolled: 1-line block ×4, first 2 shown]
	s_waitcnt lgkmcnt(4)
	v_fmac_f32_e32 v101, v2, v8
	s_waitcnt lgkmcnt(3)
	v_fmac_f32_e32 v101, v7, v10
	v_lshlrev_b32_e32 v9, 16, v20
	s_waitcnt lgkmcnt(2)
	v_fmac_f32_e32 v101, v14, v11
	v_lshlrev_b32_e32 v8, 16, v21
	v_lshlrev_b32_e32 v11, 16, v22
	;; [unrolled: 1-line block ×3, first 2 shown]
	v_pk_mul_f32 v[8:9], v[8:9], v[10:11]
	v_fmac_f32_e32 v101, v15, v42
	s_waitcnt lgkmcnt(0)
	v_pk_mul_f32 v[4:5], v[8:9], v[4:5]
	v_lshlrev_b32_e32 v9, 16, v24
	v_add_f32_e32 v2, v101, v4
	v_add_f32_e32 v2, v2, v5
	ds_bpermute_b32 v4, v100, v6 offset:24
	ds_bpermute_b32 v5, v100, v6 offset:28
	v_lshlrev_b32_e32 v8, 16, v25
	v_lshlrev_b32_e32 v11, 16, v26
	;; [unrolled: 1-line block ×3, first 2 shown]
	v_pk_mul_f32 v[8:9], v[8:9], v[10:11]
	v_lshlrev_b32_e32 v11, 16, v30
	s_waitcnt lgkmcnt(0)
	v_pk_mul_f32 v[4:5], v[8:9], v[4:5]
	v_lshlrev_b32_e32 v9, 16, v28
	v_add_f32_e32 v2, v2, v4
	v_add_f32_e32 v2, v2, v5
	ds_bpermute_b32 v4, v100, v6 offset:32
	ds_bpermute_b32 v5, v100, v6 offset:36
	v_lshlrev_b32_e32 v8, 16, v29
	v_lshlrev_b32_e32 v10, 16, v31
	v_pk_mul_f32 v[8:9], v[8:9], v[10:11]
	v_lshlrev_b32_e32 v11, 16, v34
	s_waitcnt lgkmcnt(0)
	v_pk_mul_f32 v[4:5], v[8:9], v[4:5]
	v_lshlrev_b32_e32 v9, 16, v32
	v_add_f32_e32 v2, v2, v4
	v_add_f32_e32 v2, v2, v5
	ds_bpermute_b32 v4, v100, v6 offset:40
	ds_bpermute_b32 v5, v100, v6 offset:44
	v_lshlrev_b32_e32 v8, 16, v33
	v_lshlrev_b32_e32 v10, 16, v35
	v_pk_mul_f32 v[8:9], v[8:9], v[10:11]
	s_waitcnt vmcnt(5)
	v_lshlrev_b32_e32 v11, 16, v38
	s_waitcnt lgkmcnt(0)
	v_pk_mul_f32 v[4:5], v[8:9], v[4:5]
	v_lshlrev_b32_e32 v9, 16, v36
	v_add_f32_e32 v2, v2, v4
	v_add_f32_e32 v2, v2, v5
	ds_bpermute_b32 v4, v100, v6 offset:48
	ds_bpermute_b32 v5, v100, v6 offset:52
	v_lshlrev_b32_e32 v8, 16, v37
	s_waitcnt vmcnt(4)
	v_lshlrev_b32_e32 v10, 16, v39
	v_pk_mul_f32 v[8:9], v[8:9], v[10:11]
	s_waitcnt vmcnt(3)
	v_lshlrev_b32_e32 v7, 16, v40
	s_waitcnt lgkmcnt(0)
	v_pk_mul_f32 v[4:5], v[8:9], v[4:5]
	s_waitcnt vmcnt(1)
	v_lshlrev_b32_e32 v9, 16, v12
	v_add_f32_e32 v2, v2, v4
	v_add_f32_e32 v2, v2, v5
	ds_bpermute_b32 v4, v100, v6 offset:56
	ds_bpermute_b32 v5, v100, v6 offset:60
	v_lshlrev_b32_e32 v6, 16, v41
	s_waitcnt vmcnt(0)
	v_lshlrev_b32_e32 v8, 16, v13
	v_pk_mul_f32 v[6:7], v[6:7], v[8:9]
	s_waitcnt lgkmcnt(0)
	v_pk_mul_f32 v[4:5], v[6:7], v[4:5]
	s_nop 0
	v_add_f32_e32 v2, v2, v4
	v_add_f32_e32 v2, v2, v5
.LBB197_130:                            ;   in Loop: Header=BB197_86 Depth=1
	s_add_u32 s36, s36, s3
	s_addc_u32 s37, s37, 0
	v_mov_b64_e32 v[4:5], s[24:25]
	v_cmp_ge_i64_e32 vcc, s[36:37], v[4:5]
	scratch_load_dwordx2 v[4:5], off, off   ; 8-byte Folded Reload
	s_add_u32 s22, s22, s3
	s_addc_u32 s23, s23, 0
	v_lshl_add_u64 v[104:105], v[104:105], 0, s[38:39]
	v_lshl_add_u64 v[108:109], v[108:109], 0, s[38:39]
	;; [unrolled: 1-line block ×36, first 2 shown]
	s_and_b64 vcc, exec, vcc
	s_waitcnt vmcnt(0)
	v_lshl_add_u64 v[4:5], v[4:5], 0, s[38:39]
	scratch_store_dwordx2 off, v[4:5], off  ; 8-byte Folded Spill
	scratch_load_dwordx2 v[4:5], off, off offset:8 ; 8-byte Folded Reload
	s_waitcnt vmcnt(0)
	v_lshl_add_u64 v[4:5], v[4:5], 0, s[38:39]
	scratch_store_dwordx2 off, v[4:5], off offset:8 ; 8-byte Folded Spill
	scratch_load_dwordx2 v[4:5], off, off offset:16 ; 8-byte Folded Reload
	s_waitcnt vmcnt(0)
	v_lshl_add_u64 v[4:5], v[4:5], 0, s[38:39]
	scratch_store_dwordx2 off, v[4:5], off offset:16 ; 8-byte Folded Spill
	;; [unrolled: 4-line block ×25, first 2 shown]
	s_cbranch_vccnz .LBB197_132
; %bb.131:                              ;   in Loop: Header=BB197_86 Depth=1
	v_mov_b32_e32 v101, v2
	s_branch .LBB197_86
.LBB197_132:
	v_bfe_u32 v0, v103, 10, 10
	v_and_b32_e32 v4, 0x3ff, v103
	s_movk_i32 s3, 0x41
	v_mad_u32_u24 v1, v0, s3, v4
	v_lshl_add_u32 v1, v1, 2, 0
	ds_write_b32 v1, v2
	v_mov_b32_e32 v3, 0
	v_lshrrev_b32_e32 v2, 6, v4
	ds_write_b32 v1, v3 offset:4160
	v_add_u32_e32 v1, v2, v0
	s_mov_b32 s3, 0
	v_cmp_gt_u32_e32 vcc, 64, v1
	s_waitcnt lgkmcnt(0)
	s_barrier
	s_and_saveexec_b64 s[4:5], vcc
	s_cbranch_execz .LBB197_139
; %bb.133:
	v_mbcnt_lo_u32_b32 v6, -1, 0
	v_mbcnt_hi_u32_b32 v7, -1, v6
	v_and_b32_e32 v6, 64, v7
	s_load_dwordx2 s[10:11], s[0:1], 0x30
	v_and_b32_e32 v5, 63, v4
	v_add_u32_e32 v8, 64, v6
	v_cmp_ne_u32_e64 s[0:1], 0, v4
	v_xor_b32_e32 v4, 8, v7
	v_cmp_gt_u32_e32 vcc, 16, v5
	s_lshl_b64 s[4:5], s[2:3], 6
	v_mul_u32_u24_e32 v9, 0x104, v5
	v_cmp_lt_i32_e64 s[2:3], v4, v8
	v_xor_b32_e32 v5, 4, v7
	v_xor_b32_e32 v6, 2, v7
	v_cndmask_b32_e64 v4, v7, v4, s[2:3]
	v_cmp_lt_i32_e64 s[2:3], v5, v8
	v_xor_b32_e32 v10, 1, v7
	v_lshlrev_b32_e32 v1, 2, v1
	v_cndmask_b32_e64 v5, v7, v5, s[2:3]
	v_cmp_lt_i32_e64 s[2:3], v6, v8
	s_waitcnt lgkmcnt(0)
	s_cmp_eq_u64 s[10:11], 0
	s_mov_b64 s[6:7], 0
	v_cndmask_b32_e64 v6, v7, v6, s[2:3]
	v_cmp_lt_i32_e64 s[2:3], v10, v8
	v_add3_u32 v8, v9, v1, 0
	v_mov_b32_e32 v1, v3
	v_lshl_add_u64 v[0:1], v[2:3], 0, v[0:1]
	v_cndmask_b32_e64 v7, v7, v10, s[2:3]
	v_lshl_add_u64 v[2:3], v[0:1], 0, s[4:5]
	s_cselect_b64 s[8:9], -1, 0
	v_lshlrev_b32_e32 v4, 2, v4
	v_lshlrev_b32_e32 v5, 2, v5
	;; [unrolled: 1-line block ×4, first 2 shown]
	v_lshl_add_u64 v[2:3], v[2:3], 1, s[10:11]
	s_movk_i32 s12, 0x7fff
	v_mov_b32_e32 v9, 0x7fc0
                                        ; implicit-def: $vgpr10
	s_branch .LBB197_135
.LBB197_134:                            ;   in Loop: Header=BB197_135 Depth=1
	s_or_b64 exec, exec, s[10:11]
	v_lshl_add_u64 v[0:1], v[0:1], 0, 16
	v_add_u32_e32 v11, -16, v0
	v_cmp_lt_u32_e64 s[2:3], 47, v11
	v_add_u32_e32 v8, 64, v8
	s_or_b64 s[6:7], s[2:3], s[6:7]
	v_lshl_add_u64 v[2:3], v[2:3], 0, 32
	s_andn2_b64 exec, exec, s[6:7]
	s_cbranch_execz .LBB197_139
.LBB197_135:                            ; =>This Inner Loop Header: Depth=1
	s_and_saveexec_b64 s[2:3], vcc
	s_cbranch_execz .LBB197_137
; %bb.136:                              ;   in Loop: Header=BB197_135 Depth=1
	ds_read_b32 v10, v8
.LBB197_137:                            ;   in Loop: Header=BB197_135 Depth=1
	s_or_b64 exec, exec, s[2:3]
	s_waitcnt lgkmcnt(0)
	ds_bpermute_b32 v11, v4, v10
	s_waitcnt lgkmcnt(0)
	v_add_f32_e32 v10, v10, v11
	ds_bpermute_b32 v11, v5, v10
	s_waitcnt lgkmcnt(0)
	v_add_f32_e32 v10, v10, v11
	;; [unrolled: 3-line block ×3, first 2 shown]
	ds_bpermute_b32 v13, v7, v12
	v_lshl_add_u64 v[10:11], s[4:5], 0, v[0:1]
	v_cmp_le_i64_e64 s[2:3], s[26:27], v[10:11]
	s_or_b64 s[2:3], s[0:1], s[2:3]
	s_or_b64 s[2:3], s[8:9], s[2:3]
	s_waitcnt lgkmcnt(0)
	v_add_f32_e32 v10, v12, v13
	s_xor_b64 s[2:3], s[2:3], -1
	s_and_saveexec_b64 s[10:11], s[2:3]
	s_cbranch_execz .LBB197_134
; %bb.138:                              ;   in Loop: Header=BB197_135 Depth=1
	v_bfe_u32 v11, v10, 16, 1
	v_add3_u32 v11, v10, v11, s12
	v_lshrrev_b32_e32 v11, 16, v11
	v_cmp_o_f32_e64 s[2:3], v10, v10
	s_nop 1
	v_cndmask_b32_e64 v11, v9, v11, s[2:3]
	global_store_short v[2:3], v11, off
	s_branch .LBB197_134
.LBB197_139:
	s_endpgm
	.section	.rodata,"a",@progbits
	.p2align	6, 0x0
	.amdhsa_kernel _ZN2at6native12_GLOBAL__N_135GammaBetaBackwardCUDAKernelTemplateIN3c108BFloat16EfLj64ELj16ELj256ELb0ELb0ELb1EEEvllPKT_S7_PKT0_SA_PS5_SB_
		.amdhsa_group_segment_fixed_size 0
		.amdhsa_private_segment_fixed_size 224
		.amdhsa_kernarg_size 320
		.amdhsa_user_sgpr_count 2
		.amdhsa_user_sgpr_dispatch_ptr 0
		.amdhsa_user_sgpr_queue_ptr 0
		.amdhsa_user_sgpr_kernarg_segment_ptr 1
		.amdhsa_user_sgpr_dispatch_id 0
		.amdhsa_user_sgpr_kernarg_preload_length 0
		.amdhsa_user_sgpr_kernarg_preload_offset 0
		.amdhsa_user_sgpr_private_segment_size 0
		.amdhsa_uses_dynamic_stack 0
		.amdhsa_enable_private_segment 1
		.amdhsa_system_sgpr_workgroup_id_x 1
		.amdhsa_system_sgpr_workgroup_id_y 1
		.amdhsa_system_sgpr_workgroup_id_z 0
		.amdhsa_system_sgpr_workgroup_info 0
		.amdhsa_system_vgpr_workitem_id 1
		.amdhsa_next_free_vgpr 128
		.amdhsa_next_free_sgpr 80
		.amdhsa_accum_offset 128
		.amdhsa_reserve_vcc 1
		.amdhsa_float_round_mode_32 0
		.amdhsa_float_round_mode_16_64 0
		.amdhsa_float_denorm_mode_32 3
		.amdhsa_float_denorm_mode_16_64 3
		.amdhsa_dx10_clamp 1
		.amdhsa_ieee_mode 1
		.amdhsa_fp16_overflow 0
		.amdhsa_tg_split 0
		.amdhsa_exception_fp_ieee_invalid_op 0
		.amdhsa_exception_fp_denorm_src 0
		.amdhsa_exception_fp_ieee_div_zero 0
		.amdhsa_exception_fp_ieee_overflow 0
		.amdhsa_exception_fp_ieee_underflow 0
		.amdhsa_exception_fp_ieee_inexact 0
		.amdhsa_exception_int_div_zero 0
	.end_amdhsa_kernel
	.section	.text._ZN2at6native12_GLOBAL__N_135GammaBetaBackwardCUDAKernelTemplateIN3c108BFloat16EfLj64ELj16ELj256ELb0ELb0ELb1EEEvllPKT_S7_PKT0_SA_PS5_SB_,"axG",@progbits,_ZN2at6native12_GLOBAL__N_135GammaBetaBackwardCUDAKernelTemplateIN3c108BFloat16EfLj64ELj16ELj256ELb0ELb0ELb1EEEvllPKT_S7_PKT0_SA_PS5_SB_,comdat
.Lfunc_end197:
	.size	_ZN2at6native12_GLOBAL__N_135GammaBetaBackwardCUDAKernelTemplateIN3c108BFloat16EfLj64ELj16ELj256ELb0ELb0ELb1EEEvllPKT_S7_PKT0_SA_PS5_SB_, .Lfunc_end197-_ZN2at6native12_GLOBAL__N_135GammaBetaBackwardCUDAKernelTemplateIN3c108BFloat16EfLj64ELj16ELj256ELb0ELb0ELb1EEEvllPKT_S7_PKT0_SA_PS5_SB_
                                        ; -- End function
	.section	.AMDGPU.csdata,"",@progbits
; Kernel info:
; codeLenInByte = 13124
; NumSgprs: 86
; NumVgprs: 128
; NumAgprs: 0
; TotalNumVgprs: 128
; ScratchSize: 224
; MemoryBound: 0
; FloatMode: 240
; IeeeMode: 1
; LDSByteSize: 0 bytes/workgroup (compile time only)
; SGPRBlocks: 10
; VGPRBlocks: 15
; NumSGPRsForWavesPerEU: 86
; NumVGPRsForWavesPerEU: 128
; AccumOffset: 128
; Occupancy: 4
; WaveLimiterHint : 0
; COMPUTE_PGM_RSRC2:SCRATCH_EN: 1
; COMPUTE_PGM_RSRC2:USER_SGPR: 2
; COMPUTE_PGM_RSRC2:TRAP_HANDLER: 0
; COMPUTE_PGM_RSRC2:TGID_X_EN: 1
; COMPUTE_PGM_RSRC2:TGID_Y_EN: 1
; COMPUTE_PGM_RSRC2:TGID_Z_EN: 0
; COMPUTE_PGM_RSRC2:TIDIG_COMP_CNT: 1
; COMPUTE_PGM_RSRC3_GFX90A:ACCUM_OFFSET: 31
; COMPUTE_PGM_RSRC3_GFX90A:TG_SPLIT: 0
	.section	.text._ZN2at6native12_GLOBAL__N_135GammaBetaBackwardCUDAKernelTemplateIN3c108BFloat16EfLj32ELj1ELj32ELb1ELb1ELb1EEEvllPKT_S7_PKT0_SA_PS5_SB_,"axG",@progbits,_ZN2at6native12_GLOBAL__N_135GammaBetaBackwardCUDAKernelTemplateIN3c108BFloat16EfLj32ELj1ELj32ELb1ELb1ELb1EEEvllPKT_S7_PKT0_SA_PS5_SB_,comdat
	.globl	_ZN2at6native12_GLOBAL__N_135GammaBetaBackwardCUDAKernelTemplateIN3c108BFloat16EfLj32ELj1ELj32ELb1ELb1ELb1EEEvllPKT_S7_PKT0_SA_PS5_SB_ ; -- Begin function _ZN2at6native12_GLOBAL__N_135GammaBetaBackwardCUDAKernelTemplateIN3c108BFloat16EfLj32ELj1ELj32ELb1ELb1ELb1EEEvllPKT_S7_PKT0_SA_PS5_SB_
	.p2align	8
	.type	_ZN2at6native12_GLOBAL__N_135GammaBetaBackwardCUDAKernelTemplateIN3c108BFloat16EfLj32ELj1ELj32ELb1ELb1ELb1EEEvllPKT_S7_PKT0_SA_PS5_SB_,@function
_ZN2at6native12_GLOBAL__N_135GammaBetaBackwardCUDAKernelTemplateIN3c108BFloat16EfLj32ELj1ELj32ELb1ELb1ELb1EEEvllPKT_S7_PKT0_SA_PS5_SB_: ; @_ZN2at6native12_GLOBAL__N_135GammaBetaBackwardCUDAKernelTemplateIN3c108BFloat16EfLj32ELj1ELj32ELb1ELb1ELb1EEEvllPKT_S7_PKT0_SA_PS5_SB_
; %bb.0:
	s_load_dwordx4 s[8:11], s[0:1], 0x0
	s_load_dwordx2 s[16:17], s[0:1], 0x30
	s_lshl_b32 s18, s3, 5
	s_mov_b32 s19, 0
	s_mov_b32 s6, s3
	s_waitcnt lgkmcnt(0)
	v_mov_b64_e32 v[2:3], s[8:9]
	v_cmp_ge_i64_e32 vcc, s[18:19], v[2:3]
	v_mov_b32_e32 v13, 0
	v_bfe_u32 v2, v0, 10, 10
	s_cbranch_vccnz .LBB198_7
; %bb.1:
	s_load_dword s3, s[0:1], 0x4c
	s_load_dword s7, s[0:1], 0x44
	s_load_dwordx4 s[12:15], s[0:1], 0x10
	s_load_dwordx2 s[22:23], s[0:1], 0x28
	v_and_b32_e32 v1, 0x3ff, v0
	s_waitcnt lgkmcnt(0)
	s_and_b32 s3, s3, 0xffff
	v_mad_u32_u24 v3, v2, s3, v1
	v_lshlrev_b32_e32 v12, 5, v2
	v_mov_b32_e32 v13, 0
	v_lshl_or_b32 v8, s2, 5, v1
	v_mbcnt_lo_u32_b32 v1, -1, 0
	v_and_b32_e32 v4, 63, v3
	v_mov_b32_e32 v5, v13
	v_mbcnt_hi_u32_b32 v1, -1, v1
	s_lshl_b32 s20, s7, 5
	v_lshl_add_u64 v[10:11], v[12:13], 0, s[18:19]
	v_cmp_gt_u32_e64 s[4:5], 32, v4
	v_mov_b32_e32 v9, v13
	v_lshlrev_b32_e32 v1, 2, v1
	v_lshl_add_u64 v[4:5], v[10:11], 0, v[4:5]
	v_mul_lo_u32 v12, s11, v10
	v_mul_lo_u32 v44, s10, v11
	v_mad_u64_u32 v[10:11], s[24:25], s10, v10, 0
	s_mul_i32 s3, s11, s20
	s_mul_hi_u32 s7, s10, s20
	v_and_b32_e32 v1, 0x100, v1
	s_mov_b32 s21, s19
	v_add3_u32 v11, v11, v44, v12
	v_lshlrev_b64 v[8:9], 1, v[8:9]
	s_add_i32 s25, s7, s3
	s_mul_i32 s24, s10, s20
	v_or_b32_e32 v3, 4, v1
	v_or_b32_e32 v14, 8, v1
	;; [unrolled: 1-line block ×31, first 2 shown]
	v_lshl_add_u64 v[6:7], v[4:5], 2, s[22:23]
	s_lshl_b64 s[22:23], s[20:21], 2
	v_lshl_add_u64 v[8:9], v[10:11], 1, v[8:9]
	s_lshl_b64 s[24:25], s[24:25], 1
	s_lshl_b64 s[26:27], s[10:11], 1
	v_mov_b64_e32 v[10:11], s[8:9]
	s_branch .LBB198_4
.LBB198_2:                              ;   in Loop: Header=BB198_4 Depth=1
	s_or_b64 exec, exec, s[30:31]
.LBB198_3:                              ;   in Loop: Header=BB198_4 Depth=1
	s_or_b64 exec, exec, s[28:29]
	v_lshl_add_u64 v[44:45], s[12:13], 0, v[8:9]
	v_lshl_add_u64 v[46:47], s[14:15], 0, v[8:9]
	global_load_ushort v48, v[44:45], off
	global_load_ushort v49, v[46:47], off
	v_lshl_add_u64 v[44:45], v[44:45], 0, s[26:27]
	v_lshl_add_u64 v[46:47], v[46:47], 0, s[26:27]
	global_load_ushort v50, v[44:45], off
	global_load_ushort v51, v[46:47], off
	;; [unrolled: 4-line block ×6, first 2 shown]
	s_waitcnt vmcnt(12)
	ds_bpermute_b32 v60, v1, v12
	v_lshl_add_u64 v[44:45], v[44:45], 0, s[26:27]
	v_lshl_add_u64 v[46:47], v[46:47], 0, s[26:27]
	s_add_u32 s18, s18, s20
	s_addc_u32 s19, s19, 0
	v_cmp_lt_i64_e32 vcc, s[18:19], v[10:11]
	v_lshl_add_u64 v[6:7], v[6:7], 0, s[22:23]
	v_lshl_add_u64 v[4:5], v[4:5], 0, s[20:21]
	;; [unrolled: 1-line block ×3, first 2 shown]
	s_and_b64 vcc, exec, vcc
	s_waitcnt vmcnt(11)
	v_lshlrev_b32_e32 v48, 16, v48
	s_waitcnt vmcnt(10)
	v_lshlrev_b32_e32 v49, 16, v49
	v_mul_f32_e32 v48, v48, v49
	ds_bpermute_b32 v49, v3, v12
	s_waitcnt vmcnt(9)
	v_lshlrev_b32_e32 v50, 16, v50
	s_waitcnt vmcnt(8)
	v_lshlrev_b32_e32 v51, 16, v51
	s_waitcnt lgkmcnt(1)
	v_fmac_f32_e32 v13, v48, v60
	v_mul_f32_e32 v50, v50, v51
	global_load_ushort v51, v[44:45], off
	s_waitcnt lgkmcnt(0)
	v_fmac_f32_e32 v13, v50, v49
	global_load_ushort v49, v[46:47], off
	ds_bpermute_b32 v48, v14, v12
	ds_bpermute_b32 v60, v15, v12
	v_lshl_add_u64 v[44:45], v[44:45], 0, s[26:27]
	v_lshl_add_u64 v[46:47], v[46:47], 0, s[26:27]
	s_waitcnt vmcnt(9)
	v_lshlrev_b32_e32 v52, 16, v52
	s_waitcnt vmcnt(8)
	v_lshlrev_b32_e32 v53, 16, v53
	global_load_ushort v50, v[44:45], off
	v_mul_f32_e32 v52, v52, v53
	global_load_ushort v53, v[46:47], off
	s_waitcnt vmcnt(9)
	v_lshlrev_b32_e32 v54, 16, v54
	s_waitcnt vmcnt(8)
	v_lshlrev_b32_e32 v55, 16, v55
	s_waitcnt lgkmcnt(1)
	v_fmac_f32_e32 v13, v52, v48
	v_mul_f32_e32 v54, v54, v55
	v_lshl_add_u64 v[44:45], v[44:45], 0, s[26:27]
	s_waitcnt lgkmcnt(0)
	v_fmac_f32_e32 v13, v54, v60
	ds_bpermute_b32 v60, v16, v12
	v_lshl_add_u64 v[46:47], v[46:47], 0, s[26:27]
	global_load_ushort v48, v[44:45], off
	global_load_ushort v52, v[46:47], off
	v_lshl_add_u64 v[44:45], v[44:45], 0, s[26:27]
	s_waitcnt vmcnt(9)
	v_lshlrev_b32_e32 v56, 16, v56
	s_waitcnt vmcnt(8)
	v_lshlrev_b32_e32 v57, 16, v57
	v_lshl_add_u64 v[46:47], v[46:47], 0, s[26:27]
	global_load_ushort v55, v[44:45], off
	v_mul_f32_e32 v56, v56, v57
	v_lshl_add_u64 v[44:45], v[44:45], 0, s[26:27]
	global_load_ushort v54, v[46:47], off
	v_lshl_add_u64 v[46:47], v[46:47], 0, s[26:27]
	s_waitcnt lgkmcnt(0)
	v_fmac_f32_e32 v13, v56, v60
	global_load_ushort v56, v[44:45], off
	global_load_ushort v60, v[46:47], off
	ds_bpermute_b32 v57, v17, v12
	s_waitcnt vmcnt(11)
	v_lshlrev_b32_e32 v58, 16, v58
	s_waitcnt vmcnt(10)
	v_lshlrev_b32_e32 v59, 16, v59
	v_lshl_add_u64 v[44:45], v[44:45], 0, s[26:27]
	v_lshl_add_u64 v[46:47], v[46:47], 0, s[26:27]
	v_mul_f32_e32 v58, v58, v59
	global_load_ushort v59, v[44:45], off
	s_waitcnt lgkmcnt(0)
	v_fmac_f32_e32 v13, v58, v57
	global_load_ushort v57, v[46:47], off
	ds_bpermute_b32 v58, v18, v12
	v_lshl_add_u64 v[44:45], v[44:45], 0, s[26:27]
	v_lshl_add_u64 v[46:47], v[46:47], 0, s[26:27]
	s_waitcnt vmcnt(11)
	v_lshlrev_b32_e32 v51, 16, v51
	s_waitcnt vmcnt(10)
	v_lshlrev_b32_e32 v49, 16, v49
	v_mul_f32_e32 v49, v51, v49
	s_waitcnt lgkmcnt(0)
	v_fmac_f32_e32 v13, v49, v58
	ds_bpermute_b32 v58, v19, v12
	global_load_ushort v51, v[44:45], off
	global_load_ushort v49, v[46:47], off
	v_lshl_add_u64 v[44:45], v[44:45], 0, s[26:27]
	s_waitcnt vmcnt(11)
	v_lshlrev_b32_e32 v50, 16, v50
	v_lshl_add_u64 v[46:47], v[46:47], 0, s[26:27]
	s_waitcnt vmcnt(10)
	v_lshlrev_b32_e32 v53, 16, v53
	v_mul_f32_e32 v50, v50, v53
	s_waitcnt lgkmcnt(0)
	v_fmac_f32_e32 v13, v50, v58
	ds_bpermute_b32 v58, v20, v12
	global_load_ushort v53, v[44:45], off
	global_load_ushort v50, v[46:47], off
	v_lshl_add_u64 v[44:45], v[44:45], 0, s[26:27]
	v_lshl_add_u64 v[46:47], v[46:47], 0, s[26:27]
	s_waitcnt vmcnt(11)
	v_lshlrev_b32_e32 v48, 16, v48
	s_waitcnt vmcnt(10)
	v_lshlrev_b32_e32 v52, 16, v52
	v_mul_f32_e32 v48, v48, v52
	s_waitcnt lgkmcnt(0)
	v_fmac_f32_e32 v13, v48, v58
	ds_bpermute_b32 v58, v21, v12
	global_load_ushort v52, v[44:45], off
	s_waitcnt vmcnt(10)
	v_lshlrev_b32_e32 v55, 16, v55
	global_load_ushort v48, v[46:47], off
	v_lshl_add_u64 v[44:45], v[44:45], 0, s[26:27]
	s_waitcnt vmcnt(10)
	v_lshlrev_b32_e32 v54, 16, v54
	v_mul_f32_e32 v54, v55, v54
	s_waitcnt vmcnt(9)
	v_lshlrev_b32_e32 v56, 16, v56
	s_waitcnt vmcnt(8)
	v_lshlrev_b32_e32 v60, 16, v60
	v_mul_f32_e32 v56, v56, v60
	ds_bpermute_b32 v60, v22, v12
	v_lshl_add_u64 v[46:47], v[46:47], 0, s[26:27]
	global_load_ushort v55, v[44:45], off
	s_waitcnt lgkmcnt(1)
	v_fmac_f32_e32 v13, v54, v58
	global_load_ushort v54, v[46:47], off
	v_lshl_add_u64 v[44:45], v[44:45], 0, s[26:27]
	global_load_ushort v58, v[44:45], off
	s_waitcnt vmcnt(10)
	v_lshlrev_b32_e32 v59, 16, v59
	s_waitcnt vmcnt(9)
	v_lshlrev_b32_e32 v57, 16, v57
	v_lshl_add_u64 v[46:47], v[46:47], 0, s[26:27]
	s_waitcnt lgkmcnt(0)
	v_fmac_f32_e32 v13, v56, v60
	ds_bpermute_b32 v60, v23, v12
	v_lshl_add_u64 v[44:45], v[44:45], 0, s[26:27]
	global_load_ushort v56, v[46:47], off
	v_mul_f32_e32 v57, v59, v57
	global_load_ushort v59, v[44:45], off
	v_lshl_add_u64 v[46:47], v[46:47], 0, s[26:27]
	s_waitcnt lgkmcnt(0)
	v_fmac_f32_e32 v13, v57, v60
	global_load_ushort v57, v[46:47], off
	ds_bpermute_b32 v60, v24, v12
	v_lshl_add_u64 v[46:47], v[46:47], 0, s[26:27]
	v_lshl_add_u64 v[44:45], v[44:45], 0, s[26:27]
	global_load_ushort v61, v[44:45], off
	v_lshl_add_u64 v[44:45], v[44:45], 0, s[26:27]
	s_waitcnt vmcnt(12)
	v_lshlrev_b32_e32 v51, 16, v51
	s_waitcnt vmcnt(11)
	v_lshlrev_b32_e32 v49, 16, v49
	v_mul_f32_e32 v49, v51, v49
	s_waitcnt lgkmcnt(0)
	v_fmac_f32_e32 v13, v49, v60
	ds_bpermute_b32 v49, v25, v12
	global_load_ushort v60, v[46:47], off
	v_lshl_add_u64 v[46:47], v[46:47], 0, s[26:27]
	global_load_ushort v62, v[46:47], off
	v_lshl_add_u64 v[46:47], v[46:47], 0, s[26:27]
	s_waitcnt vmcnt(12)
	v_lshlrev_b32_e32 v53, 16, v53
	s_waitcnt vmcnt(11)
	v_lshlrev_b32_e32 v50, 16, v50
	v_mul_f32_e32 v50, v53, v50
	s_waitcnt lgkmcnt(0)
	v_fmac_f32_e32 v13, v50, v49
	ds_bpermute_b32 v49, v26, v12
	ds_bpermute_b32 v50, v27, v12
	global_load_ushort v53, v[44:45], off
	v_lshl_add_u64 v[44:45], v[44:45], 0, s[26:27]
	s_waitcnt vmcnt(11)
	v_lshlrev_b32_e32 v52, 16, v52
	s_waitcnt vmcnt(10)
	v_lshlrev_b32_e32 v48, 16, v48
	v_mul_f32_e32 v48, v52, v48
	s_waitcnt lgkmcnt(1)
	v_fmac_f32_e32 v13, v48, v49
	v_lshl_add_u64 v[48:49], v[44:45], 0, s[26:27]
	s_waitcnt vmcnt(9)
	v_lshlrev_b32_e32 v55, 16, v55
	s_waitcnt vmcnt(8)
	v_lshlrev_b32_e32 v54, 16, v54
	v_mul_f32_e32 v51, v55, v54
	s_waitcnt lgkmcnt(0)
	v_fmac_f32_e32 v13, v51, v50
	v_lshl_add_u64 v[50:51], v[46:47], 0, s[26:27]
	global_load_ushort v52, v[44:45], off
	global_load_ushort v54, v[48:49], off
	;; [unrolled: 1-line block ×4, first 2 shown]
	s_waitcnt vmcnt(11)
	v_lshlrev_b32_e32 v58, 16, v58
	v_lshl_add_u64 v[44:45], v[48:49], 0, s[26:27]
	s_waitcnt vmcnt(10)
	v_lshlrev_b32_e32 v46, 16, v56
	v_mul_f32_e32 v48, v58, v46
	s_waitcnt vmcnt(9)
	v_lshlrev_b32_e32 v56, 16, v59
	ds_bpermute_b32 v59, v28, v12
	ds_bpermute_b32 v58, v29, v12
	s_waitcnt vmcnt(8)
	v_lshlrev_b32_e32 v57, 16, v57
	v_lshl_add_u64 v[46:47], v[50:51], 0, s[26:27]
	v_mul_f32_e32 v50, v56, v57
	s_waitcnt lgkmcnt(1)
	v_fmac_f32_e32 v13, v48, v59
	v_lshl_add_u64 v[48:49], v[44:45], 0, s[26:27]
	s_waitcnt lgkmcnt(0)
	v_fmac_f32_e32 v13, v50, v58
	v_lshl_add_u64 v[50:51], v[46:47], 0, s[26:27]
	global_load_ushort v58, v[44:45], off
	global_load_ushort v59, v[48:49], off
	;; [unrolled: 1-line block ×4, first 2 shown]
	ds_bpermute_b32 v57, v30, v12
	s_waitcnt vmcnt(11)
	v_lshlrev_b32_e32 v46, 16, v61
	v_lshl_add_u64 v[44:45], v[48:49], 0, s[26:27]
	s_waitcnt vmcnt(10)
	v_lshlrev_b32_e32 v47, 16, v60
	ds_bpermute_b32 v60, v31, v12
	s_waitcnt vmcnt(9)
	v_lshlrev_b32_e32 v56, 16, v62
	v_mul_f32_e32 v48, v46, v47
	v_lshl_add_u64 v[46:47], v[50:51], 0, s[26:27]
	s_waitcnt lgkmcnt(1)
	v_fmac_f32_e32 v13, v48, v57
	v_lshl_add_u64 v[48:49], v[44:45], 0, s[26:27]
	ds_bpermute_b32 v51, v33, v12
	s_waitcnt vmcnt(8)
	v_lshlrev_b32_e32 v53, 16, v53
	v_mul_f32_e32 v50, v53, v56
	s_waitcnt lgkmcnt(1)
	v_fmac_f32_e32 v13, v50, v60
	ds_bpermute_b32 v50, v32, v12
	global_load_ushort v60, v[48:49], off
	global_load_ushort v61, v[44:45], off
	s_waitcnt vmcnt(9)
	v_lshlrev_b32_e32 v52, 16, v52
	s_waitcnt vmcnt(8)
	v_lshlrev_b32_e32 v53, 16, v54
	;; [unrolled: 2-line block ×4, first 2 shown]
	v_pk_mul_f32 v[52:53], v[52:53], v[54:55]
	v_lshl_add_u64 v[54:55], v[46:47], 0, s[26:27]
	global_load_ushort v62, v[54:55], off
	global_load_ushort v63, v[46:47], off
	s_waitcnt lgkmcnt(0)
	v_pk_mul_f32 v[50:51], v[52:53], v[50:51]
	v_lshl_add_u64 v[52:53], v[48:49], 0, s[26:27]
	v_add_f32_e32 v13, v13, v50
	v_lshl_add_u64 v[56:57], v[54:55], 0, s[26:27]
	v_lshl_add_u64 v[44:45], v[52:53], 0, s[26:27]
	;; [unrolled: 1-line block ×3, first 2 shown]
	v_add_f32_e32 v13, v13, v51
	v_lshl_add_u64 v[54:55], v[44:45], 0, s[26:27]
	s_waitcnt vmcnt(7)
	v_lshlrev_b32_e32 v48, 16, v58
	s_waitcnt vmcnt(6)
	v_lshlrev_b32_e32 v49, 16, v59
	s_waitcnt vmcnt(5)
	v_lshlrev_b32_e32 v50, 16, v64
	s_waitcnt vmcnt(4)
	v_lshlrev_b32_e32 v51, 16, v65
	v_pk_mul_f32 v[48:49], v[48:49], v[50:51]
	ds_bpermute_b32 v50, v34, v12
	ds_bpermute_b32 v51, v35, v12
	global_load_ushort v58, v[44:45], off
	global_load_ushort v59, v[52:53], off
	s_nop 0
	global_load_ushort v52, v[46:47], off
	global_load_ushort v53, v[56:57], off
	v_lshl_add_u64 v[44:45], v[46:47], 0, s[26:27]
	v_lshl_add_u64 v[46:47], v[54:55], 0, s[26:27]
	s_waitcnt lgkmcnt(0)
	v_pk_mul_f32 v[48:49], v[48:49], v[50:51]
	v_lshl_add_u64 v[50:51], v[46:47], 0, s[26:27]
	global_load_ushort v56, v[46:47], off
	global_load_ushort v57, v[54:55], off
	v_lshl_add_u64 v[46:47], v[50:51], 0, s[26:27]
	global_load_ushort v54, v[46:47], off
	global_load_ushort v55, v[44:45], off
	;; [unrolled: 3-line block ×3, first 2 shown]
	v_lshl_add_u64 v[44:45], v[44:45], 0, s[26:27]
	global_load_ushort v50, v[44:45], off
	v_lshl_add_u64 v[44:45], v[44:45], 0, s[26:27]
	global_load_ushort v51, v[44:45], off
	v_add_f32_e32 v13, v13, v48
	v_add_f32_e32 v13, v13, v49
	ds_bpermute_b32 v48, v36, v12
	ds_bpermute_b32 v49, v37, v12
	s_waitcnt vmcnt(15)
	v_lshlrev_b32_e32 v45, 16, v60
	s_waitcnt vmcnt(14)
	v_lshlrev_b32_e32 v44, 16, v61
	;; [unrolled: 2-line block ×4, first 2 shown]
	v_pk_mul_f32 v[44:45], v[44:45], v[46:47]
	s_waitcnt vmcnt(11)
	v_lshlrev_b32_e32 v47, 16, v58
	s_waitcnt lgkmcnt(0)
	v_pk_mul_f32 v[44:45], v[44:45], v[48:49]
	s_waitcnt vmcnt(10)
	v_lshlrev_b32_e32 v46, 16, v59
	v_add_f32_e32 v13, v13, v44
	v_add_f32_e32 v13, v13, v45
	ds_bpermute_b32 v44, v38, v12
	ds_bpermute_b32 v45, v39, v12
	s_waitcnt vmcnt(8)
	v_lshlrev_b32_e32 v48, 16, v53
	v_lshlrev_b32_e32 v49, 16, v52
	v_pk_mul_f32 v[46:47], v[46:47], v[48:49]
	s_waitcnt vmcnt(4)
	v_lshlrev_b32_e32 v48, 16, v55
	s_waitcnt lgkmcnt(0)
	v_pk_mul_f32 v[44:45], v[46:47], v[44:45]
	v_lshlrev_b32_e32 v46, 16, v57
	v_add_f32_e32 v13, v13, v44
	v_add_f32_e32 v13, v13, v45
	ds_bpermute_b32 v44, v40, v12
	ds_bpermute_b32 v45, v41, v12
	v_lshlrev_b32_e32 v47, 16, v56
	s_waitcnt vmcnt(2)
	v_lshlrev_b32_e32 v49, 16, v65
	v_pk_mul_f32 v[46:47], v[46:47], v[48:49]
	s_waitcnt lgkmcnt(0)
	v_pk_mul_f32 v[44:45], v[46:47], v[44:45]
	s_waitcnt vmcnt(1)
	v_lshlrev_b32_e32 v46, 16, v50
	v_add_f32_e32 v13, v13, v44
	v_add_f32_e32 v48, v13, v45
	ds_bpermute_b32 v44, v42, v12
	ds_bpermute_b32 v45, v43, v12
	v_lshlrev_b32_e32 v12, 16, v64
	v_lshlrev_b32_e32 v13, 16, v54
	s_waitcnt vmcnt(0)
	v_lshlrev_b32_e32 v47, 16, v51
	v_pk_mul_f32 v[12:13], v[12:13], v[46:47]
	s_waitcnt lgkmcnt(0)
	v_pk_mul_f32 v[12:13], v[12:13], v[44:45]
	s_nop 0
	v_add_f32_e32 v12, v48, v12
	v_add_f32_e32 v13, v12, v13
	s_cbranch_vccz .LBB198_7
.LBB198_4:                              ; =>This Inner Loop Header: Depth=1
	v_mov_b32_e32 v12, 0
	s_and_saveexec_b64 s[28:29], s[4:5]
	s_cbranch_execz .LBB198_3
; %bb.5:                                ;   in Loop: Header=BB198_4 Depth=1
	v_cmp_gt_i64_e32 vcc, s[8:9], v[4:5]
	v_mov_b32_e32 v12, 0
	s_and_saveexec_b64 s[30:31], vcc
	s_cbranch_execz .LBB198_2
; %bb.6:                                ;   in Loop: Header=BB198_4 Depth=1
	global_load_dword v12, v[6:7], off
	s_branch .LBB198_2
.LBB198_7:
	s_cmp_eq_u64 s[16:17], 0
	s_cbranch_scc1 .LBB198_9
; %bb.8:
	s_load_dword s0, s[0:1], 0x4c
	v_mov_b32_e32 v3, 0
	v_mov_b32_e32 v1, s6
	v_cmp_o_f32_e32 vcc, v13, v13
	s_mov_b32 s3, 0
	s_waitcnt lgkmcnt(0)
	s_lshr_b32 s0, s0, 16
	v_mad_u64_u32 v[4:5], s[0:1], s0, v1, v[2:3]
	v_bfe_u32 v1, v13, 16, 1
	s_movk_i32 s0, 0x7fff
	v_add3_u32 v1, v13, v1, s0
	v_lshrrev_b32_e32 v1, 16, v1
	v_mov_b32_e32 v2, 0x7fc0
	v_cndmask_b32_e32 v6, v2, v1, vcc
	v_mul_lo_u32 v1, v5, s10
	v_mul_lo_u32 v2, v4, s11
	v_mad_u64_u32 v[4:5], s[0:1], v4, s10, 0
	s_lshl_b64 s[0:1], s[2:3], 6
	s_add_u32 s0, s0, s16
	v_add3_u32 v5, v5, v2, v1
	s_addc_u32 s1, s1, s17
	v_and_b32_e32 v0, 0x3ff, v0
	v_lshl_add_u64 v[4:5], v[4:5], 1, s[0:1]
	v_lshlrev_b32_e32 v2, 1, v0
	v_lshl_add_u64 v[0:1], v[4:5], 0, v[2:3]
	global_store_short v[0:1], v6, off
.LBB198_9:
	s_endpgm
	.section	.rodata,"a",@progbits
	.p2align	6, 0x0
	.amdhsa_kernel _ZN2at6native12_GLOBAL__N_135GammaBetaBackwardCUDAKernelTemplateIN3c108BFloat16EfLj32ELj1ELj32ELb1ELb1ELb1EEEvllPKT_S7_PKT0_SA_PS5_SB_
		.amdhsa_group_segment_fixed_size 0
		.amdhsa_private_segment_fixed_size 0
		.amdhsa_kernarg_size 320
		.amdhsa_user_sgpr_count 2
		.amdhsa_user_sgpr_dispatch_ptr 0
		.amdhsa_user_sgpr_queue_ptr 0
		.amdhsa_user_sgpr_kernarg_segment_ptr 1
		.amdhsa_user_sgpr_dispatch_id 0
		.amdhsa_user_sgpr_kernarg_preload_length 0
		.amdhsa_user_sgpr_kernarg_preload_offset 0
		.amdhsa_user_sgpr_private_segment_size 0
		.amdhsa_uses_dynamic_stack 0
		.amdhsa_enable_private_segment 0
		.amdhsa_system_sgpr_workgroup_id_x 1
		.amdhsa_system_sgpr_workgroup_id_y 1
		.amdhsa_system_sgpr_workgroup_id_z 0
		.amdhsa_system_sgpr_workgroup_info 0
		.amdhsa_system_vgpr_workitem_id 1
		.amdhsa_next_free_vgpr 66
		.amdhsa_next_free_sgpr 32
		.amdhsa_accum_offset 68
		.amdhsa_reserve_vcc 1
		.amdhsa_float_round_mode_32 0
		.amdhsa_float_round_mode_16_64 0
		.amdhsa_float_denorm_mode_32 3
		.amdhsa_float_denorm_mode_16_64 3
		.amdhsa_dx10_clamp 1
		.amdhsa_ieee_mode 1
		.amdhsa_fp16_overflow 0
		.amdhsa_tg_split 0
		.amdhsa_exception_fp_ieee_invalid_op 0
		.amdhsa_exception_fp_denorm_src 0
		.amdhsa_exception_fp_ieee_div_zero 0
		.amdhsa_exception_fp_ieee_overflow 0
		.amdhsa_exception_fp_ieee_underflow 0
		.amdhsa_exception_fp_ieee_inexact 0
		.amdhsa_exception_int_div_zero 0
	.end_amdhsa_kernel
	.section	.text._ZN2at6native12_GLOBAL__N_135GammaBetaBackwardCUDAKernelTemplateIN3c108BFloat16EfLj32ELj1ELj32ELb1ELb1ELb1EEEvllPKT_S7_PKT0_SA_PS5_SB_,"axG",@progbits,_ZN2at6native12_GLOBAL__N_135GammaBetaBackwardCUDAKernelTemplateIN3c108BFloat16EfLj32ELj1ELj32ELb1ELb1ELb1EEEvllPKT_S7_PKT0_SA_PS5_SB_,comdat
.Lfunc_end198:
	.size	_ZN2at6native12_GLOBAL__N_135GammaBetaBackwardCUDAKernelTemplateIN3c108BFloat16EfLj32ELj1ELj32ELb1ELb1ELb1EEEvllPKT_S7_PKT0_SA_PS5_SB_, .Lfunc_end198-_ZN2at6native12_GLOBAL__N_135GammaBetaBackwardCUDAKernelTemplateIN3c108BFloat16EfLj32ELj1ELj32ELb1ELb1ELb1EEEvllPKT_S7_PKT0_SA_PS5_SB_
                                        ; -- End function
	.section	.AMDGPU.csdata,"",@progbits
; Kernel info:
; codeLenInByte = 2932
; NumSgprs: 38
; NumVgprs: 66
; NumAgprs: 0
; TotalNumVgprs: 66
; ScratchSize: 0
; MemoryBound: 0
; FloatMode: 240
; IeeeMode: 1
; LDSByteSize: 0 bytes/workgroup (compile time only)
; SGPRBlocks: 4
; VGPRBlocks: 8
; NumSGPRsForWavesPerEU: 38
; NumVGPRsForWavesPerEU: 66
; AccumOffset: 68
; Occupancy: 7
; WaveLimiterHint : 0
; COMPUTE_PGM_RSRC2:SCRATCH_EN: 0
; COMPUTE_PGM_RSRC2:USER_SGPR: 2
; COMPUTE_PGM_RSRC2:TRAP_HANDLER: 0
; COMPUTE_PGM_RSRC2:TGID_X_EN: 1
; COMPUTE_PGM_RSRC2:TGID_Y_EN: 1
; COMPUTE_PGM_RSRC2:TGID_Z_EN: 0
; COMPUTE_PGM_RSRC2:TIDIG_COMP_CNT: 1
; COMPUTE_PGM_RSRC3_GFX90A:ACCUM_OFFSET: 16
; COMPUTE_PGM_RSRC3_GFX90A:TG_SPLIT: 0
	.section	.text._ZN2at6native12_GLOBAL__N_135GammaBetaBackwardCUDAKernelTemplateIN3c108BFloat16EfLj32ELj1ELj32ELb1ELb0ELb1EEEvllPKT_S7_PKT0_SA_PS5_SB_,"axG",@progbits,_ZN2at6native12_GLOBAL__N_135GammaBetaBackwardCUDAKernelTemplateIN3c108BFloat16EfLj32ELj1ELj32ELb1ELb0ELb1EEEvllPKT_S7_PKT0_SA_PS5_SB_,comdat
	.globl	_ZN2at6native12_GLOBAL__N_135GammaBetaBackwardCUDAKernelTemplateIN3c108BFloat16EfLj32ELj1ELj32ELb1ELb0ELb1EEEvllPKT_S7_PKT0_SA_PS5_SB_ ; -- Begin function _ZN2at6native12_GLOBAL__N_135GammaBetaBackwardCUDAKernelTemplateIN3c108BFloat16EfLj32ELj1ELj32ELb1ELb0ELb1EEEvllPKT_S7_PKT0_SA_PS5_SB_
	.p2align	8
	.type	_ZN2at6native12_GLOBAL__N_135GammaBetaBackwardCUDAKernelTemplateIN3c108BFloat16EfLj32ELj1ELj32ELb1ELb0ELb1EEEvllPKT_S7_PKT0_SA_PS5_SB_,@function
_ZN2at6native12_GLOBAL__N_135GammaBetaBackwardCUDAKernelTemplateIN3c108BFloat16EfLj32ELj1ELj32ELb1ELb0ELb1EEEvllPKT_S7_PKT0_SA_PS5_SB_: ; @_ZN2at6native12_GLOBAL__N_135GammaBetaBackwardCUDAKernelTemplateIN3c108BFloat16EfLj32ELj1ELj32ELb1ELb0ELb1EEEvllPKT_S7_PKT0_SA_PS5_SB_
; %bb.0:
	s_load_dwordx8 s[12:19], s[0:1], 0x0
	s_load_dwordx2 s[10:11], s[0:1], 0x28
	s_mov_b32 s8, s3
	s_lshl_b32 s3, s2, 5
	s_or_b32 s20, s3, 31
	s_mov_b32 s21, 0
	s_waitcnt lgkmcnt(0)
	v_mov_b64_e32 v[2:3], s[14:15]
	v_cmp_ge_i64_e32 vcc, s[20:21], v[2:3]
	s_lshl_b32 s20, s8, 5
	v_mov_b64_e32 v[2:3], s[12:13]
	v_cmp_lt_i64_e64 s[4:5], s[20:21], v[2:3]
	s_nop 1
	v_cndmask_b32_e64 v1, 0, 1, s[4:5]
	v_cmp_ne_u32_e64 s[4:5], 1, v1
	s_cbranch_vccz .LBB199_145
; %bb.1:
	s_and_b64 vcc, exec, s[4:5]
	v_mov_b32_e32 v31, 0
	s_cbranch_vccnz .LBB199_147
; %bb.2:
	v_mov_b32_e32 v3, 0
	v_bfe_u32 v161, v0, 10, 10
	v_lshlrev_b32_e32 v4, 5, v161
	v_mov_b32_e32 v5, v3
	v_and_b32_e32 v160, 0x3ff, v0
	v_lshl_add_u64 v[130:131], v[4:5], 0, s[20:21]
	v_add_u32_e32 v2, s3, v160
	v_mov_b32_e32 v208, v0
	v_lshl_add_u64 v[0:1], v[130:131], 0, 31
	v_cmp_gt_i64_e64 s[6:7], s[14:15], v[2:3]
	v_lshlrev_b64 v[6:7], 1, v[2:3]
	v_mul_lo_u32 v2, s15, v0
	v_mul_lo_u32 v8, s14, v1
	v_mad_u64_u32 v[0:1], s[28:29], s14, v0, 0
	v_add3_u32 v1, v1, v8, v2
	v_lshlrev_b64 v[0:1], 1, v[0:1]
	v_lshl_add_u64 v[8:9], s[16:17], 0, v[0:1]
	v_lshl_add_u64 v[10:11], s[18:19], 0, v[0:1]
	v_lshl_add_u64 v[0:1], v[130:131], 0, 30
	v_mul_lo_u32 v2, s15, v0
	v_mul_lo_u32 v12, s14, v1
	v_mad_u64_u32 v[0:1], s[30:31], s14, v0, 0
	v_add3_u32 v1, v1, v12, v2
	v_lshlrev_b64 v[0:1], 1, v[0:1]
	v_lshl_add_u64 v[12:13], s[16:17], 0, v[0:1]
	v_lshl_add_u64 v[14:15], s[18:19], 0, v[0:1]
	v_lshl_add_u64 v[0:1], v[130:131], 0, 29
	;; [unrolled: 8-line block ×29, first 2 shown]
	v_mul_lo_u32 v2, s15, v30
	v_mul_lo_u32 v122, s14, v31
	v_mad_u64_u32 v[30:31], s[30:31], s14, v30, 0
	v_add3_u32 v31, v31, v122, v2
	v_lshlrev_b64 v[30:31], 1, v[30:31]
	s_load_dword s9, s[0:1], 0x44
	v_lshl_add_u64 v[122:123], s[16:17], 0, v[30:31]
	v_lshl_add_u64 v[124:125], s[18:19], 0, v[30:31]
	v_mov_b64_e32 v[30:31], s[14:15]
	v_mad_u64_u32 v[30:31], s[30:31], s14, v130, v[30:31]
	v_mul_lo_u32 v2, s14, v131
	v_mul_lo_u32 v131, s15, v130
	v_add3_u32 v31, v131, v31, v2
	v_lshlrev_b64 v[30:31], 1, v[30:31]
	s_add_u32 s24, s0, 64
	v_lshl_add_u64 v[126:127], s[16:17], 0, v[30:31]
	v_lshl_add_u64 v[128:129], s[18:19], 0, v[30:31]
	v_mad_u64_u32 v[30:31], s[30:31], s14, v130, 0
	s_addc_u32 s25, s1, 0
	s_waitcnt lgkmcnt(0)
	s_lshl_b32 s22, s9, 5
	v_add3_u32 v31, v31, v2, v131
	v_mbcnt_lo_u32_b32 v2, -1, 0
	s_mul_i32 s9, s15, s22
	s_mul_hi_u32 s28, s14, s22
	v_mbcnt_hi_u32_b32 v2, -1, v2
	s_add_i32 s29, s28, s9
	s_mul_i32 s28, s14, s22
	v_lshlrev_b64 v[30:31], 1, v[30:31]
	v_lshlrev_b32_e32 v2, 2, v2
	s_mov_b32 s23, 0
	s_mov_b64 s[26:27], 31
	s_lshl_b64 s[28:29], s[28:29], 1
	v_lshl_add_u64 v[130:131], s[16:17], 0, v[30:31]
	v_lshl_add_u64 v[132:133], s[18:19], 0, v[30:31]
	v_and_b32_e32 v162, 0x100, v2
	s_mov_b64 s[30:31], s[20:21]
	v_mov_b32_e32 v163, 0
.LBB199_3:                              ; =>This Inner Loop Header: Depth=1
	s_add_u32 s34, s20, s26
	s_addc_u32 s35, 0, s27
	v_mov_b64_e32 v[30:31], s[12:13]
	v_cmp_ge_i64_e32 vcc, s[34:35], v[30:31]
	v_lshl_add_u64 v[134:135], s[20:21], 0, v[4:5]
	s_cbranch_vccz .LBB199_73
; %bb.4:                                ;   in Loop: Header=BB199_3 Depth=1
	s_load_dword s9, s[24:25], 0xc
	v_mov_b32_e32 v165, 0
	v_mov_b32_e32 v164, 0
	s_waitcnt lgkmcnt(0)
	s_and_b32 s9, s9, 0xffff
	v_mad_u32_u24 v2, v161, s9, v160
	v_and_b32_e32 v2, 63, v2
	v_cmp_gt_u32_e32 vcc, 32, v2
	s_and_saveexec_b64 s[34:35], vcc
	s_cbranch_execz .LBB199_8
; %bb.5:                                ;   in Loop: Header=BB199_3 Depth=1
	v_lshl_add_u64 v[136:137], v[134:135], 0, v[2:3]
	v_cmp_gt_i64_e32 vcc, s[12:13], v[136:137]
	v_mov_b32_e32 v164, 0
	s_and_saveexec_b64 s[36:37], vcc
	s_cbranch_execz .LBB199_7
; %bb.6:                                ;   in Loop: Header=BB199_3 Depth=1
	v_lshl_add_u64 v[30:31], v[136:137], 2, s[10:11]
	global_load_dword v164, v[30:31], off
.LBB199_7:                              ;   in Loop: Header=BB199_3 Depth=1
	s_or_b64 exec, exec, s[36:37]
.LBB199_8:                              ;   in Loop: Header=BB199_3 Depth=1
	s_or_b64 exec, exec, s[34:35]
	v_cmp_gt_i64_e32 vcc, s[12:13], v[134:135]
	s_and_b64 s[36:37], s[6:7], vcc
	v_mov_b32_e32 v2, 0
	s_and_saveexec_b64 s[34:35], s[36:37]
	s_cbranch_execz .LBB199_10
; %bb.9:                                ;   in Loop: Header=BB199_3 Depth=1
	v_lshl_add_u64 v[30:31], v[130:131], 0, v[6:7]
	v_lshl_add_u64 v[136:137], v[132:133], 0, v[6:7]
	global_load_ushort v2, v[30:31], off
	s_nop 0
	global_load_ushort v30, v[136:137], off
	s_waitcnt vmcnt(1)
	v_lshlrev_b32_e32 v165, 16, v2
	s_waitcnt vmcnt(0)
	v_lshlrev_b32_e32 v2, 16, v30
.LBB199_10:                             ;   in Loop: Header=BB199_3 Depth=1
	s_or_b64 exec, exec, s[34:35]
	v_lshl_add_u64 v[30:31], v[134:135], 0, 1
	v_cmp_gt_i64_e32 vcc, s[12:13], v[30:31]
	s_and_b64 s[36:37], s[6:7], vcc
	v_mov_b32_e32 v166, 0
	v_mov_b32_e32 v167, 0
	v_mov_b32_e32 v168, 0
	s_and_saveexec_b64 s[34:35], s[36:37]
	s_cbranch_execz .LBB199_12
; %bb.11:                               ;   in Loop: Header=BB199_3 Depth=1
	v_lshl_add_u64 v[30:31], v[126:127], 0, v[6:7]
	v_lshl_add_u64 v[136:137], v[128:129], 0, v[6:7]
	global_load_ushort v30, v[30:31], off
	s_nop 0
	global_load_ushort v31, v[136:137], off
	s_waitcnt vmcnt(1)
	v_lshlrev_b32_e32 v167, 16, v30
	s_waitcnt vmcnt(0)
	v_lshlrev_b32_e32 v168, 16, v31
.LBB199_12:                             ;   in Loop: Header=BB199_3 Depth=1
	s_or_b64 exec, exec, s[34:35]
	v_lshl_add_u64 v[30:31], v[134:135], 0, 2
	v_cmp_gt_i64_e32 vcc, s[12:13], v[30:31]
	s_and_b64 s[36:37], s[6:7], vcc
	v_mov_b32_e32 v169, 0
	s_and_saveexec_b64 s[34:35], s[36:37]
	s_cbranch_execz .LBB199_14
; %bb.13:                               ;   in Loop: Header=BB199_3 Depth=1
	v_lshl_add_u64 v[30:31], v[122:123], 0, v[6:7]
	v_lshl_add_u64 v[136:137], v[124:125], 0, v[6:7]
	global_load_ushort v30, v[30:31], off
	s_nop 0
	global_load_ushort v31, v[136:137], off
	s_waitcnt vmcnt(1)
	v_lshlrev_b32_e32 v166, 16, v30
	s_waitcnt vmcnt(0)
	v_lshlrev_b32_e32 v169, 16, v31
.LBB199_14:                             ;   in Loop: Header=BB199_3 Depth=1
	s_or_b64 exec, exec, s[34:35]
	v_lshl_add_u64 v[30:31], v[134:135], 0, 3
	v_cmp_gt_i64_e32 vcc, s[12:13], v[30:31]
	s_and_b64 s[36:37], s[6:7], vcc
	v_mov_b32_e32 v170, 0
	v_mov_b32_e32 v171, 0
	v_mov_b32_e32 v172, 0
	s_and_saveexec_b64 s[34:35], s[36:37]
	s_cbranch_execz .LBB199_16
; %bb.15:                               ;   in Loop: Header=BB199_3 Depth=1
	v_lshl_add_u64 v[30:31], v[118:119], 0, v[6:7]
	v_lshl_add_u64 v[136:137], v[120:121], 0, v[6:7]
	global_load_ushort v30, v[30:31], off
	s_nop 0
	global_load_ushort v31, v[136:137], off
	s_waitcnt vmcnt(1)
	v_lshlrev_b32_e32 v171, 16, v30
	s_waitcnt vmcnt(0)
	v_lshlrev_b32_e32 v172, 16, v31
.LBB199_16:                             ;   in Loop: Header=BB199_3 Depth=1
	s_or_b64 exec, exec, s[34:35]
	v_lshl_add_u64 v[30:31], v[134:135], 0, 4
	v_cmp_gt_i64_e32 vcc, s[12:13], v[30:31]
	s_and_b64 s[36:37], s[6:7], vcc
	v_mov_b32_e32 v173, 0
	s_and_saveexec_b64 s[34:35], s[36:37]
	s_cbranch_execz .LBB199_18
; %bb.17:                               ;   in Loop: Header=BB199_3 Depth=1
	v_lshl_add_u64 v[30:31], v[114:115], 0, v[6:7]
	v_lshl_add_u64 v[136:137], v[116:117], 0, v[6:7]
	global_load_ushort v30, v[30:31], off
	s_nop 0
	global_load_ushort v31, v[136:137], off
	s_waitcnt vmcnt(1)
	v_lshlrev_b32_e32 v170, 16, v30
	s_waitcnt vmcnt(0)
	v_lshlrev_b32_e32 v173, 16, v31
.LBB199_18:                             ;   in Loop: Header=BB199_3 Depth=1
	;; [unrolled: 38-line block ×9, first 2 shown]
	s_or_b64 exec, exec, s[34:35]
	v_lshl_add_u64 v[136:137], v[134:135], 0, 19
	v_cmp_gt_i64_e32 vcc, s[12:13], v[136:137]
	s_and_b64 s[36:37], s[6:7], vcc
	v_mov_b32_e32 v137, 0
	v_mov_b32_e32 v136, 0
	v_mov_b32_e32 v138, 0
	s_and_saveexec_b64 s[34:35], s[36:37]
	s_cbranch_execz .LBB199_48
; %bb.47:                               ;   in Loop: Header=BB199_3 Depth=1
	v_lshl_add_u64 v[138:139], v[54:55], 0, v[6:7]
	v_lshl_add_u64 v[140:141], v[56:57], 0, v[6:7]
	global_load_ushort v136, v[138:139], off
	s_nop 0
	global_load_ushort v138, v[140:141], off
	s_waitcnt vmcnt(1)
	v_lshlrev_b32_e32 v136, 16, v136
	s_waitcnt vmcnt(0)
	v_lshlrev_b32_e32 v138, 16, v138
.LBB199_48:                             ;   in Loop: Header=BB199_3 Depth=1
	s_or_b64 exec, exec, s[34:35]
	v_lshl_add_u64 v[140:141], v[134:135], 0, 20
	v_cmp_gt_i64_e32 vcc, s[12:13], v[140:141]
	s_and_b64 s[36:37], s[6:7], vcc
	v_mov_b32_e32 v139, 0
	s_and_saveexec_b64 s[34:35], s[36:37]
	s_cbranch_execz .LBB199_50
; %bb.49:                               ;   in Loop: Header=BB199_3 Depth=1
	v_lshl_add_u64 v[140:141], v[0:1], 0, v[6:7]
	v_lshl_add_u64 v[142:143], v[52:53], 0, v[6:7]
	global_load_ushort v137, v[140:141], off
	global_load_ushort v139, v[142:143], off
	s_waitcnt vmcnt(1)
	v_lshlrev_b32_e32 v137, 16, v137
	s_waitcnt vmcnt(0)
	v_lshlrev_b32_e32 v139, 16, v139
.LBB199_50:                             ;   in Loop: Header=BB199_3 Depth=1
	s_or_b64 exec, exec, s[34:35]
	v_lshl_add_u64 v[140:141], v[134:135], 0, 21
	v_cmp_gt_i64_e32 vcc, s[12:13], v[140:141]
	s_and_b64 s[36:37], s[6:7], vcc
	v_mov_b32_e32 v141, 0
	v_mov_b32_e32 v140, 0
	v_mov_b32_e32 v142, 0
	s_and_saveexec_b64 s[34:35], s[36:37]
	s_cbranch_execz .LBB199_52
; %bb.51:                               ;   in Loop: Header=BB199_3 Depth=1
	v_lshl_add_u64 v[142:143], v[48:49], 0, v[6:7]
	v_lshl_add_u64 v[144:145], v[50:51], 0, v[6:7]
	global_load_ushort v140, v[142:143], off
	s_nop 0
	global_load_ushort v142, v[144:145], off
	s_waitcnt vmcnt(1)
	v_lshlrev_b32_e32 v140, 16, v140
	s_waitcnt vmcnt(0)
	v_lshlrev_b32_e32 v142, 16, v142
.LBB199_52:                             ;   in Loop: Header=BB199_3 Depth=1
	s_or_b64 exec, exec, s[34:35]
	v_lshl_add_u64 v[144:145], v[134:135], 0, 22
	v_cmp_gt_i64_e32 vcc, s[12:13], v[144:145]
	s_and_b64 s[36:37], s[6:7], vcc
	v_mov_b32_e32 v143, 0
	s_and_saveexec_b64 s[34:35], s[36:37]
	s_cbranch_execz .LBB199_54
; %bb.53:                               ;   in Loop: Header=BB199_3 Depth=1
	v_lshl_add_u64 v[144:145], v[44:45], 0, v[6:7]
	v_lshl_add_u64 v[146:147], v[46:47], 0, v[6:7]
	global_load_ushort v141, v[144:145], off
	global_load_ushort v143, v[146:147], off
	s_waitcnt vmcnt(1)
	v_lshlrev_b32_e32 v141, 16, v141
	s_waitcnt vmcnt(0)
	v_lshlrev_b32_e32 v143, 16, v143
.LBB199_54:                             ;   in Loop: Header=BB199_3 Depth=1
	;; [unrolled: 37-line block ×6, first 2 shown]
	s_or_b64 exec, exec, s[34:35]
	v_lshl_add_u64 v[204:205], v[134:135], 0, 31
	v_cmp_gt_i64_e32 vcc, s[12:13], v[204:205]
	s_and_b64 s[36:37], s[6:7], vcc
	v_mov_b32_e32 v199, 0
	s_and_saveexec_b64 s[34:35], s[36:37]
	s_cbranch_execz .LBB199_72
; %bb.71:                               ;   in Loop: Header=BB199_3 Depth=1
	v_lshl_add_u64 v[204:205], v[8:9], 0, v[6:7]
	v_lshl_add_u64 v[206:207], v[10:11], 0, v[6:7]
	global_load_ushort v199, v[204:205], off
	global_load_ushort v203, v[206:207], off
	s_waitcnt vmcnt(1)
	v_lshlrev_b32_e32 v199, 16, v199
	s_waitcnt vmcnt(0)
	v_lshlrev_b32_e32 v203, 16, v203
	v_mul_f32_e32 v199, v203, v199
.LBB199_72:                             ;   in Loop: Header=BB199_3 Depth=1
	s_or_b64 exec, exec, s[34:35]
	s_waitcnt vmcnt(0)
	ds_bpermute_b32 v203, v162, v164
	ds_bpermute_b32 v204, v162, v164 offset:4
	v_mul_f32_e32 v2, v165, v2
	v_mul_f32_e32 v165, v167, v168
	ds_bpermute_b32 v167, v162, v164 offset:8
	s_waitcnt lgkmcnt(2)
	v_fma_f32 v2, v2, v203, v163
	s_waitcnt lgkmcnt(1)
	v_fmac_f32_e32 v2, v165, v204
	ds_bpermute_b32 v165, v162, v164 offset:12
	v_mul_f32_e32 v166, v166, v169
	s_waitcnt lgkmcnt(1)
	v_fmac_f32_e32 v2, v166, v167
	ds_bpermute_b32 v166, v162, v164 offset:16
	v_mul_f32_e32 v167, v171, v172
	;; [unrolled: 4-line block ×11, first 2 shown]
	s_waitcnt lgkmcnt(1)
	v_fmac_f32_e32 v2, v165, v30
	v_mul_f32_e32 v30, v191, v192
	ds_bpermute_b32 v165, v162, v164 offset:56
	s_waitcnt lgkmcnt(1)
	v_fmac_f32_e32 v2, v30, v31
	ds_bpermute_b32 v30, v162, v164 offset:60
	ds_bpermute_b32 v166, v162, v164 offset:64
	v_mul_f32_e32 v31, v190, v193
	s_waitcnt lgkmcnt(2)
	v_fmac_f32_e32 v2, v31, v165
	v_mul_f32_e32 v31, v195, v196
	s_waitcnt lgkmcnt(1)
	v_fmac_f32_e32 v2, v31, v30
	;; [unrolled: 3-line block ×3, first 2 shown]
	ds_bpermute_b32 v30, v162, v164 offset:76
	ds_bpermute_b32 v31, v162, v164 offset:80
	;; [unrolled: 1-line block ×4, first 2 shown]
	v_pk_mul_f32 v[136:137], v[136:137], v[138:139]
	v_mul_f32_e32 v166, v200, v201
	s_waitcnt lgkmcnt(2)
	v_pk_mul_f32 v[30:31], v[136:137], v[30:31]
	ds_bpermute_b32 v136, v162, v164 offset:84
	ds_bpermute_b32 v137, v162, v164 offset:88
	s_waitcnt lgkmcnt(3)
	v_fmac_f32_e32 v2, v166, v165
	v_mul_f32_e32 v165, v198, v202
	s_waitcnt lgkmcnt(2)
	v_fmac_f32_e32 v2, v165, v167
	v_add_f32_e32 v2, v2, v30
	ds_bpermute_b32 v138, v162, v164 offset:92
	ds_bpermute_b32 v139, v162, v164 offset:96
	v_add_f32_e32 v2, v2, v31
	v_pk_mul_f32 v[30:31], v[140:141], v[142:143]
	s_waitcnt lgkmcnt(2)
	v_pk_mul_f32 v[30:31], v[30:31], v[136:137]
	ds_bpermute_b32 v136, v162, v164 offset:100
	v_add_f32_e32 v2, v2, v30
	ds_bpermute_b32 v137, v162, v164 offset:104
	v_add_f32_e32 v2, v2, v31
	v_pk_mul_f32 v[30:31], v[144:145], v[146:147]
	s_waitcnt lgkmcnt(2)
	v_pk_mul_f32 v[30:31], v[30:31], v[138:139]
	ds_bpermute_b32 v138, v162, v164 offset:108
	v_add_f32_e32 v2, v2, v30
	;; [unrolled: 7-line block ×3, first 2 shown]
	v_add_f32_e32 v2, v2, v31
	v_pk_mul_f32 v[30:31], v[152:153], v[154:155]
	ds_bpermute_b32 v137, v162, v164 offset:120
	s_waitcnt lgkmcnt(2)
	v_pk_mul_f32 v[30:31], v[30:31], v[138:139]
	s_nop 0
	v_add_f32_e32 v2, v2, v30
	v_add_f32_e32 v138, v2, v31
	ds_bpermute_b32 v2, v162, v164 offset:124
	v_pk_mul_f32 v[30:31], v[156:157], v[158:159]
	s_waitcnt lgkmcnt(1)
	v_pk_mul_f32 v[30:31], v[30:31], v[136:137]
	s_nop 0
	v_add_f32_e32 v30, v138, v30
	v_add_f32_e32 v31, v30, v31
	s_branch .LBB199_141
.LBB199_73:                             ;   in Loop: Header=BB199_3 Depth=1
                                        ; implicit-def: $vgpr31
                                        ; implicit-def: $vgpr199
                                        ; implicit-def: $vgpr2
	s_cbranch_execz .LBB199_141
; %bb.74:                               ;   in Loop: Header=BB199_3 Depth=1
	s_load_dword s9, s[24:25], 0x0
	v_mov_b32_e32 v159, 0
	v_mov_b32_e32 v158, 0
	s_waitcnt lgkmcnt(0)
	s_cmp_lt_u32 s2, s9
	s_cselect_b32 s9, 12, 18
	s_add_u32 s34, s24, s9
	s_addc_u32 s35, s25, 0
	global_load_ushort v2, v3, s[34:35]
	s_waitcnt vmcnt(0)
	v_mad_u32_u24 v2, v161, v2, v160
	v_and_b32_e32 v2, 63, v2
	v_cmp_gt_u32_e32 vcc, 32, v2
	s_and_saveexec_b64 s[34:35], vcc
	s_cbranch_execz .LBB199_78
; %bb.75:                               ;   in Loop: Header=BB199_3 Depth=1
	v_lshl_add_u64 v[134:135], v[134:135], 0, v[2:3]
	v_cmp_gt_i64_e32 vcc, s[12:13], v[134:135]
	v_mov_b32_e32 v158, 0
	s_and_saveexec_b64 s[36:37], vcc
	s_cbranch_execz .LBB199_77
; %bb.76:                               ;   in Loop: Header=BB199_3 Depth=1
	v_lshl_add_u64 v[30:31], v[134:135], 2, s[10:11]
	global_load_dword v158, v[30:31], off
.LBB199_77:                             ;   in Loop: Header=BB199_3 Depth=1
	s_or_b64 exec, exec, s[36:37]
.LBB199_78:                             ;   in Loop: Header=BB199_3 Depth=1
	s_or_b64 exec, exec, s[34:35]
	v_mov_b32_e32 v2, 0
	s_and_saveexec_b64 s[34:35], s[6:7]
	s_cbranch_execz .LBB199_80
; %bb.79:                               ;   in Loop: Header=BB199_3 Depth=1
	v_lshl_add_u64 v[30:31], v[130:131], 0, v[6:7]
	v_lshl_add_u64 v[134:135], v[132:133], 0, v[6:7]
	global_load_ushort v2, v[30:31], off
	s_nop 0
	global_load_ushort v30, v[134:135], off
	s_waitcnt vmcnt(1)
	v_lshlrev_b32_e32 v159, 16, v2
	s_waitcnt vmcnt(0)
	v_lshlrev_b32_e32 v2, 16, v30
.LBB199_80:                             ;   in Loop: Header=BB199_3 Depth=1
	s_or_b64 exec, exec, s[34:35]
	v_mov_b32_e32 v30, 0
	v_mov_b32_e32 v31, 0
	v_mov_b32_e32 v164, 0
	s_and_saveexec_b64 s[34:35], s[6:7]
	s_cbranch_execz .LBB199_82
; %bb.81:                               ;   in Loop: Header=BB199_3 Depth=1
	v_lshl_add_u64 v[134:135], v[126:127], 0, v[6:7]
	v_lshl_add_u64 v[136:137], v[128:129], 0, v[6:7]
	global_load_ushort v31, v[134:135], off
	s_nop 0
	global_load_ushort v134, v[136:137], off
	s_waitcnt vmcnt(1)
	v_lshlrev_b32_e32 v31, 16, v31
	s_waitcnt vmcnt(0)
	v_lshlrev_b32_e32 v164, 16, v134
.LBB199_82:                             ;   in Loop: Header=BB199_3 Depth=1
	s_or_b64 exec, exec, s[34:35]
	v_mov_b32_e32 v165, 0
	s_and_saveexec_b64 s[34:35], s[6:7]
	s_cbranch_execz .LBB199_84
; %bb.83:                               ;   in Loop: Header=BB199_3 Depth=1
	v_lshl_add_u64 v[134:135], v[122:123], 0, v[6:7]
	v_lshl_add_u64 v[136:137], v[124:125], 0, v[6:7]
	global_load_ushort v30, v[134:135], off
	s_nop 0
	global_load_ushort v134, v[136:137], off
	s_waitcnt vmcnt(1)
	v_lshlrev_b32_e32 v30, 16, v30
	s_waitcnt vmcnt(0)
	v_lshlrev_b32_e32 v165, 16, v134
.LBB199_84:                             ;   in Loop: Header=BB199_3 Depth=1
	s_or_b64 exec, exec, s[34:35]
	v_mov_b32_e32 v166, 0
	v_mov_b32_e32 v167, 0
	v_mov_b32_e32 v168, 0
	s_and_saveexec_b64 s[34:35], s[6:7]
	s_cbranch_execz .LBB199_86
; %bb.85:                               ;   in Loop: Header=BB199_3 Depth=1
	v_lshl_add_u64 v[134:135], v[118:119], 0, v[6:7]
	v_lshl_add_u64 v[136:137], v[120:121], 0, v[6:7]
	global_load_ushort v134, v[134:135], off
	s_nop 0
	global_load_ushort v135, v[136:137], off
	s_waitcnt vmcnt(1)
	v_lshlrev_b32_e32 v167, 16, v134
	s_waitcnt vmcnt(0)
	v_lshlrev_b32_e32 v168, 16, v135
.LBB199_86:                             ;   in Loop: Header=BB199_3 Depth=1
	;; [unrolled: 32-line block ×5, first 2 shown]
	s_or_b64 exec, exec, s[34:35]
	v_mov_b32_e32 v183, 0
	s_and_saveexec_b64 s[34:35], s[6:7]
	s_cbranch_execz .LBB199_100
; %bb.99:                               ;   in Loop: Header=BB199_3 Depth=1
	v_lshl_add_u64 v[134:135], v[90:91], 0, v[6:7]
	v_lshl_add_u64 v[136:137], v[92:93], 0, v[6:7]
	global_load_ushort v134, v[134:135], off
	s_nop 0
	global_load_ushort v135, v[136:137], off
	s_waitcnt vmcnt(1)
	v_lshlrev_b32_e32 v180, 16, v134
	s_waitcnt vmcnt(0)
	v_lshlrev_b32_e32 v183, 16, v135
.LBB199_100:                            ;   in Loop: Header=BB199_3 Depth=1
	s_or_b64 exec, exec, s[34:35]
	v_mov_b32_e32 v184, 0
	v_mov_b32_e32 v185, 0
	v_mov_b32_e32 v186, 0
	s_and_saveexec_b64 s[34:35], s[6:7]
	s_cbranch_execz .LBB199_102
; %bb.101:                              ;   in Loop: Header=BB199_3 Depth=1
	v_lshl_add_u64 v[134:135], v[86:87], 0, v[6:7]
	v_lshl_add_u64 v[136:137], v[88:89], 0, v[6:7]
	global_load_ushort v134, v[134:135], off
	s_nop 0
	global_load_ushort v135, v[136:137], off
	s_waitcnt vmcnt(1)
	v_lshlrev_b32_e32 v185, 16, v134
	s_waitcnt vmcnt(0)
	v_lshlrev_b32_e32 v186, 16, v135
.LBB199_102:                            ;   in Loop: Header=BB199_3 Depth=1
	s_or_b64 exec, exec, s[34:35]
	v_mov_b32_e32 v187, 0
	s_and_saveexec_b64 s[34:35], s[6:7]
	s_cbranch_execz .LBB199_104
; %bb.103:                              ;   in Loop: Header=BB199_3 Depth=1
	v_lshl_add_u64 v[134:135], v[82:83], 0, v[6:7]
	v_lshl_add_u64 v[136:137], v[84:85], 0, v[6:7]
	global_load_ushort v134, v[134:135], off
	s_nop 0
	global_load_ushort v135, v[136:137], off
	s_waitcnt vmcnt(1)
	v_lshlrev_b32_e32 v184, 16, v134
	s_waitcnt vmcnt(0)
	v_lshlrev_b32_e32 v187, 16, v135
.LBB199_104:                            ;   in Loop: Header=BB199_3 Depth=1
	s_or_b64 exec, exec, s[34:35]
	v_mov_b32_e32 v188, 0
	v_mov_b32_e32 v189, 0
	v_mov_b32_e32 v190, 0
	s_and_saveexec_b64 s[34:35], s[6:7]
	s_cbranch_execz .LBB199_106
; %bb.105:                              ;   in Loop: Header=BB199_3 Depth=1
	v_lshl_add_u64 v[134:135], v[78:79], 0, v[6:7]
	v_lshl_add_u64 v[136:137], v[80:81], 0, v[6:7]
	global_load_ushort v134, v[134:135], off
	s_nop 0
	global_load_ushort v135, v[136:137], off
	s_waitcnt vmcnt(1)
	v_lshlrev_b32_e32 v189, 16, v134
	s_waitcnt vmcnt(0)
	v_lshlrev_b32_e32 v190, 16, v135
.LBB199_106:                            ;   in Loop: Header=BB199_3 Depth=1
	s_or_b64 exec, exec, s[34:35]
	v_mov_b32_e32 v191, 0
	s_and_saveexec_b64 s[34:35], s[6:7]
	s_cbranch_execz .LBB199_108
; %bb.107:                              ;   in Loop: Header=BB199_3 Depth=1
	v_lshl_add_u64 v[134:135], v[74:75], 0, v[6:7]
	v_lshl_add_u64 v[136:137], v[76:77], 0, v[6:7]
	global_load_ushort v134, v[134:135], off
	s_nop 0
	global_load_ushort v135, v[136:137], off
	s_waitcnt vmcnt(1)
	v_lshlrev_b32_e32 v188, 16, v134
	s_waitcnt vmcnt(0)
	v_lshlrev_b32_e32 v191, 16, v135
.LBB199_108:                            ;   in Loop: Header=BB199_3 Depth=1
	;; [unrolled: 32-line block ×4, first 2 shown]
	s_or_b64 exec, exec, s[34:35]
	v_mov_b32_e32 v135, 0
	v_mov_b32_e32 v134, 0
	v_mov_b32_e32 v136, 0
	s_and_saveexec_b64 s[34:35], s[6:7]
	s_cbranch_execz .LBB199_118
; %bb.117:                              ;   in Loop: Header=BB199_3 Depth=1
	v_lshl_add_u64 v[136:137], v[54:55], 0, v[6:7]
	v_lshl_add_u64 v[138:139], v[56:57], 0, v[6:7]
	global_load_ushort v134, v[136:137], off
	s_nop 0
	global_load_ushort v136, v[138:139], off
	s_waitcnt vmcnt(1)
	v_lshlrev_b32_e32 v134, 16, v134
	s_waitcnt vmcnt(0)
	v_lshlrev_b32_e32 v136, 16, v136
.LBB199_118:                            ;   in Loop: Header=BB199_3 Depth=1
	s_or_b64 exec, exec, s[34:35]
	v_mov_b32_e32 v137, 0
	s_and_saveexec_b64 s[34:35], s[6:7]
	s_cbranch_execz .LBB199_120
; %bb.119:                              ;   in Loop: Header=BB199_3 Depth=1
	v_lshl_add_u64 v[138:139], v[0:1], 0, v[6:7]
	v_lshl_add_u64 v[140:141], v[52:53], 0, v[6:7]
	global_load_ushort v135, v[138:139], off
	global_load_ushort v137, v[140:141], off
	s_waitcnt vmcnt(1)
	v_lshlrev_b32_e32 v135, 16, v135
	s_waitcnt vmcnt(0)
	v_lshlrev_b32_e32 v137, 16, v137
.LBB199_120:                            ;   in Loop: Header=BB199_3 Depth=1
	s_or_b64 exec, exec, s[34:35]
	v_mov_b32_e32 v139, 0
	v_mov_b32_e32 v138, 0
	v_mov_b32_e32 v140, 0
	s_and_saveexec_b64 s[34:35], s[6:7]
	s_cbranch_execz .LBB199_122
; %bb.121:                              ;   in Loop: Header=BB199_3 Depth=1
	v_lshl_add_u64 v[140:141], v[48:49], 0, v[6:7]
	v_lshl_add_u64 v[142:143], v[50:51], 0, v[6:7]
	global_load_ushort v138, v[140:141], off
	s_nop 0
	global_load_ushort v140, v[142:143], off
	s_waitcnt vmcnt(1)
	v_lshlrev_b32_e32 v138, 16, v138
	s_waitcnt vmcnt(0)
	v_lshlrev_b32_e32 v140, 16, v140
.LBB199_122:                            ;   in Loop: Header=BB199_3 Depth=1
	s_or_b64 exec, exec, s[34:35]
	v_mov_b32_e32 v141, 0
	s_and_saveexec_b64 s[34:35], s[6:7]
	s_cbranch_execz .LBB199_124
; %bb.123:                              ;   in Loop: Header=BB199_3 Depth=1
	v_lshl_add_u64 v[142:143], v[44:45], 0, v[6:7]
	v_lshl_add_u64 v[144:145], v[46:47], 0, v[6:7]
	global_load_ushort v139, v[142:143], off
	global_load_ushort v141, v[144:145], off
	s_waitcnt vmcnt(1)
	v_lshlrev_b32_e32 v139, 16, v139
	s_waitcnt vmcnt(0)
	v_lshlrev_b32_e32 v141, 16, v141
.LBB199_124:                            ;   in Loop: Header=BB199_3 Depth=1
	;; [unrolled: 31-line block ×5, first 2 shown]
	s_or_b64 exec, exec, s[34:35]
	v_mov_b32_e32 v155, 0
	v_mov_b32_e32 v154, 0
	;; [unrolled: 1-line block ×3, first 2 shown]
	s_and_saveexec_b64 s[34:35], s[6:7]
	s_cbranch_execnz .LBB199_143
; %bb.137:                              ;   in Loop: Header=BB199_3 Depth=1
	s_or_b64 exec, exec, s[34:35]
	v_mov_b32_e32 v157, 0
	s_and_saveexec_b64 s[34:35], s[6:7]
	s_cbranch_execnz .LBB199_144
.LBB199_138:                            ;   in Loop: Header=BB199_3 Depth=1
	s_or_b64 exec, exec, s[34:35]
	v_mov_b32_e32 v199, 0
	s_and_saveexec_b64 s[34:35], s[6:7]
	s_cbranch_execz .LBB199_140
.LBB199_139:                            ;   in Loop: Header=BB199_3 Depth=1
	v_lshl_add_u64 v[202:203], v[8:9], 0, v[6:7]
	v_lshl_add_u64 v[204:205], v[10:11], 0, v[6:7]
	global_load_ushort v199, v[202:203], off
	global_load_ushort v201, v[204:205], off
	s_waitcnt vmcnt(1)
	v_lshlrev_b32_e32 v199, 16, v199
	s_waitcnt vmcnt(0)
	v_lshlrev_b32_e32 v201, 16, v201
	v_mul_f32_e32 v199, v201, v199
.LBB199_140:                            ;   in Loop: Header=BB199_3 Depth=1
	s_or_b64 exec, exec, s[34:35]
	s_waitcnt vmcnt(0)
	ds_bpermute_b32 v201, v162, v158
	ds_bpermute_b32 v202, v162, v158 offset:4
	v_mul_f32_e32 v2, v159, v2
	ds_bpermute_b32 v159, v162, v158 offset:8
	v_mul_f32_e32 v31, v31, v164
	s_waitcnt lgkmcnt(2)
	v_fmac_f32_e32 v163, v2, v201
	ds_bpermute_b32 v2, v162, v158 offset:12
	s_waitcnt lgkmcnt(2)
	v_fmac_f32_e32 v163, v31, v202
	v_mul_f32_e32 v30, v30, v165
	s_waitcnt lgkmcnt(1)
	v_fmac_f32_e32 v163, v30, v159
	ds_bpermute_b32 v30, v162, v158 offset:16
	v_mul_f32_e32 v31, v167, v168
	s_waitcnt lgkmcnt(1)
	v_fmac_f32_e32 v163, v31, v2
	ds_bpermute_b32 v2, v162, v158 offset:20
	;; [unrolled: 4-line block ×10, first 2 shown]
	v_mul_f32_e32 v31, v184, v187
	s_waitcnt lgkmcnt(1)
	v_fmac_f32_e32 v163, v31, v30
	v_mul_f32_e32 v30, v189, v190
	ds_bpermute_b32 v31, v162, v158 offset:56
	s_waitcnt lgkmcnt(1)
	v_fmac_f32_e32 v163, v30, v2
	ds_bpermute_b32 v2, v162, v158 offset:60
	ds_bpermute_b32 v159, v162, v158 offset:64
	v_mul_f32_e32 v30, v188, v191
	s_waitcnt lgkmcnt(2)
	v_fmac_f32_e32 v163, v30, v31
	v_mul_f32_e32 v30, v193, v194
	s_waitcnt lgkmcnt(1)
	v_fmac_f32_e32 v163, v30, v2
	v_mul_f32_e32 v2, v192, v195
	ds_bpermute_b32 v30, v162, v158 offset:76
	ds_bpermute_b32 v31, v162, v158 offset:80
	s_waitcnt lgkmcnt(2)
	v_fmac_f32_e32 v163, v2, v159
	ds_bpermute_b32 v2, v162, v158 offset:68
	ds_bpermute_b32 v164, v162, v158 offset:72
	v_pk_mul_f32 v[134:135], v[134:135], v[136:137]
	v_mul_f32_e32 v159, v197, v198
	s_waitcnt lgkmcnt(2)
	v_pk_mul_f32 v[30:31], v[134:135], v[30:31]
	ds_bpermute_b32 v134, v162, v158 offset:84
	ds_bpermute_b32 v135, v162, v158 offset:88
	s_waitcnt lgkmcnt(3)
	v_fmac_f32_e32 v163, v159, v2
	v_mul_f32_e32 v2, v196, v200
	s_waitcnt lgkmcnt(2)
	v_fmac_f32_e32 v163, v2, v164
	v_add_f32_e32 v2, v163, v30
	ds_bpermute_b32 v136, v162, v158 offset:92
	ds_bpermute_b32 v137, v162, v158 offset:96
	v_add_f32_e32 v2, v2, v31
	v_pk_mul_f32 v[30:31], v[138:139], v[140:141]
	s_waitcnt lgkmcnt(2)
	v_pk_mul_f32 v[30:31], v[30:31], v[134:135]
	ds_bpermute_b32 v134, v162, v158 offset:100
	v_add_f32_e32 v2, v2, v30
	ds_bpermute_b32 v135, v162, v158 offset:104
	v_add_f32_e32 v2, v2, v31
	v_pk_mul_f32 v[30:31], v[142:143], v[144:145]
	s_waitcnt lgkmcnt(2)
	v_pk_mul_f32 v[30:31], v[30:31], v[136:137]
	ds_bpermute_b32 v136, v162, v158 offset:108
	v_add_f32_e32 v2, v2, v30
	;; [unrolled: 7-line block ×3, first 2 shown]
	ds_bpermute_b32 v135, v162, v158 offset:120
	v_add_f32_e32 v2, v2, v31
	v_pk_mul_f32 v[30:31], v[150:151], v[152:153]
	s_waitcnt lgkmcnt(2)
	v_pk_mul_f32 v[30:31], v[30:31], v[136:137]
	s_nop 0
	v_add_f32_e32 v2, v2, v30
	v_add_f32_e32 v136, v2, v31
	v_pk_mul_f32 v[30:31], v[154:155], v[156:157]
	ds_bpermute_b32 v2, v162, v158 offset:124
	s_waitcnt lgkmcnt(1)
	v_pk_mul_f32 v[30:31], v[30:31], v[134:135]
	s_nop 0
	v_add_f32_e32 v30, v136, v30
	v_add_f32_e32 v31, v30, v31
.LBB199_141:                            ;   in Loop: Header=BB199_3 Depth=1
	s_add_u32 s30, s30, s22
	s_addc_u32 s31, s31, 0
	v_mov_b64_e32 v[134:135], s[12:13]
	s_add_u32 s26, s26, s22
	v_cmp_lt_i64_e32 vcc, s[30:31], v[134:135]
	s_waitcnt lgkmcnt(0)
	v_fmac_f32_e32 v31, v199, v2
	v_lshl_add_u64 v[8:9], v[8:9], 0, s[28:29]
	v_lshl_add_u64 v[10:11], v[10:11], 0, s[28:29]
	;; [unrolled: 1-line block ×65, first 2 shown]
	s_addc_u32 s27, s27, 0
	s_cbranch_vccz .LBB199_146
; %bb.142:                              ;   in Loop: Header=BB199_3 Depth=1
	v_mov_b32_e32 v163, v31
	s_branch .LBB199_3
.LBB199_143:                            ;   in Loop: Header=BB199_3 Depth=1
	v_lshl_add_u64 v[156:157], v[16:17], 0, v[6:7]
	v_lshl_add_u64 v[202:203], v[18:19], 0, v[6:7]
	global_load_ushort v154, v[156:157], off
	s_nop 0
	global_load_ushort v156, v[202:203], off
	s_waitcnt vmcnt(1)
	v_lshlrev_b32_e32 v154, 16, v154
	s_waitcnt vmcnt(0)
	v_lshlrev_b32_e32 v156, 16, v156
	s_or_b64 exec, exec, s[34:35]
	v_mov_b32_e32 v157, 0
	s_and_saveexec_b64 s[34:35], s[6:7]
	s_cbranch_execz .LBB199_138
.LBB199_144:                            ;   in Loop: Header=BB199_3 Depth=1
	v_lshl_add_u64 v[202:203], v[12:13], 0, v[6:7]
	v_lshl_add_u64 v[204:205], v[14:15], 0, v[6:7]
	global_load_ushort v155, v[202:203], off
	global_load_ushort v157, v[204:205], off
	s_waitcnt vmcnt(1)
	v_lshlrev_b32_e32 v155, 16, v155
	s_waitcnt vmcnt(0)
	v_lshlrev_b32_e32 v157, 16, v157
	s_or_b64 exec, exec, s[34:35]
	v_mov_b32_e32 v199, 0
	s_and_saveexec_b64 s[34:35], s[6:7]
	s_cbranch_execnz .LBB199_139
	s_branch .LBB199_140
.LBB199_145:
                                        ; implicit-def: $vgpr31
	s_load_dwordx2 s[6:7], s[0:1], 0x30
	s_branch .LBB199_148
.LBB199_146:
	v_mov_b32_e32 v0, v208
.LBB199_147:
	s_load_dwordx2 s[6:7], s[0:1], 0x30
	s_cbranch_execnz .LBB199_229
.LBB199_148:
	s_and_b64 vcc, exec, s[4:5]
	v_mov_b32_e32 v31, 0
	s_cbranch_vccnz .LBB199_229
; %bb.149:
	v_and_b32_e32 v1, 0x3ff, v0
	v_add_u32_e32 v130, s3, v1
	v_mov_b32_e32 v131, 0
	v_bfe_u32 v31, v0, 10, 10
	v_lshlrev_b64 v[4:5], 1, v[130:131]
	v_lshlrev_b32_e32 v130, 6, v31
	v_accvgpr_write_b32 a0, v1
	v_accvgpr_write_b32 a76, v0
	v_lshl_add_u64 v[0:1], s[20:21], 1, v[130:131]
	v_lshl_add_u64 v[6:7], v[0:1], 0, 2
	v_mov_b64_e32 v[2:3], s[16:17]
	v_mov_b64_e32 v[8:9], s[18:19]
	v_mad_u64_u32 v[40:41], s[4:5], s14, v6, v[2:3]
	v_mul_lo_u32 v7, s14, v7
	v_mul_lo_u32 v24, s15, v6
	v_lshl_add_u64 v[10:11], v[0:1], 0, 4
	v_lshl_add_u64 v[16:17], v[0:1], 0, 10
	v_mad_u64_u32 v[56:57], s[4:5], s14, v6, v[8:9]
	v_add3_u32 v41, v24, v41, v7
	v_mad_u64_u32 v[42:43], s[4:5], s14, v10, v[2:3]
	v_mul_lo_u32 v11, s14, v11
	v_mul_lo_u32 v25, s15, v10
	v_lshl_add_u64 v[12:13], v[0:1], 0, 6
	v_lshl_add_u64 v[14:15], v[0:1], 0, 8
	v_mad_u64_u32 v[48:49], s[4:5], s14, v16, v[2:3]
	v_mul_lo_u32 v17, s14, v17
	v_mul_lo_u32 v28, s15, v16
	v_lshl_add_u64 v[18:19], v[0:1], 0, 12
	v_add3_u32 v57, v24, v57, v7
	v_mad_u64_u32 v[58:59], s[4:5], s14, v10, v[8:9]
	v_lshl_add_u64 v[6:7], v[0:1], 0, 18
	v_mad_u64_u32 v[66:67], s[4:5], s14, v16, v[8:9]
	v_add3_u32 v43, v25, v43, v11
	v_mad_u64_u32 v[44:45], s[4:5], s14, v12, v[2:3]
	v_mul_lo_u32 v13, s14, v13
	v_mul_lo_u32 v26, s15, v12
	v_mad_u64_u32 v[46:47], s[4:5], s14, v14, v[2:3]
	v_mul_lo_u32 v15, s14, v15
	v_mul_lo_u32 v27, s15, v14
	v_add3_u32 v49, v28, v49, v17
	v_mad_u64_u32 v[50:51], s[4:5], s14, v18, v[2:3]
	v_mul_lo_u32 v19, s14, v19
	v_mul_lo_u32 v29, s15, v18
	v_add3_u32 v59, v25, v59, v11
	v_mad_u64_u32 v[60:61], s[4:5], s14, v12, v[8:9]
	v_mul_lo_u32 v7, s14, v7
	v_mad_u64_u32 v[64:65], s[4:5], s14, v14, v[8:9]
	v_mul_lo_u32 v14, s15, v6
	v_add3_u32 v67, v28, v67, v17
	v_lshl_add_u64 v[10:11], v[0:1], 0, 20
	v_mad_u64_u32 v[68:69], s[4:5], s14, v18, v[8:9]
	v_mad_u64_u32 v[16:17], s[4:5], s14, v6, v[8:9]
	v_add3_u32 v45, v26, v45, v13
	v_add3_u32 v47, v27, v47, v15
	;; [unrolled: 1-line block ×4, first 2 shown]
	v_mad_u64_u32 v[62:63], s[4:5], s14, v6, v[2:3]
	v_add3_u32 v65, v27, v65, v15
	v_add3_u32 v69, v29, v69, v19
	v_mad_u64_u32 v[70:71], s[4:5], s14, v10, v[2:3]
	v_mul_lo_u32 v11, s14, v11
	v_mul_lo_u32 v15, s15, v10
	v_lshl_add_u64 v[12:13], v[0:1], 0, 22
	v_add3_u32 v17, v14, v17, v7
	v_mad_u64_u32 v[18:19], s[4:5], s14, v10, v[8:9]
	v_add3_u32 v63, v14, v63, v7
	v_add3_u32 v71, v15, v71, v11
	v_accvgpr_write_b32 a41, v17
	v_mul_lo_u32 v6, s14, v13
	v_add3_u32 v19, v15, v19, v11
	v_mul_lo_u32 v7, s15, v12
	v_mad_u64_u32 v[10:11], s[4:5], s14, v12, v[8:9]
	v_accvgpr_write_b32 a40, v16
	v_mad_u64_u32 v[16:17], s[4:5], s14, v12, v[2:3]
	v_add3_u32 v11, v7, v11, v6
	v_add3_u32 v17, v7, v17, v6
	v_accvgpr_write_b32 a47, v11
	v_lshl_add_u64 v[6:7], v[0:1], 0, 24
	v_accvgpr_write_b32 a46, v10
	v_mul_lo_u32 v7, s14, v7
	v_mul_lo_u32 v10, s15, v6
	v_mad_u64_u32 v[12:13], s[4:5], s14, v6, v[2:3]
	v_add3_u32 v13, v10, v13, v7
	v_accvgpr_write_b32 a49, v13
	v_accvgpr_write_b32 a48, v12
	v_mad_u64_u32 v[12:13], s[4:5], s14, v6, v[8:9]
	v_add3_u32 v13, v10, v13, v7
	v_accvgpr_write_b32 a51, v13
	v_lshl_add_u64 v[6:7], v[0:1], 0, 26
	v_accvgpr_write_b32 a50, v12
	v_mul_lo_u32 v7, s14, v7
	v_mul_lo_u32 v10, s15, v6
	v_mad_u64_u32 v[12:13], s[4:5], s14, v6, v[2:3]
	v_add3_u32 v13, v10, v13, v7
	v_accvgpr_write_b32 a53, v13
	v_accvgpr_write_b32 a52, v12
	v_mad_u64_u32 v[12:13], s[4:5], s14, v6, v[8:9]
	;; [unrolled: 11-line block ×7, first 2 shown]
	v_add3_u32 v13, v10, v13, v7
	v_lshl_add_u64 v[6:7], v[0:1], 0, 38
	v_mul_lo_u32 v7, s14, v7
	v_mul_lo_u32 v10, s15, v6
	v_mad_u64_u32 v[78:79], s[4:5], s14, v6, v[2:3]
	v_mad_u64_u32 v[80:81], s[4:5], s14, v6, v[8:9]
	v_add3_u32 v79, v10, v79, v7
	v_add3_u32 v81, v10, v81, v7
	v_lshl_add_u64 v[6:7], v[0:1], 0, 40
	v_mul_lo_u32 v7, s14, v7
	v_mul_lo_u32 v10, s15, v6
	v_mad_u64_u32 v[82:83], s[4:5], s14, v6, v[2:3]
	v_mad_u64_u32 v[84:85], s[4:5], s14, v6, v[8:9]
	v_add3_u32 v83, v10, v83, v7
	;; [unrolled: 7-line block ×11, first 2 shown]
	v_add3_u32 v121, v10, v121, v7
	v_lshl_add_u64 v[6:7], v[0:1], 0, 60
	v_lshl_add_u64 v[20:21], v[0:1], 0, 14
	;; [unrolled: 1-line block ×3, first 2 shown]
	v_mul_lo_u32 v7, s14, v7
	v_mul_lo_u32 v10, s15, v6
	v_mad_u64_u32 v[122:123], s[4:5], s14, v6, v[2:3]
	v_mad_u64_u32 v[124:125], s[4:5], s14, v6, v[8:9]
	v_lshl_add_u64 v[0:1], v[0:1], 0, 62
	v_lshlrev_b32_e32 v130, 5, v31
	v_add3_u32 v123, v10, v123, v7
	v_add3_u32 v125, v10, v125, v7
	v_mad_u64_u32 v[126:127], s[4:5], s14, v0, v[2:3]
	v_mad_u64_u32 v[128:129], s[4:5], s14, v0, v[8:9]
	v_mul_lo_u32 v1, s14, v1
	v_mul_lo_u32 v0, s15, v0
	v_lshl_add_u64 v[6:7], v[130:131], 0, s[20:21]
	v_add3_u32 v127, v0, v127, v1
	v_add3_u32 v129, v0, v129, v1
	v_lshl_add_u64 v[0:1], v[6:7], 0, 31
	v_mad_u64_u32 v[52:53], s[4:5], s14, v20, v[2:3]
	v_mad_u64_u32 v[54:55], s[4:5], s14, v22, v[2:3]
	v_mul_lo_u32 v2, s15, v0
	v_mul_lo_u32 v1, s14, v1
	v_mad_u64_u32 v[136:137], s[4:5], s14, v0, 0
	v_add3_u32 v137, v137, v1, v2
	v_lshl_add_u64 v[2:3], v[6:7], 0, 30
	v_mad_u64_u32 v[72:73], s[4:5], s14, v20, v[8:9]
	v_mad_u64_u32 v[74:75], s[4:5], s14, v22, v[8:9]
	v_mul_lo_u32 v0, s15, v2
	v_mul_lo_u32 v1, s14, v3
	v_mad_u64_u32 v[2:3], s[4:5], s14, v2, 0
	v_lshl_add_u64 v[8:9], v[6:7], 0, 29
	v_accvgpr_write_b32 a75, v13
	v_add3_u32 v3, v3, v1, v0
	v_mul_lo_u32 v0, s15, v8
	v_mul_lo_u32 v1, s14, v9
	v_mad_u64_u32 v[8:9], s[4:5], s14, v8, 0
	v_lshl_add_u64 v[10:11], v[6:7], 0, 28
	v_accvgpr_write_b32 a74, v12
	v_add3_u32 v9, v9, v1, v0
	;; [unrolled: 6-line block ×3, first 2 shown]
	v_mul_lo_u32 v0, s15, v12
	v_mul_lo_u32 v1, s14, v13
	v_mad_u64_u32 v[12:13], s[4:5], s14, v12, 0
	v_lshl_add_u64 v[14:15], v[6:7], 0, 26
	v_accvgpr_write_b32 a45, v19
	v_accvgpr_write_b32 a42, v16
	v_add3_u32 v13, v13, v1, v0
	v_mul_lo_u32 v0, s15, v14
	v_mul_lo_u32 v1, s14, v15
	v_mad_u64_u32 v[14:15], s[4:5], s14, v14, 0
	v_lshl_add_u64 v[16:17], v[6:7], 0, 25
	v_mul_lo_u32 v21, s14, v21
	v_mul_lo_u32 v30, s15, v20
	v_accvgpr_write_b32 a44, v18
	v_add3_u32 v15, v15, v1, v0
	v_mul_lo_u32 v0, s15, v16
	v_mul_lo_u32 v1, s14, v17
	v_mad_u64_u32 v[16:17], s[4:5], s14, v16, 0
	v_lshl_add_u64 v[18:19], v[6:7], 0, 24
	v_add3_u32 v53, v30, v53, v21
	v_mul_lo_u32 v23, s14, v23
	v_mul_lo_u32 v24, s15, v22
	v_add3_u32 v73, v30, v73, v21
	v_add3_u32 v17, v17, v1, v0
	v_mul_lo_u32 v0, s15, v18
	v_mul_lo_u32 v1, s14, v19
	v_mad_u64_u32 v[18:19], s[4:5], s14, v18, 0
	v_lshl_add_u64 v[20:21], v[6:7], 0, 23
	v_add3_u32 v55, v24, v55, v23
	v_add3_u32 v75, v24, v75, v23
	;; [unrolled: 1-line block ×3, first 2 shown]
	v_mul_lo_u32 v0, s15, v20
	v_mul_lo_u32 v1, s14, v21
	v_mad_u64_u32 v[20:21], s[4:5], s14, v20, 0
	v_lshl_add_u64 v[22:23], v[6:7], 0, 22
	v_lshlrev_b64 v[2:3], 1, v[2:3]
	v_add3_u32 v21, v21, v1, v0
	v_mul_lo_u32 v0, s15, v22
	v_mul_lo_u32 v1, s14, v23
	v_mad_u64_u32 v[22:23], s[4:5], s14, v22, 0
	v_lshl_add_u64 v[24:25], v[6:7], 0, 21
	v_lshl_add_u64 v[140:141], s[16:17], 0, v[2:3]
	v_lshl_add_u64 v[142:143], s[18:19], 0, v[2:3]
	v_lshlrev_b64 v[2:3], 1, v[8:9]
	v_add3_u32 v23, v23, v1, v0
	v_mul_lo_u32 v0, s15, v24
	v_mul_lo_u32 v1, s14, v25
	v_mad_u64_u32 v[24:25], s[4:5], s14, v24, 0
	v_lshl_add_u64 v[26:27], v[6:7], 0, 20
	v_lshl_add_u64 v[144:145], s[16:17], 0, v[2:3]
	;; [unrolled: 8-line block ×3, first 2 shown]
	v_lshl_add_u64 v[150:151], s[18:19], 0, v[2:3]
	v_lshlrev_b64 v[2:3], 1, v[12:13]
	v_accvgpr_write_b32 a1, v31
	v_add3_u32 v27, v27, v1, v0
	v_mul_lo_u32 v0, s15, v28
	v_mul_lo_u32 v1, s14, v29
	v_mad_u64_u32 v[28:29], s[4:5], s14, v28, 0
	v_lshl_add_u64 v[30:31], v[6:7], 0, 18
	v_lshl_add_u64 v[152:153], s[16:17], 0, v[2:3]
	v_lshl_add_u64 v[154:155], s[18:19], 0, v[2:3]
	v_lshlrev_b64 v[2:3], 1, v[14:15]
	v_add3_u32 v29, v29, v1, v0
	v_mul_lo_u32 v0, s15, v30
	v_mul_lo_u32 v1, s14, v31
	v_mad_u64_u32 v[30:31], s[4:5], s14, v30, 0
	v_lshl_add_u64 v[32:33], v[6:7], 0, 17
	v_lshl_add_u64 v[156:157], s[16:17], 0, v[2:3]
	v_lshl_add_u64 v[158:159], s[18:19], 0, v[2:3]
	v_lshlrev_b64 v[2:3], 1, v[16:17]
	v_add3_u32 v31, v31, v1, v0
	v_mul_lo_u32 v0, s15, v32
	v_mul_lo_u32 v1, s14, v33
	v_mad_u64_u32 v[32:33], s[4:5], s14, v32, 0
	v_lshl_add_u64 v[34:35], v[6:7], 0, 16
	v_lshl_add_u64 v[160:161], s[16:17], 0, v[2:3]
	v_lshl_add_u64 v[162:163], s[18:19], 0, v[2:3]
	v_lshlrev_b64 v[2:3], 1, v[18:19]
	v_add3_u32 v33, v33, v1, v0
	v_mul_lo_u32 v0, s15, v34
	v_mul_lo_u32 v1, s14, v35
	v_mad_u64_u32 v[34:35], s[4:5], s14, v34, 0
	v_lshl_add_u64 v[132:133], v[6:7], 0, 15
	v_lshl_add_u64 v[164:165], s[16:17], 0, v[2:3]
	v_lshl_add_u64 v[166:167], s[18:19], 0, v[2:3]
	v_lshlrev_b64 v[2:3], 1, v[20:21]
	v_add3_u32 v35, v35, v1, v0
	v_mul_lo_u32 v0, s15, v132
	v_mul_lo_u32 v1, s14, v133
	v_mad_u64_u32 v[200:201], s[4:5], s14, v132, 0
	v_lshl_add_u64 v[132:133], v[6:7], 0, 14
	v_lshl_add_u64 v[168:169], s[16:17], 0, v[2:3]
	v_lshl_add_u64 v[170:171], s[18:19], 0, v[2:3]
	v_lshlrev_b64 v[2:3], 1, v[22:23]
	v_add3_u32 v201, v201, v1, v0
	v_mul_lo_u32 v0, s15, v132
	v_mul_lo_u32 v1, s14, v133
	v_mad_u64_u32 v[204:205], s[4:5], s14, v132, 0
	v_lshl_add_u64 v[132:133], v[6:7], 0, 13
	v_lshl_add_u64 v[172:173], s[16:17], 0, v[2:3]
	v_lshl_add_u64 v[174:175], s[18:19], 0, v[2:3]
	v_lshlrev_b64 v[2:3], 1, v[24:25]
	v_add3_u32 v205, v205, v1, v0
	v_mul_lo_u32 v0, s15, v132
	v_mul_lo_u32 v1, s14, v133
	v_mad_u64_u32 v[208:209], s[4:5], s14, v132, 0
	v_lshl_add_u64 v[132:133], v[6:7], 0, 12
	v_lshl_add_u64 v[176:177], s[16:17], 0, v[2:3]
	v_lshl_add_u64 v[178:179], s[18:19], 0, v[2:3]
	v_lshlrev_b64 v[2:3], 1, v[26:27]
	v_add3_u32 v209, v209, v1, v0
	v_mul_lo_u32 v0, s15, v132
	v_mul_lo_u32 v1, s14, v133
	v_mad_u64_u32 v[212:213], s[4:5], s14, v132, 0
	v_lshl_add_u64 v[132:133], v[6:7], 0, 11
	v_lshl_add_u64 v[180:181], s[16:17], 0, v[2:3]
	v_lshl_add_u64 v[182:183], s[18:19], 0, v[2:3]
	v_lshlrev_b64 v[2:3], 1, v[28:29]
	v_add3_u32 v213, v213, v1, v0
	v_mul_lo_u32 v0, s15, v132
	v_mul_lo_u32 v1, s14, v133
	v_mad_u64_u32 v[216:217], s[4:5], s14, v132, 0
	v_lshl_add_u64 v[132:133], v[6:7], 0, 10
	v_lshl_add_u64 v[184:185], s[16:17], 0, v[2:3]
	v_lshl_add_u64 v[186:187], s[18:19], 0, v[2:3]
	v_lshlrev_b64 v[2:3], 1, v[30:31]
	v_add3_u32 v217, v217, v1, v0
	v_mul_lo_u32 v0, s15, v132
	v_mul_lo_u32 v1, s14, v133
	v_mad_u64_u32 v[220:221], s[4:5], s14, v132, 0
	v_lshl_add_u64 v[132:133], v[6:7], 0, 9
	v_lshl_add_u64 v[188:189], s[16:17], 0, v[2:3]
	v_lshl_add_u64 v[190:191], s[18:19], 0, v[2:3]
	v_lshlrev_b64 v[2:3], 1, v[32:33]
	v_add3_u32 v221, v221, v1, v0
	v_mul_lo_u32 v0, s15, v132
	v_mul_lo_u32 v1, s14, v133
	v_mad_u64_u32 v[224:225], s[4:5], s14, v132, 0
	v_lshl_add_u64 v[132:133], v[6:7], 0, 8
	v_lshl_add_u64 v[192:193], s[16:17], 0, v[2:3]
	v_lshl_add_u64 v[194:195], s[18:19], 0, v[2:3]
	v_lshlrev_b64 v[2:3], 1, v[34:35]
	v_add3_u32 v225, v225, v1, v0
	v_mul_lo_u32 v0, s15, v132
	v_mul_lo_u32 v1, s14, v133
	v_mad_u64_u32 v[228:229], s[4:5], s14, v132, 0
	v_lshl_add_u64 v[132:133], v[6:7], 0, 7
	v_lshl_add_u64 v[196:197], s[16:17], 0, v[2:3]
	v_lshl_add_u64 v[198:199], s[18:19], 0, v[2:3]
	v_lshlrev_b64 v[2:3], 1, v[200:201]
	v_add3_u32 v229, v229, v1, v0
	v_mul_lo_u32 v0, s15, v132
	v_mul_lo_u32 v1, s14, v133
	v_mad_u64_u32 v[232:233], s[4:5], s14, v132, 0
	v_lshl_add_u64 v[132:133], v[6:7], 0, 6
	v_lshl_add_u64 v[200:201], s[16:17], 0, v[2:3]
	v_lshl_add_u64 v[202:203], s[18:19], 0, v[2:3]
	v_lshlrev_b64 v[2:3], 1, v[204:205]
	v_add3_u32 v233, v233, v1, v0
	v_mul_lo_u32 v0, s15, v132
	v_mul_lo_u32 v1, s14, v133
	v_mad_u64_u32 v[236:237], s[4:5], s14, v132, 0
	v_lshl_add_u64 v[132:133], v[6:7], 0, 5
	v_lshl_add_u64 v[204:205], s[16:17], 0, v[2:3]
	v_lshl_add_u64 v[206:207], s[18:19], 0, v[2:3]
	v_lshlrev_b64 v[2:3], 1, v[208:209]
	v_add3_u32 v237, v237, v1, v0
	v_mul_lo_u32 v0, s15, v132
	v_mul_lo_u32 v1, s14, v133
	v_mad_u64_u32 v[240:241], s[4:5], s14, v132, 0
	v_lshl_add_u64 v[132:133], v[6:7], 0, 4
	v_lshl_add_u64 v[208:209], s[16:17], 0, v[2:3]
	v_lshl_add_u64 v[210:211], s[18:19], 0, v[2:3]
	v_lshlrev_b64 v[2:3], 1, v[212:213]
	v_add3_u32 v241, v241, v1, v0
	v_mul_lo_u32 v0, s15, v132
	v_mul_lo_u32 v1, s14, v133
	v_mad_u64_u32 v[244:245], s[4:5], s14, v132, 0
	v_lshl_add_u64 v[132:133], v[6:7], 0, 3
	v_lshl_add_u64 v[212:213], s[16:17], 0, v[2:3]
	v_lshl_add_u64 v[214:215], s[18:19], 0, v[2:3]
	v_lshlrev_b64 v[2:3], 1, v[216:217]
	v_add3_u32 v245, v245, v1, v0
	v_mul_lo_u32 v0, s15, v132
	v_mul_lo_u32 v1, s14, v133
	v_mad_u64_u32 v[248:249], s[4:5], s14, v132, 0
	v_lshl_add_u64 v[132:133], v[6:7], 0, 2
	v_lshl_add_u64 v[216:217], s[16:17], 0, v[2:3]
	v_lshl_add_u64 v[218:219], s[18:19], 0, v[2:3]
	v_lshlrev_b64 v[2:3], 1, v[220:221]
	v_add3_u32 v249, v249, v1, v0
	v_mul_lo_u32 v0, s15, v132
	v_mul_lo_u32 v1, s14, v133
	v_mad_u64_u32 v[252:253], s[4:5], s14, v132, 0
	v_mov_b64_e32 v[132:133], s[14:15]
	s_load_dword s3, s[0:1], 0x44
	v_lshl_add_u64 v[220:221], s[16:17], 0, v[2:3]
	v_lshl_add_u64 v[222:223], s[18:19], 0, v[2:3]
	v_lshlrev_b64 v[2:3], 1, v[224:225]
	v_add3_u32 v253, v253, v1, v0
	v_mad_u64_u32 v[0:1], s[4:5], s14, v6, v[132:133]
	v_mul_lo_u32 v36, s15, v6
	v_mul_lo_u32 v37, s14, v7
	v_mad_u64_u32 v[6:7], s[4:5], s14, v6, 0
	v_lshl_add_u64 v[224:225], s[16:17], 0, v[2:3]
	v_lshl_add_u64 v[226:227], s[18:19], 0, v[2:3]
	v_lshlrev_b64 v[2:3], 1, v[228:229]
	v_add3_u32 v7, v7, v37, v36
	v_lshl_add_u64 v[228:229], s[16:17], 0, v[2:3]
	v_lshl_add_u64 v[230:231], s[18:19], 0, v[2:3]
	v_lshlrev_b64 v[2:3], 1, v[232:233]
	v_lshlrev_b64 v[6:7], 1, v[6:7]
	v_lshl_add_u64 v[232:233], s[16:17], 0, v[2:3]
	v_lshl_add_u64 v[234:235], s[18:19], 0, v[2:3]
	v_lshlrev_b64 v[2:3], 1, v[236:237]
	s_add_u32 s22, s0, 64
	v_lshl_add_u64 v[132:133], s[16:17], 0, v[6:7]
	v_lshl_add_u64 v[134:135], s[18:19], 0, v[6:7]
	v_lshlrev_b64 v[6:7], 1, v[136:137]
	v_lshl_add_u64 v[236:237], s[16:17], 0, v[2:3]
	v_lshl_add_u64 v[238:239], s[18:19], 0, v[2:3]
	v_lshlrev_b64 v[2:3], 1, v[240:241]
	s_addc_u32 s23, s1, 0
	s_waitcnt lgkmcnt(0)
	s_lshl_b32 s4, s3, 5
	v_lshl_add_u64 v[136:137], s[16:17], 0, v[6:7]
	v_lshl_add_u64 v[138:139], s[18:19], 0, v[6:7]
	;; [unrolled: 1-line block ×4, first 2 shown]
	v_lshlrev_b64 v[2:3], 1, v[244:245]
	v_mbcnt_lo_u32_b32 v6, -1, 0
	v_add3_u32 v1, v36, v1, v37
	s_mul_i32 s3, s15, s4
	s_mul_hi_u32 s9, s14, s4
	v_lshl_add_u64 v[244:245], s[16:17], 0, v[2:3]
	v_lshl_add_u64 v[246:247], s[18:19], 0, v[2:3]
	v_lshlrev_b64 v[2:3], 1, v[248:249]
	v_mbcnt_hi_u32_b32 v6, -1, v6
	s_add_i32 s25, s9, s3
	s_mul_i32 s24, s14, s4
	v_lshl_add_u64 v[248:249], s[16:17], 0, v[2:3]
	v_lshl_add_u64 v[250:251], s[18:19], 0, v[2:3]
	v_lshlrev_b64 v[2:3], 1, v[252:253]
	v_lshlrev_b64 v[0:1], 1, v[0:1]
	v_lshlrev_b32_e32 v6, 2, v6
	v_accvgpr_write_b32 a3, v131
	s_mov_b32 s5, 0
	s_lshl_b64 s[24:25], s[24:25], 1
	s_mov_b64 s[26:27], 31
	v_lshl_add_u64 v[252:253], s[16:17], 0, v[2:3]
	v_lshl_add_u64 v[254:255], s[18:19], 0, v[2:3]
	;; [unrolled: 1-line block ×4, first 2 shown]
	v_and_b32_e32 v27, 0x100, v6
	s_mov_b64 s[16:17], s[20:21]
	v_mov_b32_e32 v33, 0
.LBB199_150:                            ; =>This Inner Loop Header: Depth=1
	s_add_u32 s18, s20, s26
	s_addc_u32 s19, 0, s27
	v_mov_b64_e32 v[6:7], s[12:13]
	v_cmp_ge_i64_e32 vcc, s[18:19], v[6:7]
	v_lshl_add_u64 v[6:7], s[20:21], 0, v[130:131]
	s_cbranch_vccz .LBB199_220
; %bb.151:                              ;   in Loop: Header=BB199_150 Depth=1
	s_load_dword s3, s[22:23], 0xc
	v_mov_b32_e32 v8, 0
	v_accvgpr_write_b32 a96, v8             ;  Reload Reuse
	v_accvgpr_read_b32 v8, a0
	v_accvgpr_read_b32 v9, a1
	s_waitcnt lgkmcnt(0)
	s_and_b32 s3, s3, 0xffff
	v_mad_u32_u24 v8, v9, s3, v8
	v_and_b32_e32 v8, 63, v8
	v_accvgpr_read_b32 v9, a3
	v_accvgpr_write_b32 a2, v8
	v_accvgpr_write_b32 a3, v9
	v_cmp_gt_u32_e32 vcc, 32, v8
	v_mov_b32_e32 v32, 0
	s_and_saveexec_b64 s[18:19], vcc
	s_cbranch_execz .LBB199_155
; %bb.152:                              ;   in Loop: Header=BB199_150 Depth=1
	v_accvgpr_read_b32 v9, a3
	v_accvgpr_read_b32 v8, a2
	v_lshl_add_u64 v[8:9], v[6:7], 0, v[8:9]
	v_cmp_gt_i64_e32 vcc, s[12:13], v[8:9]
	v_mov_b32_e32 v32, 0
	s_and_saveexec_b64 s[28:29], vcc
	s_cbranch_execz .LBB199_154
; %bb.153:                              ;   in Loop: Header=BB199_150 Depth=1
	v_lshl_add_u64 v[8:9], v[8:9], 2, s[10:11]
	global_load_dword v32, v[8:9], off
.LBB199_154:                            ;   in Loop: Header=BB199_150 Depth=1
	s_or_b64 exec, exec, s[28:29]
.LBB199_155:                            ;   in Loop: Header=BB199_150 Depth=1
	s_or_b64 exec, exec, s[18:19]
	v_cmp_gt_i64_e32 vcc, s[12:13], v[6:7]
	v_mov_b32_e32 v77, 0
	s_and_saveexec_b64 s[18:19], vcc
	s_cbranch_execz .LBB199_157
; %bb.156:                              ;   in Loop: Header=BB199_150 Depth=1
	v_lshl_add_u64 v[8:9], v[132:133], 0, v[4:5]
	v_lshl_add_u64 v[10:11], v[134:135], 0, v[4:5]
	global_load_ushort v8, v[8:9], off
	s_nop 0
	global_load_ushort v9, v[10:11], off
	s_waitcnt vmcnt(1)
	v_lshlrev_b32_e32 v8, 16, v8
	v_accvgpr_write_b32 a96, v8             ;  Reload Reuse
	s_waitcnt vmcnt(0)
	v_lshlrev_b32_e32 v77, 16, v9
.LBB199_157:                            ;   in Loop: Header=BB199_150 Depth=1
	s_or_b64 exec, exec, s[18:19]
	v_lshl_add_u64 v[8:9], v[6:7], 0, 1
	v_cmp_gt_i64_e32 vcc, s[12:13], v[8:9]
	v_mov_b32_e32 v26, 0
	v_mov_b32_e32 v30, 0
	;; [unrolled: 1-line block ×3, first 2 shown]
	s_and_saveexec_b64 s[18:19], vcc
	s_cbranch_execz .LBB199_159
; %bb.158:                              ;   in Loop: Header=BB199_150 Depth=1
	v_lshl_add_u64 v[8:9], v[2:3], 0, v[4:5]
	v_lshl_add_u64 v[10:11], v[0:1], 0, v[4:5]
	global_load_ushort v8, v[8:9], off
	s_nop 0
	global_load_ushort v9, v[10:11], off
	s_waitcnt vmcnt(1)
	v_lshlrev_b32_e32 v30, 16, v8
	s_waitcnt vmcnt(0)
	v_lshlrev_b32_e32 v35, 16, v9
.LBB199_159:                            ;   in Loop: Header=BB199_150 Depth=1
	s_or_b64 exec, exec, s[18:19]
	v_lshl_add_u64 v[8:9], v[6:7], 0, 2
	v_cmp_gt_i64_e32 vcc, s[12:13], v[8:9]
	v_mov_b32_e32 v39, 0
	s_and_saveexec_b64 s[18:19], vcc
	s_cbranch_execz .LBB199_161
; %bb.160:                              ;   in Loop: Header=BB199_150 Depth=1
	v_lshl_add_u64 v[8:9], v[252:253], 0, v[4:5]
	v_lshl_add_u64 v[10:11], v[254:255], 0, v[4:5]
	global_load_ushort v8, v[8:9], off
	s_nop 0
	global_load_ushort v9, v[10:11], off
	s_waitcnt vmcnt(1)
	v_lshlrev_b32_e32 v26, 16, v8
	s_waitcnt vmcnt(0)
	v_lshlrev_b32_e32 v39, 16, v9
.LBB199_161:                            ;   in Loop: Header=BB199_150 Depth=1
	s_or_b64 exec, exec, s[18:19]
	v_lshl_add_u64 v[8:9], v[6:7], 0, 3
	v_cmp_gt_i64_e32 vcc, s[12:13], v[8:9]
	v_mov_b32_e32 v8, 0
	v_accvgpr_write_b32 a97, v8             ;  Reload Reuse
	v_mov_b32_e32 v8, 0
	v_mov_b32_e32 v38, 0
	v_accvgpr_write_b32 a98, v8             ;  Reload Reuse
	s_and_saveexec_b64 s[18:19], vcc
	s_cbranch_execz .LBB199_163
; %bb.162:                              ;   in Loop: Header=BB199_150 Depth=1
	v_lshl_add_u64 v[8:9], v[248:249], 0, v[4:5]
	v_lshl_add_u64 v[10:11], v[250:251], 0, v[4:5]
	global_load_ushort v8, v[8:9], off
	s_nop 0
	global_load_ushort v9, v[10:11], off
	s_waitcnt vmcnt(1)
	v_lshlrev_b32_e32 v8, 16, v8
	v_accvgpr_write_b32 a97, v8             ;  Reload Reuse
	s_waitcnt vmcnt(0)
	v_lshlrev_b32_e32 v8, 16, v9
	v_accvgpr_write_b32 a98, v8             ;  Reload Reuse
.LBB199_163:                            ;   in Loop: Header=BB199_150 Depth=1
	s_or_b64 exec, exec, s[18:19]
	v_lshl_add_u64 v[8:9], v[6:7], 0, 4
	v_cmp_gt_i64_e32 vcc, s[12:13], v[8:9]
	v_mov_b32_e32 v8, 0
	v_accvgpr_write_b32 a99, v8             ;  Reload Reuse
	s_and_saveexec_b64 s[18:19], vcc
	s_cbranch_execz .LBB199_165
; %bb.164:                              ;   in Loop: Header=BB199_150 Depth=1
	v_lshl_add_u64 v[8:9], v[244:245], 0, v[4:5]
	v_lshl_add_u64 v[10:11], v[246:247], 0, v[4:5]
	global_load_ushort v8, v[8:9], off
	s_nop 0
	global_load_ushort v9, v[10:11], off
	s_waitcnt vmcnt(1)
	v_lshlrev_b32_e32 v38, 16, v8
	s_waitcnt vmcnt(0)
	v_lshlrev_b32_e32 v8, 16, v9
	v_accvgpr_write_b32 a99, v8             ;  Reload Reuse
.LBB199_165:                            ;   in Loop: Header=BB199_150 Depth=1
	s_or_b64 exec, exec, s[18:19]
	v_lshl_add_u64 v[8:9], v[6:7], 0, 5
	v_cmp_gt_i64_e32 vcc, s[12:13], v[8:9]
	v_mov_b32_e32 v8, 0
	v_accvgpr_write_b32 a100, v8            ;  Reload Reuse
	v_mov_b32_e32 v8, 0
	v_mov_b32_e32 v76, 0
	v_accvgpr_write_b32 a101, v8            ;  Reload Reuse
	s_and_saveexec_b64 s[18:19], vcc
	s_cbranch_execz .LBB199_167
; %bb.166:                              ;   in Loop: Header=BB199_150 Depth=1
	v_lshl_add_u64 v[8:9], v[240:241], 0, v[4:5]
	v_lshl_add_u64 v[10:11], v[242:243], 0, v[4:5]
	global_load_ushort v8, v[8:9], off
	s_nop 0
	global_load_ushort v9, v[10:11], off
	s_waitcnt vmcnt(1)
	v_lshlrev_b32_e32 v8, 16, v8
	v_accvgpr_write_b32 a100, v8            ;  Reload Reuse
	s_waitcnt vmcnt(0)
	v_lshlrev_b32_e32 v8, 16, v9
	v_accvgpr_write_b32 a101, v8            ;  Reload Reuse
.LBB199_167:                            ;   in Loop: Header=BB199_150 Depth=1
	s_or_b64 exec, exec, s[18:19]
	v_lshl_add_u64 v[8:9], v[6:7], 0, 6
	v_cmp_gt_i64_e32 vcc, s[12:13], v[8:9]
	v_mov_b32_e32 v8, 0
	v_accvgpr_write_b32 a102, v8            ;  Reload Reuse
	s_and_saveexec_b64 s[18:19], vcc
	s_cbranch_execz .LBB199_169
; %bb.168:                              ;   in Loop: Header=BB199_150 Depth=1
	v_lshl_add_u64 v[8:9], v[236:237], 0, v[4:5]
	v_lshl_add_u64 v[10:11], v[238:239], 0, v[4:5]
	global_load_ushort v8, v[8:9], off
	s_nop 0
	global_load_ushort v9, v[10:11], off
	s_waitcnt vmcnt(1)
	v_lshlrev_b32_e32 v76, 16, v8
	s_waitcnt vmcnt(0)
	v_lshlrev_b32_e32 v8, 16, v9
	v_accvgpr_write_b32 a102, v8            ;  Reload Reuse
.LBB199_169:                            ;   in Loop: Header=BB199_150 Depth=1
	s_or_b64 exec, exec, s[18:19]
	v_lshl_add_u64 v[8:9], v[6:7], 0, 7
	v_cmp_gt_i64_e32 vcc, s[12:13], v[8:9]
	v_mov_b32_e32 v8, 0
	v_accvgpr_write_b32 a103, v8            ;  Reload Reuse
	v_mov_b32_e32 v8, 0
	v_accvgpr_write_b32 a104, v8            ;  Reload Reuse
	v_mov_b32_e32 v8, 0
	v_accvgpr_write_b32 a105, v8            ;  Reload Reuse
	s_and_saveexec_b64 s[18:19], vcc
	s_cbranch_execz .LBB199_171
; %bb.170:                              ;   in Loop: Header=BB199_150 Depth=1
	v_lshl_add_u64 v[8:9], v[232:233], 0, v[4:5]
	v_lshl_add_u64 v[10:11], v[234:235], 0, v[4:5]
	global_load_ushort v8, v[8:9], off
	s_nop 0
	global_load_ushort v9, v[10:11], off
	s_waitcnt vmcnt(1)
	v_lshlrev_b32_e32 v8, 16, v8
	v_accvgpr_write_b32 a104, v8            ;  Reload Reuse
	s_waitcnt vmcnt(0)
	v_lshlrev_b32_e32 v8, 16, v9
	v_accvgpr_write_b32 a105, v8            ;  Reload Reuse
.LBB199_171:                            ;   in Loop: Header=BB199_150 Depth=1
	s_or_b64 exec, exec, s[18:19]
	v_lshl_add_u64 v[8:9], v[6:7], 0, 8
	v_cmp_gt_i64_e32 vcc, s[12:13], v[8:9]
	v_mov_b32_e32 v8, 0
	v_accvgpr_write_b32 a106, v8            ;  Reload Reuse
	s_and_saveexec_b64 s[18:19], vcc
	s_cbranch_execz .LBB199_173
; %bb.172:                              ;   in Loop: Header=BB199_150 Depth=1
	v_lshl_add_u64 v[8:9], v[228:229], 0, v[4:5]
	v_lshl_add_u64 v[10:11], v[230:231], 0, v[4:5]
	global_load_ushort v8, v[8:9], off
	s_nop 0
	global_load_ushort v9, v[10:11], off
	s_waitcnt vmcnt(1)
	v_lshlrev_b32_e32 v8, 16, v8
	v_accvgpr_write_b32 a103, v8            ;  Reload Reuse
	s_waitcnt vmcnt(0)
	v_lshlrev_b32_e32 v8, 16, v9
	v_accvgpr_write_b32 a106, v8            ;  Reload Reuse
.LBB199_173:                            ;   in Loop: Header=BB199_150 Depth=1
	s_or_b64 exec, exec, s[18:19]
	v_lshl_add_u64 v[8:9], v[6:7], 0, 9
	v_cmp_gt_i64_e32 vcc, s[12:13], v[8:9]
	v_mov_b32_e32 v8, 0
	v_accvgpr_write_b32 a107, v8            ;  Reload Reuse
	v_mov_b32_e32 v8, 0
	v_accvgpr_write_b32 a108, v8            ;  Reload Reuse
	v_mov_b32_e32 v8, 0
	v_accvgpr_write_b32 a109, v8            ;  Reload Reuse
	s_and_saveexec_b64 s[18:19], vcc
	s_cbranch_execz .LBB199_175
; %bb.174:                              ;   in Loop: Header=BB199_150 Depth=1
	v_lshl_add_u64 v[8:9], v[224:225], 0, v[4:5]
	v_lshl_add_u64 v[10:11], v[226:227], 0, v[4:5]
	global_load_ushort v8, v[8:9], off
	s_nop 0
	global_load_ushort v9, v[10:11], off
	s_waitcnt vmcnt(1)
	v_lshlrev_b32_e32 v8, 16, v8
	v_accvgpr_write_b32 a108, v8            ;  Reload Reuse
	s_waitcnt vmcnt(0)
	v_lshlrev_b32_e32 v8, 16, v9
	v_accvgpr_write_b32 a109, v8            ;  Reload Reuse
.LBB199_175:                            ;   in Loop: Header=BB199_150 Depth=1
	s_or_b64 exec, exec, s[18:19]
	v_lshl_add_u64 v[8:9], v[6:7], 0, 10
	v_cmp_gt_i64_e32 vcc, s[12:13], v[8:9]
	v_mov_b32_e32 v8, 0
	v_accvgpr_write_b32 a110, v8            ;  Reload Reuse
	s_and_saveexec_b64 s[18:19], vcc
	s_cbranch_execz .LBB199_177
; %bb.176:                              ;   in Loop: Header=BB199_150 Depth=1
	v_lshl_add_u64 v[8:9], v[220:221], 0, v[4:5]
	v_lshl_add_u64 v[10:11], v[222:223], 0, v[4:5]
	global_load_ushort v8, v[8:9], off
	s_nop 0
	global_load_ushort v9, v[10:11], off
	s_waitcnt vmcnt(1)
	v_lshlrev_b32_e32 v8, 16, v8
	v_accvgpr_write_b32 a107, v8            ;  Reload Reuse
	s_waitcnt vmcnt(0)
	v_lshlrev_b32_e32 v8, 16, v9
	v_accvgpr_write_b32 a110, v8            ;  Reload Reuse
.LBB199_177:                            ;   in Loop: Header=BB199_150 Depth=1
	;; [unrolled: 44-line block ×6, first 2 shown]
	s_or_b64 exec, exec, s[18:19]
	v_lshl_add_u64 v[8:9], v[6:7], 0, 19
	v_cmp_gt_i64_e32 vcc, s[12:13], v[8:9]
	v_mov_b32_e32 v8, 0
	v_mov_b32_e32 v31, 0
	;; [unrolled: 1-line block ×3, first 2 shown]
	s_and_saveexec_b64 s[18:19], vcc
	s_cbranch_execz .LBB199_195
; %bb.194:                              ;   in Loop: Header=BB199_150 Depth=1
	v_lshl_add_u64 v[10:11], v[184:185], 0, v[4:5]
	v_lshl_add_u64 v[12:13], v[186:187], 0, v[4:5]
	global_load_ushort v9, v[10:11], off
	s_nop 0
	global_load_ushort v10, v[12:13], off
	s_waitcnt vmcnt(1)
	v_lshlrev_b32_e32 v31, 16, v9
	s_waitcnt vmcnt(0)
	v_lshlrev_b32_e32 v34, 16, v10
.LBB199_195:                            ;   in Loop: Header=BB199_150 Depth=1
	s_or_b64 exec, exec, s[18:19]
	v_lshl_add_u64 v[10:11], v[6:7], 0, 20
	v_cmp_gt_i64_e32 vcc, s[12:13], v[10:11]
	v_mov_b32_e32 v12, 0
	s_and_saveexec_b64 s[18:19], vcc
	s_cbranch_execz .LBB199_197
; %bb.196:                              ;   in Loop: Header=BB199_150 Depth=1
	v_lshl_add_u64 v[8:9], v[180:181], 0, v[4:5]
	v_lshl_add_u64 v[10:11], v[182:183], 0, v[4:5]
	global_load_ushort v8, v[8:9], off
	s_nop 0
	global_load_ushort v9, v[10:11], off
	s_waitcnt vmcnt(1)
	v_lshlrev_b32_e32 v8, 16, v8
	s_waitcnt vmcnt(0)
	v_lshlrev_b32_e32 v12, 16, v9
.LBB199_197:                            ;   in Loop: Header=BB199_150 Depth=1
	s_or_b64 exec, exec, s[18:19]
	v_lshl_add_u64 v[10:11], v[6:7], 0, 21
	v_cmp_gt_i64_e32 vcc, s[12:13], v[10:11]
	v_mov_b32_e32 v10, 0
	v_mov_b32_e32 v9, 0
	v_mov_b32_e32 v13, 0
	s_and_saveexec_b64 s[18:19], vcc
	s_cbranch_execz .LBB199_199
; %bb.198:                              ;   in Loop: Header=BB199_150 Depth=1
	v_lshl_add_u64 v[14:15], v[176:177], 0, v[4:5]
	v_lshl_add_u64 v[16:17], v[178:179], 0, v[4:5]
	global_load_ushort v9, v[14:15], off
	global_load_ushort v11, v[16:17], off
	s_waitcnt vmcnt(1)
	v_lshlrev_b32_e32 v9, 16, v9
	s_waitcnt vmcnt(0)
	v_lshlrev_b32_e32 v13, 16, v11
.LBB199_199:                            ;   in Loop: Header=BB199_150 Depth=1
	s_or_b64 exec, exec, s[18:19]
	v_lshl_add_u64 v[14:15], v[6:7], 0, 22
	v_cmp_gt_i64_e32 vcc, s[12:13], v[14:15]
	v_mov_b32_e32 v16, 0
	s_and_saveexec_b64 s[18:19], vcc
	s_cbranch_execz .LBB199_201
; %bb.200:                              ;   in Loop: Header=BB199_150 Depth=1
	v_lshl_add_u64 v[10:11], v[172:173], 0, v[4:5]
	v_lshl_add_u64 v[14:15], v[174:175], 0, v[4:5]
	global_load_ushort v10, v[10:11], off
	s_nop 0
	global_load_ushort v11, v[14:15], off
	s_waitcnt vmcnt(1)
	v_lshlrev_b32_e32 v10, 16, v10
	s_waitcnt vmcnt(0)
	v_lshlrev_b32_e32 v16, 16, v11
.LBB199_201:                            ;   in Loop: Header=BB199_150 Depth=1
	s_or_b64 exec, exec, s[18:19]
	v_lshl_add_u64 v[14:15], v[6:7], 0, 23
	v_cmp_gt_i64_e32 vcc, s[12:13], v[14:15]
	v_mov_b32_e32 v14, 0
	v_mov_b32_e32 v11, 0
	v_mov_b32_e32 v17, 0
	s_and_saveexec_b64 s[18:19], vcc
	s_cbranch_execz .LBB199_203
; %bb.202:                              ;   in Loop: Header=BB199_150 Depth=1
	v_lshl_add_u64 v[18:19], v[168:169], 0, v[4:5]
	v_lshl_add_u64 v[20:21], v[170:171], 0, v[4:5]
	global_load_ushort v11, v[18:19], off
	global_load_ushort v15, v[20:21], off
	s_waitcnt vmcnt(1)
	v_lshlrev_b32_e32 v11, 16, v11
	s_waitcnt vmcnt(0)
	v_lshlrev_b32_e32 v17, 16, v15
.LBB199_203:                            ;   in Loop: Header=BB199_150 Depth=1
	;; [unrolled: 35-line block ×4, first 2 shown]
	s_or_b64 exec, exec, s[18:19]
	v_lshl_add_u64 v[28:29], v[6:7], 0, 28
	v_cmp_gt_i64_e32 vcc, s[12:13], v[28:29]
	v_mov_b32_e32 v28, 0
	s_and_saveexec_b64 s[18:19], vcc
	s_cbranch_execz .LBB199_213
; %bb.212:                              ;   in Loop: Header=BB199_150 Depth=1
	v_lshl_add_u64 v[22:23], v[148:149], 0, v[4:5]
	v_lshl_add_u64 v[28:29], v[150:151], 0, v[4:5]
	global_load_ushort v22, v[22:23], off
	s_nop 0
	global_load_ushort v23, v[28:29], off
	s_waitcnt vmcnt(1)
	v_lshlrev_b32_e32 v22, 16, v22
	s_waitcnt vmcnt(0)
	v_lshlrev_b32_e32 v28, 16, v23
.LBB199_213:                            ;   in Loop: Header=BB199_150 Depth=1
	s_or_b64 exec, exec, s[18:19]
	v_lshl_add_u64 v[36:37], v[6:7], 0, 29
	v_accvgpr_write_b32 a7, v39
	v_accvgpr_write_b32 a6, v38
	;; [unrolled: 1-line block ×5, first 2 shown]
	v_cmp_gt_i64_e32 vcc, s[12:13], v[36:37]
	v_mov_b32_e32 v26, 0
	v_mov_b32_e32 v23, 0
	;; [unrolled: 1-line block ×3, first 2 shown]
	s_and_saveexec_b64 s[18:19], vcc
	s_cbranch_execz .LBB199_215
; %bb.214:                              ;   in Loop: Header=BB199_150 Depth=1
	v_lshl_add_u64 v[36:37], v[144:145], 0, v[4:5]
	v_lshl_add_u64 v[38:39], v[146:147], 0, v[4:5]
	global_load_ushort v23, v[36:37], off
	global_load_ushort v29, v[38:39], off
	s_waitcnt vmcnt(1)
	v_lshlrev_b32_e32 v23, 16, v23
	s_waitcnt vmcnt(0)
	v_lshlrev_b32_e32 v29, 16, v29
.LBB199_215:                            ;   in Loop: Header=BB199_150 Depth=1
	s_or_b64 exec, exec, s[18:19]
	v_lshl_add_u64 v[36:37], v[6:7], 0, 30
	v_cmp_gt_i64_e32 vcc, s[12:13], v[36:37]
	v_mov_b32_e32 v30, 0
	s_and_saveexec_b64 s[18:19], vcc
	s_cbranch_execz .LBB199_217
; %bb.216:                              ;   in Loop: Header=BB199_150 Depth=1
	v_lshl_add_u64 v[36:37], v[140:141], 0, v[4:5]
	v_lshl_add_u64 v[38:39], v[142:143], 0, v[4:5]
	global_load_ushort v26, v[36:37], off
	global_load_ushort v30, v[38:39], off
	s_waitcnt vmcnt(1)
	v_lshlrev_b32_e32 v26, 16, v26
	s_waitcnt vmcnt(0)
	v_lshlrev_b32_e32 v30, 16, v30
.LBB199_217:                            ;   in Loop: Header=BB199_150 Depth=1
	s_or_b64 exec, exec, s[18:19]
	v_lshl_add_u64 v[36:37], v[6:7], 0, 31
	v_cmp_gt_i64_e32 vcc, s[12:13], v[36:37]
	v_mov_b32_e32 v35, 0
	s_and_saveexec_b64 s[18:19], vcc
	s_cbranch_execz .LBB199_219
; %bb.218:                              ;   in Loop: Header=BB199_150 Depth=1
	v_lshl_add_u64 v[36:37], v[136:137], 0, v[4:5]
	v_lshl_add_u64 v[38:39], v[138:139], 0, v[4:5]
	global_load_ushort v35, v[36:37], off
	s_nop 0
	global_load_ushort v36, v[38:39], off
	s_waitcnt vmcnt(1)
	v_lshlrev_b32_e32 v35, 16, v35
	s_waitcnt vmcnt(0)
	v_lshlrev_b32_e32 v36, 16, v36
	v_mul_f32_e32 v35, v36, v35
.LBB199_219:                            ;   in Loop: Header=BB199_150 Depth=1
	s_or_b64 exec, exec, s[18:19]
	s_waitcnt vmcnt(0)
	ds_bpermute_b32 v36, v27, v32
	v_accvgpr_read_b32 v37, a96             ;  Reload Reuse
	v_mul_f32_e32 v37, v37, v77
	v_accvgpr_read_b32 v39, a5
	v_mul_f32_e32 v31, v31, v34
	s_waitcnt lgkmcnt(0)
	v_fma_f32 v38, v37, v36, v33
	ds_bpermute_b32 v36, v27, v32 offset:4
	v_accvgpr_read_b32 v37, a4
	v_mul_f32_e32 v37, v37, v39
	v_accvgpr_read_b32 v39, a7
	v_pk_mul_f32 v[8:9], v[8:9], v[12:13]
	s_waitcnt lgkmcnt(0)
	v_fmac_f32_e32 v38, v37, v36
	ds_bpermute_b32 v36, v27, v32 offset:8
	v_accvgpr_read_b32 v37, a2
	v_mul_f32_e32 v37, v37, v39
	v_accvgpr_read_b32 v39, a98             ;  Reload Reuse
	v_pk_mul_f32 v[10:11], v[10:11], v[16:17]
	s_waitcnt lgkmcnt(0)
	v_fmac_f32_e32 v38, v37, v36
	ds_bpermute_b32 v36, v27, v32 offset:12
	v_accvgpr_read_b32 v37, a97             ;  Reload Reuse
	v_mul_f32_e32 v37, v37, v39
	v_accvgpr_read_b32 v39, a99             ;  Reload Reuse
	s_waitcnt lgkmcnt(0)
	v_fmac_f32_e32 v38, v37, v36
	ds_bpermute_b32 v36, v27, v32 offset:16
	v_accvgpr_read_b32 v37, a6
	v_mul_f32_e32 v37, v37, v39
	v_accvgpr_read_b32 v39, a101            ;  Reload Reuse
	s_waitcnt lgkmcnt(0)
	v_fmac_f32_e32 v38, v37, v36
	ds_bpermute_b32 v36, v27, v32 offset:20
	v_accvgpr_read_b32 v37, a100            ;  Reload Reuse
	v_mul_f32_e32 v37, v37, v39
	v_accvgpr_read_b32 v39, a105            ;  Reload Reuse
	s_waitcnt lgkmcnt(0)
	v_fmac_f32_e32 v38, v37, v36
	ds_bpermute_b32 v36, v27, v32 offset:24
	v_accvgpr_read_b32 v37, a102            ;  Reload Reuse
	v_mul_f32_e32 v37, v76, v37
	s_waitcnt lgkmcnt(0)
	v_fmac_f32_e32 v38, v37, v36
	ds_bpermute_b32 v36, v27, v32 offset:28
	v_accvgpr_read_b32 v37, a104            ;  Reload Reuse
	v_mul_f32_e32 v37, v37, v39
	v_accvgpr_read_b32 v39, a106            ;  Reload Reuse
	s_waitcnt lgkmcnt(0)
	v_fmac_f32_e32 v38, v37, v36
	ds_bpermute_b32 v36, v27, v32 offset:32
	v_accvgpr_read_b32 v37, a103            ;  Reload Reuse
	v_mul_f32_e32 v37, v37, v39
	v_accvgpr_read_b32 v39, a109            ;  Reload Reuse
	;; [unrolled: 6-line block ×11, first 2 shown]
	s_waitcnt lgkmcnt(0)
	v_fmac_f32_e32 v38, v37, v36
	ds_bpermute_b32 v36, v27, v32 offset:72
	v_accvgpr_read_b32 v37, a123            ;  Reload Reuse
	v_mul_f32_e32 v37, v37, v39
	s_waitcnt lgkmcnt(0)
	v_fmac_f32_e32 v38, v37, v36
	ds_bpermute_b32 v36, v27, v32 offset:76
	ds_bpermute_b32 v37, v27, v32 offset:84
	s_waitcnt lgkmcnt(1)
	v_fmac_f32_e32 v38, v31, v36
	ds_bpermute_b32 v36, v27, v32 offset:80
	s_waitcnt lgkmcnt(0)
	v_pk_mul_f32 v[8:9], v[8:9], v[36:37]
	s_nop 0
	v_add_f32_e32 v8, v38, v8
	v_add_f32_e32 v12, v8, v9
	ds_bpermute_b32 v8, v27, v32 offset:88
	ds_bpermute_b32 v9, v27, v32 offset:92
	s_waitcnt lgkmcnt(0)
	v_pk_mul_f32 v[8:9], v[10:11], v[8:9]
	s_nop 0
	v_add_f32_e32 v8, v12, v8
	v_add_f32_e32 v12, v8, v9
	ds_bpermute_b32 v8, v27, v32 offset:96
	ds_bpermute_b32 v9, v27, v32 offset:100
	v_pk_mul_f32 v[10:11], v[14:15], v[20:21]
	s_waitcnt lgkmcnt(0)
	v_pk_mul_f32 v[8:9], v[10:11], v[8:9]
	s_nop 0
	v_add_f32_e32 v8, v12, v8
	v_add_f32_e32 v12, v8, v9
	ds_bpermute_b32 v8, v27, v32 offset:104
	ds_bpermute_b32 v9, v27, v32 offset:108
	v_pk_mul_f32 v[10:11], v[18:19], v[24:25]
	;; [unrolled: 8-line block ×3, first 2 shown]
	s_waitcnt lgkmcnt(0)
	v_pk_mul_f32 v[8:9], v[10:11], v[8:9]
	s_nop 0
	v_add_f32_e32 v8, v12, v8
	v_add_f32_e32 v12, v8, v9
	ds_bpermute_b32 v8, v27, v32 offset:120
	ds_bpermute_b32 v9, v27, v32 offset:124
	v_pk_mul_f32 v[10:11], v[26:27], v[30:31] op_sel_hi:[1,0]
	s_nop 0
	v_mov_b32_e32 v11, v35
	s_waitcnt lgkmcnt(0)
	v_pk_mul_f32 v[8:9], v[10:11], v[8:9]
	s_nop 0
	v_add_f32_e32 v8, v12, v8
	v_add_f32_e32 v31, v8, v9
	s_branch .LBB199_226
.LBB199_220:                            ;   in Loop: Header=BB199_150 Depth=1
                                        ; implicit-def: $vgpr31
	s_cbranch_execz .LBB199_226
; %bb.221:                              ;   in Loop: Header=BB199_150 Depth=1
	s_load_dword s3, s[22:23], 0x0
	v_accvgpr_read_b32 v11, a3
	v_accvgpr_read_b32 v9, a0
	;; [unrolled: 1-line block ×3, first 2 shown]
	s_waitcnt lgkmcnt(0)
	s_cmp_lt_u32 s2, s3
	s_cselect_b32 s3, 12, 18
	s_add_u32 s18, s22, s3
	s_addc_u32 s19, s23, 0
	global_load_ushort v8, v11, s[18:19]
	s_waitcnt vmcnt(0)
	v_mad_u32_u24 v8, v10, v8, v9
	v_and_b32_e32 v10, 63, v8
	v_accvgpr_write_b32 a2, v10
	v_accvgpr_write_b32 a3, v11
	v_cmp_gt_u32_e32 vcc, 32, v10
	v_mov_b32_e32 v8, 0
	s_and_saveexec_b64 s[18:19], vcc
	s_cbranch_execz .LBB199_225
; %bb.222:                              ;   in Loop: Header=BB199_150 Depth=1
	v_accvgpr_read_b32 v9, a3
	v_accvgpr_read_b32 v8, a2
	v_lshl_add_u64 v[6:7], v[6:7], 0, v[8:9]
	v_cmp_gt_i64_e32 vcc, s[12:13], v[6:7]
	v_mov_b32_e32 v8, 0
	s_and_saveexec_b64 s[28:29], vcc
	s_cbranch_execz .LBB199_224
; %bb.223:                              ;   in Loop: Header=BB199_150 Depth=1
	v_lshl_add_u64 v[6:7], v[6:7], 2, s[10:11]
	global_load_dword v8, v[6:7], off
.LBB199_224:                            ;   in Loop: Header=BB199_150 Depth=1
	s_or_b64 exec, exec, s[28:29]
.LBB199_225:                            ;   in Loop: Header=BB199_150 Depth=1
	s_or_b64 exec, exec, s[18:19]
	v_lshl_add_u64 v[6:7], v[132:133], 0, v[4:5]
	global_load_ushort v9, v[6:7], off
	v_lshl_add_u64 v[6:7], v[134:135], 0, v[4:5]
	global_load_ushort v10, v[6:7], off
	v_lshl_add_u64 v[6:7], v[40:41], 0, v[4:5]
	global_load_ushort v11, v[6:7], off
	v_lshl_add_u64 v[6:7], v[56:57], 0, v[4:5]
	global_load_ushort v12, v[6:7], off
	v_lshl_add_u64 v[6:7], v[42:43], 0, v[4:5]
	global_load_ushort v13, v[6:7], off
	v_lshl_add_u64 v[6:7], v[58:59], 0, v[4:5]
	global_load_ushort v14, v[6:7], off
	v_lshl_add_u64 v[6:7], v[44:45], 0, v[4:5]
	global_load_ushort v15, v[6:7], off
	v_lshl_add_u64 v[6:7], v[60:61], 0, v[4:5]
	global_load_ushort v16, v[6:7], off
	v_lshl_add_u64 v[6:7], v[46:47], 0, v[4:5]
	global_load_ushort v17, v[6:7], off
	v_lshl_add_u64 v[6:7], v[64:65], 0, v[4:5]
	global_load_ushort v18, v[6:7], off
	v_lshl_add_u64 v[6:7], v[48:49], 0, v[4:5]
	global_load_ushort v19, v[6:7], off
	v_lshl_add_u64 v[6:7], v[66:67], 0, v[4:5]
	global_load_ushort v20, v[6:7], off
	v_lshl_add_u64 v[6:7], v[50:51], 0, v[4:5]
	global_load_ushort v21, v[6:7], off
	v_lshl_add_u64 v[6:7], v[68:69], 0, v[4:5]
	global_load_ushort v22, v[6:7], off
	v_lshl_add_u64 v[6:7], v[52:53], 0, v[4:5]
	global_load_ushort v23, v[6:7], off
	v_lshl_add_u64 v[6:7], v[72:73], 0, v[4:5]
	global_load_ushort v24, v[6:7], off
	v_lshl_add_u64 v[6:7], v[54:55], 0, v[4:5]
	global_load_ushort v25, v[6:7], off
	v_lshl_add_u64 v[6:7], v[74:75], 0, v[4:5]
	global_load_ushort v26, v[6:7], off
	v_lshl_add_u64 v[6:7], v[62:63], 0, v[4:5]
	global_load_ushort v28, v[6:7], off
	v_accvgpr_read_b32 v6, a40
	v_accvgpr_read_b32 v7, a41
	v_lshl_add_u64 v[6:7], v[6:7], 0, v[4:5]
	global_load_ushort v29, v[6:7], off
	v_lshl_add_u64 v[6:7], v[70:71], 0, v[4:5]
	global_load_ushort v30, v[6:7], off
	v_accvgpr_read_b32 v6, a44
	v_accvgpr_read_b32 v7, a45
	v_lshl_add_u64 v[6:7], v[6:7], 0, v[4:5]
	global_load_ushort v31, v[6:7], off
	v_accvgpr_read_b32 v6, a42
	v_accvgpr_read_b32 v7, a43
	;; [unrolled: 4-line block ×9, first 2 shown]
	v_lshl_add_u64 v[6:7], v[6:7], 0, v[4:5]
	v_accvgpr_write_b32 a4, v40
	v_accvgpr_write_b32 a5, v41
	global_load_ushort v40, v[6:7], off
	v_accvgpr_read_b32 v6, a60
	v_accvgpr_read_b32 v7, a61
	v_lshl_add_u64 v[6:7], v[6:7], 0, v[4:5]
	global_load_ushort v41, v[6:7], off
	v_accvgpr_read_b32 v6, a62
	v_accvgpr_read_b32 v7, a63
	v_lshl_add_u64 v[6:7], v[6:7], 0, v[4:5]
	v_accvgpr_write_b32 a6, v42
	v_accvgpr_write_b32 a7, v43
	global_load_ushort v42, v[6:7], off
	v_accvgpr_read_b32 v6, a64
	v_accvgpr_read_b32 v7, a65
	v_lshl_add_u64 v[6:7], v[6:7], 0, v[4:5]
	global_load_ushort v43, v[6:7], off
	v_accvgpr_read_b32 v6, a66
	v_accvgpr_read_b32 v7, a67
	;; [unrolled: 10-line block ×4, first 2 shown]
	v_lshl_add_u64 v[6:7], v[6:7], 0, v[4:5]
	v_accvgpr_write_b32 a12, v48
	v_accvgpr_write_b32 a13, v49
	global_load_ushort v48, v[6:7], off
	v_lshl_add_u64 v[6:7], v[78:79], 0, v[4:5]
	global_load_ushort v49, v[6:7], off
	v_lshl_add_u64 v[6:7], v[80:81], 0, v[4:5]
	global_load_ushort v6, v[6:7], off
	s_waitcnt vmcnt(21)
	v_lshlrev_b32_e32 v7, 16, v28
	v_accvgpr_write_b32 a94, v7
	s_waitcnt vmcnt(20)
	v_lshlrev_b32_e32 v7, 16, v29
	v_accvgpr_write_b32 a95, v7
	;; [unrolled: 3-line block ×5, first 2 shown]
	v_accvgpr_write_b32 a26, v62
	v_accvgpr_write_b32 a28, v64
	;; [unrolled: 1-line block ×3, first 2 shown]
	s_waitcnt vmcnt(15)
	v_lshlrev_b32_e32 v7, 16, v35
	v_accvgpr_write_b32 a88, v7
	v_accvgpr_write_b32 a27, v63
	v_lshlrev_b32_e32 v62, 16, v12
	s_waitcnt vmcnt(14)
	v_lshlrev_b32_e32 v7, 16, v36
	v_accvgpr_write_b32 a90, v7
	v_lshlrev_b32_e32 v63, 16, v13
	v_accvgpr_write_b32 a29, v65
	s_waitcnt vmcnt(13)
	v_lshlrev_b32_e32 v7, 16, v37
	v_accvgpr_write_b32 a86, v7
	v_lshlrev_b32_e32 v64, 16, v14
	v_lshlrev_b32_e32 v65, 16, v15
	s_waitcnt vmcnt(12)
	v_lshlrev_b32_e32 v7, 16, v38
	v_accvgpr_write_b32 a89, v7
	v_lshl_add_u64 v[12:13], v[86:87], 0, v[4:5]
	v_lshl_add_u64 v[14:15], v[88:89], 0, v[4:5]
	s_waitcnt vmcnt(11)
	v_lshlrev_b32_e32 v7, 16, v39
	v_accvgpr_write_b32 a83, v7
	ds_bpermute_b32 v76, v27, v8
	v_accvgpr_write_b32 a25, v61
	v_lshlrev_b32_e32 v60, 16, v10
	v_lshlrev_b32_e32 v61, 16, v11
	s_waitcnt vmcnt(10)
	v_lshlrev_b32_e32 v7, 16, v40
	v_accvgpr_write_b32 a87, v7
	v_lshl_add_u64 v[10:11], v[84:85], 0, v[4:5]
	v_lshlrev_b32_e32 v9, 16, v9
	s_waitcnt vmcnt(9)
	v_lshlrev_b32_e32 v7, 16, v41
	v_accvgpr_write_b32 a81, v7
	v_mul_f32_e32 v9, v9, v60
	s_waitcnt lgkmcnt(0)
	v_fmac_f32_e32 v33, v9, v76
	ds_bpermute_b32 v9, v27, v8 offset:4
	v_accvgpr_write_b32 a30, v66
	s_waitcnt vmcnt(8)
	v_lshlrev_b32_e32 v7, 16, v42
	v_accvgpr_write_b32 a84, v7
	v_accvgpr_write_b32 a32, v68
	;; [unrolled: 1-line block ×3, first 2 shown]
	s_waitcnt vmcnt(7)
	v_lshlrev_b32_e32 v7, 16, v43
	v_accvgpr_write_b32 a82, v7
	v_mul_f32_e32 v60, v61, v62
	ds_bpermute_b32 v61, v27, v8 offset:8
	v_accvgpr_write_b32 a31, v67
	v_lshlrev_b32_e32 v66, 16, v16
	s_waitcnt vmcnt(6)
	v_lshlrev_b32_e32 v7, 16, v44
	v_accvgpr_write_b32 a85, v7
	v_lshlrev_b32_e32 v67, 16, v17
	v_accvgpr_write_b32 a33, v69
	s_waitcnt vmcnt(5)
	v_lshlrev_b32_e32 v7, 16, v45
	v_accvgpr_write_b32 a77, v7
	v_lshlrev_b32_e32 v68, 16, v18
	v_lshlrev_b32_e32 v69, 16, v19
	v_accvgpr_write_b32 a35, v71
	v_lshlrev_b32_e32 v70, 16, v20
	s_waitcnt vmcnt(4)
	v_lshlrev_b32_e32 v7, 16, v46
	v_accvgpr_write_b32 a80, v7
	v_lshlrev_b32_e32 v71, 16, v21
	v_accvgpr_write_b32 a36, v72
	v_lshl_add_u64 v[16:17], v[90:91], 0, v[4:5]
	v_lshl_add_u64 v[18:19], v[92:93], 0, v[4:5]
	;; [unrolled: 1-line block ×3, first 2 shown]
	v_accvgpr_write_b32 a37, v73
	v_lshlrev_b32_e32 v72, 16, v22
	v_lshlrev_b32_e32 v73, 16, v23
	s_waitcnt vmcnt(2)
	v_lshlrev_b32_e32 v7, 16, v48
	v_accvgpr_write_b32 a78, v7
	s_waitcnt vmcnt(1)
	v_lshlrev_b32_e32 v7, 16, v49
	v_accvgpr_write_b32 a2, v7
	;; [unrolled: 3-line block ×3, first 2 shown]
	v_lshl_add_u64 v[6:7], v[82:83], 0, v[4:5]
	global_load_ushort v12, v[12:13], off
	s_nop 0
	global_load_ushort v13, v[6:7], off
	s_nop 0
	;; [unrolled: 2-line block ×3, first 2 shown]
	global_load_ushort v15, v[10:11], off
	v_lshl_add_u64 v[22:23], v[96:97], 0, v[4:5]
	global_load_ushort v20, v[20:21], off
	s_nop 0
	global_load_ushort v16, v[16:17], off
	s_nop 0
	;; [unrolled: 2-line block ×3, first 2 shown]
	global_load_ushort v18, v[18:19], off
	s_waitcnt lgkmcnt(1)
	v_fmac_f32_e32 v33, v60, v9
	v_mul_f32_e32 v6, v63, v64
	s_waitcnt lgkmcnt(0)
	v_fmac_f32_e32 v33, v6, v61
	ds_bpermute_b32 v6, v27, v8 offset:12
	ds_bpermute_b32 v9, v27, v8 offset:16
	v_accvgpr_write_b32 a38, v74
	v_lshl_add_u64 v[30:31], v[102:103], 0, v[4:5]
	v_accvgpr_write_b32 a39, v75
	v_lshlrev_b32_e32 v74, 16, v24
	v_lshlrev_b32_e32 v75, 16, v25
	;; [unrolled: 1-line block ×3, first 2 shown]
	v_lshl_add_u64 v[24:25], v[98:99], 0, v[4:5]
	v_lshl_add_u64 v[28:29], v[100:101], 0, v[4:5]
	;; [unrolled: 1-line block ×3, first 2 shown]
	v_mul_f32_e32 v7, v65, v66
	global_load_ushort v19, v[30:31], off
	global_load_ushort v21, v[24:25], off
	;; [unrolled: 1-line block ×4, first 2 shown]
	s_waitcnt lgkmcnt(1)
	v_fmac_f32_e32 v33, v7, v6
	v_mul_f32_e32 v6, v67, v68
	s_waitcnt lgkmcnt(0)
	v_fmac_f32_e32 v33, v6, v9
	ds_bpermute_b32 v6, v27, v8 offset:20
	ds_bpermute_b32 v9, v27, v8 offset:24
	v_lshl_add_u64 v[36:37], v[106:107], 0, v[4:5]
	v_lshl_add_u64 v[38:39], v[108:109], 0, v[4:5]
	;; [unrolled: 1-line block ×3, first 2 shown]
	v_mul_f32_e32 v7, v69, v70
	v_lshl_add_u64 v[42:43], v[112:113], 0, v[4:5]
	s_waitcnt lgkmcnt(1)
	v_fmac_f32_e32 v33, v7, v6
	v_mul_f32_e32 v6, v71, v72
	global_load_ushort v24, v[40:41], off
	global_load_ushort v25, v[36:37], off
	;; [unrolled: 1-line block ×4, first 2 shown]
	s_waitcnt lgkmcnt(0)
	v_fmac_f32_e32 v33, v6, v9
	ds_bpermute_b32 v6, v27, v8 offset:28
	ds_bpermute_b32 v9, v27, v8 offset:32
	v_lshlrev_b32_e32 v26, 16, v26
	v_accvgpr_write_b32 a14, v50
	v_mul_f32_e32 v7, v73, v74
	v_lshlrev_b32_e32 v77, 16, v47
	v_lshl_add_u64 v[44:45], v[114:115], 0, v[4:5]
	v_lshl_add_u64 v[46:47], v[116:117], 0, v[4:5]
	;; [unrolled: 1-line block ×3, first 2 shown]
	v_accvgpr_write_b32 a15, v51
	v_lshl_add_u64 v[50:51], v[120:121], 0, v[4:5]
	s_waitcnt lgkmcnt(1)
	v_fmac_f32_e32 v33, v7, v6
	v_mul_f32_e32 v6, v75, v26
	s_waitcnt lgkmcnt(0)
	v_fmac_f32_e32 v33, v6, v9
	ds_bpermute_b32 v6, v27, v8 offset:36
	global_load_ushort v26, v[48:49], off
	global_load_ushort v30, v[44:45], off
	global_load_ushort v31, v[50:51], off
	global_load_ushort v34, v[46:47], off
	v_accvgpr_read_b32 v7, a94
	v_accvgpr_read_b32 v9, a95
	v_mul_f32_e32 v7, v7, v9
	v_accvgpr_write_b32 a16, v52
	v_accvgpr_write_b32 a18, v54
	;; [unrolled: 1-line block ×4, first 2 shown]
	s_waitcnt lgkmcnt(0)
	v_fmac_f32_e32 v33, v7, v6
	v_accvgpr_read_b32 v6, a92
	v_accvgpr_read_b32 v7, a93
	v_accvgpr_write_b32 a17, v53
	v_lshl_add_u64 v[52:53], v[122:123], 0, v[4:5]
	v_accvgpr_write_b32 a19, v55
	v_lshl_add_u64 v[54:55], v[124:125], 0, v[4:5]
	;; [unrolled: 2-line block ×4, first 2 shown]
	v_mul_f32_e32 v6, v6, v7
	v_accvgpr_read_b32 v7, a91
	v_mul_f32_e32 v7, v7, v32
	global_load_ushort v32, v[56:57], off
	global_load_ushort v35, v[52:53], off
	global_load_ushort v36, v[58:59], off
	global_load_ushort v37, v[54:55], off
	ds_bpermute_b32 v9, v27, v8 offset:40
	v_accvgpr_read_b32 v10, a90
	s_waitcnt vmcnt(23)
	v_lshlrev_b32_e32 v11, 16, v12
	s_waitcnt vmcnt(20)
	v_lshlrev_b32_e32 v12, 16, v15
	v_accvgpr_read_b32 v63, a27
	s_waitcnt lgkmcnt(0)
	v_fmac_f32_e32 v33, v6, v9
	ds_bpermute_b32 v6, v27, v8 offset:44
	ds_bpermute_b32 v9, v27, v8 offset:48
	v_accvgpr_read_b32 v61, a25
	v_accvgpr_read_b32 v65, a29
	;; [unrolled: 1-line block ×3, first 2 shown]
	s_waitcnt lgkmcnt(1)
	v_fmac_f32_e32 v33, v7, v6
	ds_bpermute_b32 v6, v27, v8 offset:52
	v_accvgpr_read_b32 v7, a88
	v_mul_f32_e32 v7, v7, v10
	s_waitcnt lgkmcnt(1)
	v_fmac_f32_e32 v33, v7, v9
	ds_bpermute_b32 v7, v27, v8 offset:56
	v_accvgpr_read_b32 v9, a86
	v_accvgpr_read_b32 v10, a89
	v_mul_f32_e32 v9, v9, v10
	s_waitcnt lgkmcnt(1)
	v_fmac_f32_e32 v33, v9, v6
	ds_bpermute_b32 v6, v27, v8 offset:60
	v_accvgpr_read_b32 v9, a83
	;; [unrolled: 6-line block ×3, first 2 shown]
	v_accvgpr_read_b32 v10, a84
	v_mul_f32_e32 v9, v9, v10
	s_waitcnt lgkmcnt(1)
	v_fmac_f32_e32 v33, v9, v6
	v_accvgpr_read_b32 v6, a82
	v_accvgpr_read_b32 v9, a85
	v_mul_f32_e32 v6, v6, v9
	ds_bpermute_b32 v9, v27, v8 offset:68
	s_waitcnt lgkmcnt(1)
	v_fmac_f32_e32 v33, v6, v7
	ds_bpermute_b32 v6, v27, v8 offset:72
	v_accvgpr_read_b32 v7, a77
	v_accvgpr_read_b32 v10, a80
	v_mul_f32_e32 v7, v7, v10
	ds_bpermute_b32 v10, v27, v8 offset:76
	s_waitcnt lgkmcnt(2)
	v_fmac_f32_e32 v33, v7, v9
	v_accvgpr_read_b32 v7, a78
	v_mul_f32_e32 v7, v77, v7
	s_waitcnt lgkmcnt(1)
	v_fmac_f32_e32 v33, v7, v6
	v_accvgpr_read_b32 v6, a2
	v_accvgpr_read_b32 v7, a79
	v_mul_f32_e32 v6, v6, v7
	s_waitcnt lgkmcnt(0)
	v_fmac_f32_e32 v33, v6, v10
	ds_bpermute_b32 v6, v27, v8 offset:80
	ds_bpermute_b32 v7, v27, v8 offset:84
	v_lshlrev_b32_e32 v10, 16, v13
	v_lshlrev_b32_e32 v13, 16, v14
	v_pk_mul_f32 v[10:11], v[10:11], v[12:13]
	s_waitcnt vmcnt(17)
	v_lshlrev_b32_e32 v13, 16, v17
	s_waitcnt lgkmcnt(0)
	v_pk_mul_f32 v[6:7], v[10:11], v[6:7]
	v_lshlrev_b32_e32 v11, 16, v20
	v_add_f32_e32 v6, v33, v6
	v_add_f32_e32 v9, v6, v7
	ds_bpermute_b32 v6, v27, v8 offset:88
	ds_bpermute_b32 v7, v27, v8 offset:92
	v_lshlrev_b32_e32 v10, 16, v16
	s_waitcnt vmcnt(16)
	v_lshlrev_b32_e32 v12, 16, v18
	v_pk_mul_f32 v[10:11], v[10:11], v[12:13]
	s_waitcnt vmcnt(13)
	v_lshlrev_b32_e32 v13, 16, v22
	s_waitcnt lgkmcnt(0)
	v_pk_mul_f32 v[6:7], v[10:11], v[6:7]
	v_lshlrev_b32_e32 v11, 16, v19
	v_add_f32_e32 v6, v9, v6
	v_add_f32_e32 v9, v6, v7
	ds_bpermute_b32 v6, v27, v8 offset:96
	ds_bpermute_b32 v7, v27, v8 offset:100
	v_lshlrev_b32_e32 v10, 16, v21
	s_waitcnt vmcnt(12)
	;; [unrolled: 13-line block ×4, first 2 shown]
	v_lshlrev_b32_e32 v12, 16, v34
	v_pk_mul_f32 v[10:11], v[10:11], v[12:13]
	v_accvgpr_read_b32 v69, a33
	s_waitcnt lgkmcnt(0)
	v_pk_mul_f32 v[6:7], v[10:11], v[6:7]
	s_waitcnt vmcnt(1)
	v_lshlrev_b32_e32 v11, 16, v36
	v_add_f32_e32 v6, v9, v6
	v_add_f32_e32 v12, v6, v7
	ds_bpermute_b32 v6, v27, v8 offset:120
	ds_bpermute_b32 v7, v27, v8 offset:124
	v_lshlrev_b32_e32 v9, 16, v32
	v_lshlrev_b32_e32 v8, 16, v35
	s_waitcnt vmcnt(0)
	v_lshlrev_b32_e32 v10, 16, v37
	v_pk_mul_f32 v[8:9], v[8:9], v[10:11]
	v_accvgpr_read_b32 v71, a35
	s_waitcnt lgkmcnt(0)
	v_pk_mul_f32 v[6:7], v[8:9], v[6:7]
	v_accvgpr_read_b32 v73, a37
	v_accvgpr_read_b32 v41, a5
	v_accvgpr_read_b32 v43, a7
	v_accvgpr_read_b32 v75, a39
	v_accvgpr_read_b32 v49, a13
	v_accvgpr_read_b32 v45, a9
	v_accvgpr_read_b32 v51, a15
	v_accvgpr_read_b32 v47, a11
	v_accvgpr_read_b32 v57, a21
	v_accvgpr_read_b32 v53, a17
	v_accvgpr_read_b32 v59, a23
	v_accvgpr_read_b32 v55, a19
	v_add_f32_e32 v6, v12, v6
	v_accvgpr_read_b32 v62, a26
	v_accvgpr_read_b32 v60, a24
	;; [unrolled: 1-line block ×18, first 2 shown]
	v_add_f32_e32 v31, v6, v7
.LBB199_226:                            ;   in Loop: Header=BB199_150 Depth=1
	s_add_u32 s16, s16, s4
	s_addc_u32 s17, s17, 0
	v_mov_b64_e32 v[6:7], s[12:13]
	v_cmp_ge_i64_e32 vcc, s[16:17], v[6:7]
	v_accvgpr_read_b32 v6, a42
	v_accvgpr_read_b32 v7, a43
	v_lshl_add_u64 v[6:7], v[6:7], 0, s[24:25]
	v_accvgpr_write_b32 a43, v7
	v_accvgpr_write_b32 a42, v6
	v_accvgpr_read_b32 v6, a48
	v_accvgpr_read_b32 v7, a49
	v_lshl_add_u64 v[6:7], v[6:7], 0, s[24:25]
	v_accvgpr_write_b32 a49, v7
	v_accvgpr_write_b32 a48, v6
	;; [unrolled: 5-line block ×17, first 2 shown]
	v_accvgpr_read_b32 v6, a74
	v_accvgpr_read_b32 v7, a75
	s_add_u32 s26, s26, s4
	v_lshl_add_u64 v[130:131], v[130:131], 0, s[4:5]
	v_lshl_add_u64 v[40:41], v[40:41], 0, s[24:25]
	;; [unrolled: 1-line block ×110, first 2 shown]
	s_addc_u32 s27, s27, 0
	s_cbranch_vccnz .LBB199_228
; %bb.227:                              ;   in Loop: Header=BB199_150 Depth=1
	v_accvgpr_write_b32 a75, v7
	v_accvgpr_write_b32 a74, v6
	v_mov_b32_e32 v33, v31
	s_branch .LBB199_150
.LBB199_228:
	v_accvgpr_read_b32 v0, a76
.LBB199_229:
	s_mov_b32 s3, 0
	s_lshl_b64 s[2:3], s[2:3], 5
	v_and_b32_e32 v1, 0x3ff, v0
	v_or_b32_e32 v8, s2, v1
	v_mov_b32_e32 v9, s3
	s_waitcnt lgkmcnt(0)
	s_cmp_lg_u64 s[6:7], 0
	v_cmp_gt_i64_e32 vcc, s[14:15], v[8:9]
	s_cselect_b64 s[2:3], -1, 0
	s_and_b64 s[2:3], vcc, s[2:3]
	s_and_saveexec_b64 s[4:5], s[2:3]
	s_cbranch_execz .LBB199_231
; %bb.230:
	s_load_dword s0, s[0:1], 0x4c
	v_bfe_u32 v2, v0, 10, 10
	v_mov_b32_e32 v3, 0
	v_mov_b32_e32 v4, s8
	;; [unrolled: 1-line block ×3, first 2 shown]
	s_waitcnt lgkmcnt(0)
	s_lshr_b32 s0, s0, 16
	v_mad_u64_u32 v[2:3], s[0:1], s0, v4, v[2:3]
	v_bfe_u32 v4, v31, 16, 1
	s_movk_i32 s0, 0x7fff
	v_add3_u32 v4, v31, v4, s0
	v_lshrrev_b32_e32 v4, 16, v4
	v_cmp_o_f32_e32 vcc, v31, v31
	v_mul_lo_u32 v6, v2, s15
	s_nop 0
	v_cndmask_b32_e32 v4, v5, v4, vcc
	v_mul_lo_u32 v5, v3, s14
	v_mad_u64_u32 v[2:3], s[0:1], v2, s14, 0
	v_add3_u32 v3, v3, v6, v5
	v_lshl_add_u64 v[2:3], v[2:3], 1, s[6:7]
	v_lshl_add_u64 v[0:1], v[8:9], 1, v[2:3]
	global_store_short v[0:1], v4, off
.LBB199_231:
	s_endpgm
	.section	.rodata,"a",@progbits
	.p2align	6, 0x0
	.amdhsa_kernel _ZN2at6native12_GLOBAL__N_135GammaBetaBackwardCUDAKernelTemplateIN3c108BFloat16EfLj32ELj1ELj32ELb1ELb0ELb1EEEvllPKT_S7_PKT0_SA_PS5_SB_
		.amdhsa_group_segment_fixed_size 0
		.amdhsa_private_segment_fixed_size 0
		.amdhsa_kernarg_size 320
		.amdhsa_user_sgpr_count 2
		.amdhsa_user_sgpr_dispatch_ptr 0
		.amdhsa_user_sgpr_queue_ptr 0
		.amdhsa_user_sgpr_kernarg_segment_ptr 1
		.amdhsa_user_sgpr_dispatch_id 0
		.amdhsa_user_sgpr_kernarg_preload_length 0
		.amdhsa_user_sgpr_kernarg_preload_offset 0
		.amdhsa_user_sgpr_private_segment_size 0
		.amdhsa_uses_dynamic_stack 0
		.amdhsa_enable_private_segment 0
		.amdhsa_system_sgpr_workgroup_id_x 1
		.amdhsa_system_sgpr_workgroup_id_y 1
		.amdhsa_system_sgpr_workgroup_id_z 0
		.amdhsa_system_sgpr_workgroup_info 0
		.amdhsa_system_vgpr_workitem_id 1
		.amdhsa_next_free_vgpr 383
		.amdhsa_next_free_sgpr 38
		.amdhsa_accum_offset 256
		.amdhsa_reserve_vcc 1
		.amdhsa_float_round_mode_32 0
		.amdhsa_float_round_mode_16_64 0
		.amdhsa_float_denorm_mode_32 3
		.amdhsa_float_denorm_mode_16_64 3
		.amdhsa_dx10_clamp 1
		.amdhsa_ieee_mode 1
		.amdhsa_fp16_overflow 0
		.amdhsa_tg_split 0
		.amdhsa_exception_fp_ieee_invalid_op 0
		.amdhsa_exception_fp_denorm_src 0
		.amdhsa_exception_fp_ieee_div_zero 0
		.amdhsa_exception_fp_ieee_overflow 0
		.amdhsa_exception_fp_ieee_underflow 0
		.amdhsa_exception_fp_ieee_inexact 0
		.amdhsa_exception_int_div_zero 0
	.end_amdhsa_kernel
	.section	.text._ZN2at6native12_GLOBAL__N_135GammaBetaBackwardCUDAKernelTemplateIN3c108BFloat16EfLj32ELj1ELj32ELb1ELb0ELb1EEEvllPKT_S7_PKT0_SA_PS5_SB_,"axG",@progbits,_ZN2at6native12_GLOBAL__N_135GammaBetaBackwardCUDAKernelTemplateIN3c108BFloat16EfLj32ELj1ELj32ELb1ELb0ELb1EEEvllPKT_S7_PKT0_SA_PS5_SB_,comdat
.Lfunc_end199:
	.size	_ZN2at6native12_GLOBAL__N_135GammaBetaBackwardCUDAKernelTemplateIN3c108BFloat16EfLj32ELj1ELj32ELb1ELb0ELb1EEEvllPKT_S7_PKT0_SA_PS5_SB_, .Lfunc_end199-_ZN2at6native12_GLOBAL__N_135GammaBetaBackwardCUDAKernelTemplateIN3c108BFloat16EfLj32ELj1ELj32ELb1ELb0ELb1EEEvllPKT_S7_PKT0_SA_PS5_SB_
                                        ; -- End function
	.section	.AMDGPU.csdata,"",@progbits
; Kernel info:
; codeLenInByte = 23424
; NumSgprs: 44
; NumVgprs: 256
; NumAgprs: 127
; TotalNumVgprs: 383
; ScratchSize: 0
; MemoryBound: 0
; FloatMode: 240
; IeeeMode: 1
; LDSByteSize: 0 bytes/workgroup (compile time only)
; SGPRBlocks: 5
; VGPRBlocks: 47
; NumSGPRsForWavesPerEU: 44
; NumVGPRsForWavesPerEU: 383
; AccumOffset: 256
; Occupancy: 1
; WaveLimiterHint : 0
; COMPUTE_PGM_RSRC2:SCRATCH_EN: 0
; COMPUTE_PGM_RSRC2:USER_SGPR: 2
; COMPUTE_PGM_RSRC2:TRAP_HANDLER: 0
; COMPUTE_PGM_RSRC2:TGID_X_EN: 1
; COMPUTE_PGM_RSRC2:TGID_Y_EN: 1
; COMPUTE_PGM_RSRC2:TGID_Z_EN: 0
; COMPUTE_PGM_RSRC2:TIDIG_COMP_CNT: 1
; COMPUTE_PGM_RSRC3_GFX90A:ACCUM_OFFSET: 63
; COMPUTE_PGM_RSRC3_GFX90A:TG_SPLIT: 0
	.section	.text._ZN2at6native12_GLOBAL__N_135GammaBetaBackwardCUDAKernelTemplateIN3c108BFloat16EfLj32ELj1ELj8ELb1ELb1ELb1EEEvllPKT_S7_PKT0_SA_PS5_SB_,"axG",@progbits,_ZN2at6native12_GLOBAL__N_135GammaBetaBackwardCUDAKernelTemplateIN3c108BFloat16EfLj32ELj1ELj8ELb1ELb1ELb1EEEvllPKT_S7_PKT0_SA_PS5_SB_,comdat
	.globl	_ZN2at6native12_GLOBAL__N_135GammaBetaBackwardCUDAKernelTemplateIN3c108BFloat16EfLj32ELj1ELj8ELb1ELb1ELb1EEEvllPKT_S7_PKT0_SA_PS5_SB_ ; -- Begin function _ZN2at6native12_GLOBAL__N_135GammaBetaBackwardCUDAKernelTemplateIN3c108BFloat16EfLj32ELj1ELj8ELb1ELb1ELb1EEEvllPKT_S7_PKT0_SA_PS5_SB_
	.p2align	8
	.type	_ZN2at6native12_GLOBAL__N_135GammaBetaBackwardCUDAKernelTemplateIN3c108BFloat16EfLj32ELj1ELj8ELb1ELb1ELb1EEEvllPKT_S7_PKT0_SA_PS5_SB_,@function
_ZN2at6native12_GLOBAL__N_135GammaBetaBackwardCUDAKernelTemplateIN3c108BFloat16EfLj32ELj1ELj8ELb1ELb1ELb1EEEvllPKT_S7_PKT0_SA_PS5_SB_: ; @_ZN2at6native12_GLOBAL__N_135GammaBetaBackwardCUDAKernelTemplateIN3c108BFloat16EfLj32ELj1ELj8ELb1ELb1ELb1EEEvllPKT_S7_PKT0_SA_PS5_SB_
; %bb.0:
	s_load_dwordx4 s[8:11], s[0:1], 0x0
	s_load_dwordx2 s[16:17], s[0:1], 0x30
	s_lshl_b32 s18, s3, 3
	s_mov_b32 s19, 0
	s_mov_b32 s6, s3
	s_waitcnt lgkmcnt(0)
	v_mov_b64_e32 v[2:3], s[8:9]
	v_cmp_ge_i64_e32 vcc, s[18:19], v[2:3]
	v_mov_b32_e32 v5, 0
	v_bfe_u32 v2, v0, 10, 10
	s_cbranch_vccnz .LBB200_7
; %bb.1:
	s_load_dword s3, s[0:1], 0x4c
	s_load_dword s7, s[0:1], 0x44
	s_load_dwordx4 s[12:15], s[0:1], 0x10
	s_load_dwordx2 s[22:23], s[0:1], 0x28
	v_and_b32_e32 v1, 0x3ff, v0
	s_waitcnt lgkmcnt(0)
	s_and_b32 s3, s3, 0xffff
	v_mad_u32_u24 v3, v2, s3, v1
	v_lshlrev_b32_e32 v4, 3, v2
	v_mov_b32_e32 v5, 0
	v_lshl_or_b32 v10, s2, 5, v1
	v_mbcnt_lo_u32_b32 v1, -1, 0
	v_and_b32_e32 v6, 63, v3
	v_mov_b32_e32 v7, v5
	v_mbcnt_hi_u32_b32 v1, -1, v1
	s_lshl_b32 s20, s7, 3
	v_lshl_add_u64 v[12:13], v[4:5], 0, s[18:19]
	v_cmp_gt_u32_e64 s[4:5], 8, v6
	v_mov_b32_e32 v11, v5
	v_lshlrev_b32_e32 v1, 2, v1
	v_lshl_add_u64 v[6:7], v[12:13], 0, v[6:7]
	v_mul_lo_u32 v4, s11, v12
	v_mul_lo_u32 v20, s10, v13
	v_mad_u64_u32 v[12:13], s[24:25], s10, v12, 0
	s_mul_i32 s3, s11, s20
	s_mul_hi_u32 s7, s10, s20
	v_and_b32_e32 v1, 0x100, v1
	s_mov_b32 s21, s19
	v_add3_u32 v13, v13, v20, v4
	v_lshlrev_b64 v[10:11], 1, v[10:11]
	s_add_i32 s25, s7, s3
	s_mul_i32 s24, s10, s20
	v_or_b32_e32 v3, 4, v1
	v_or_b32_e32 v14, 8, v1
	;; [unrolled: 1-line block ×7, first 2 shown]
	v_lshl_add_u64 v[8:9], v[6:7], 2, s[22:23]
	s_lshl_b64 s[22:23], s[20:21], 2
	v_lshl_add_u64 v[10:11], v[12:13], 1, v[10:11]
	s_lshl_b64 s[24:25], s[24:25], 1
	s_lshl_b64 s[26:27], s[10:11], 1
	v_mov_b64_e32 v[12:13], s[8:9]
	s_branch .LBB200_4
.LBB200_2:                              ;   in Loop: Header=BB200_4 Depth=1
	s_or_b64 exec, exec, s[30:31]
.LBB200_3:                              ;   in Loop: Header=BB200_4 Depth=1
	s_or_b64 exec, exec, s[28:29]
	v_lshl_add_u64 v[20:21], s[12:13], 0, v[10:11]
	v_lshl_add_u64 v[22:23], s[14:15], 0, v[10:11]
	;; [unrolled: 1-line block ×5, first 2 shown]
	global_load_ushort v32, v[20:21], off
	global_load_ushort v33, v[22:23], off
	;; [unrolled: 1-line block ×4, first 2 shown]
	v_lshl_add_u64 v[30:31], v[26:27], 0, s[26:27]
	v_lshl_add_u64 v[20:21], v[28:29], 0, s[26:27]
	global_load_ushort v36, v[28:29], off
	global_load_ushort v37, v[30:31], off
	v_lshl_add_u64 v[22:23], v[30:31], 0, s[26:27]
	global_load_ushort v38, v[20:21], off
	global_load_ushort v39, v[22:23], off
	v_lshl_add_u64 v[20:21], v[20:21], 0, s[26:27]
	v_lshl_add_u64 v[22:23], v[22:23], 0, s[26:27]
	global_load_ushort v40, v[20:21], off
	global_load_ushort v41, v[22:23], off
	v_lshl_add_u64 v[20:21], v[20:21], 0, s[26:27]
	v_lshl_add_u64 v[22:23], v[22:23], 0, s[26:27]
	global_load_ushort v42, v[20:21], off
	global_load_ushort v43, v[22:23], off
	v_lshl_add_u64 v[20:21], v[20:21], 0, s[26:27]
	v_lshl_add_u64 v[22:23], v[22:23], 0, s[26:27]
	global_load_ushort v44, v[20:21], off
	global_load_ushort v45, v[22:23], off
	v_lshl_add_u64 v[20:21], v[20:21], 0, s[26:27]
	v_lshl_add_u64 v[22:23], v[22:23], 0, s[26:27]
	global_load_ushort v46, v[20:21], off
	global_load_ushort v47, v[22:23], off
	s_waitcnt vmcnt(16)
	ds_bpermute_b32 v20, v1, v4
	ds_bpermute_b32 v21, v3, v4
	;; [unrolled: 1-line block ×8, first 2 shown]
	s_add_u32 s18, s18, s20
	s_addc_u32 s19, s19, 0
	v_cmp_lt_i64_e32 vcc, s[18:19], v[12:13]
	v_lshl_add_u64 v[8:9], v[8:9], 0, s[22:23]
	v_lshl_add_u64 v[6:7], v[6:7], 0, s[20:21]
	;; [unrolled: 1-line block ×3, first 2 shown]
	s_and_b64 vcc, exec, vcc
	s_waitcnt vmcnt(15)
	v_lshlrev_b32_e32 v28, 16, v32
	s_waitcnt vmcnt(14)
	v_lshlrev_b32_e32 v30, 16, v33
	;; [unrolled: 2-line block ×4, first 2 shown]
	v_pk_mul_f32 v[28:29], v[28:29], v[30:31]
	s_waitcnt vmcnt(11)
	v_lshlrev_b32_e32 v30, 16, v36
	s_waitcnt vmcnt(10)
	v_lshlrev_b32_e32 v32, 16, v37
	s_waitcnt lgkmcnt(6)
	v_pk_mul_f32 v[20:21], v[28:29], v[20:21]
	s_waitcnt vmcnt(9)
	v_lshlrev_b32_e32 v31, 16, v38
	s_waitcnt vmcnt(8)
	v_lshlrev_b32_e32 v33, 16, v39
	v_add_f32_e32 v29, v5, v20
	v_pk_mul_f32 v[4:5], v[30:31], v[32:33]
	s_waitcnt vmcnt(7)
	v_lshlrev_b32_e32 v20, 16, v40
	s_waitcnt vmcnt(6)
	v_lshlrev_b32_e32 v28, 16, v41
	v_add_f32_e32 v30, v29, v21
	s_waitcnt lgkmcnt(4)
	v_pk_mul_f32 v[4:5], v[4:5], v[22:23]
	s_waitcnt vmcnt(5)
	v_lshlrev_b32_e32 v21, 16, v42
	s_waitcnt vmcnt(4)
	v_lshlrev_b32_e32 v29, 16, v43
	v_add_f32_e32 v23, v30, v4
	v_pk_mul_f32 v[20:21], v[20:21], v[28:29]
	s_waitcnt vmcnt(3)
	v_lshlrev_b32_e32 v4, 16, v44
	s_waitcnt vmcnt(2)
	v_lshlrev_b32_e32 v22, 16, v45
	v_add_f32_e32 v28, v23, v5
	s_waitcnt lgkmcnt(2)
	v_pk_mul_f32 v[20:21], v[20:21], v[24:25]
	s_waitcnt vmcnt(1)
	v_lshlrev_b32_e32 v5, 16, v46
	s_waitcnt vmcnt(0)
	v_lshlrev_b32_e32 v23, 16, v47
	v_add_f32_e32 v20, v28, v20
	v_pk_mul_f32 v[4:5], v[4:5], v[22:23]
	v_add_f32_e32 v20, v20, v21
	s_waitcnt lgkmcnt(0)
	v_pk_mul_f32 v[4:5], v[4:5], v[26:27]
	s_nop 0
	v_add_f32_e32 v4, v20, v4
	v_add_f32_e32 v5, v4, v5
	s_cbranch_vccz .LBB200_7
.LBB200_4:                              ; =>This Inner Loop Header: Depth=1
	v_mov_b32_e32 v4, 0
	s_and_saveexec_b64 s[28:29], s[4:5]
	s_cbranch_execz .LBB200_3
; %bb.5:                                ;   in Loop: Header=BB200_4 Depth=1
	v_cmp_gt_i64_e32 vcc, s[8:9], v[6:7]
	v_mov_b32_e32 v4, 0
	s_and_saveexec_b64 s[30:31], vcc
	s_cbranch_execz .LBB200_2
; %bb.6:                                ;   in Loop: Header=BB200_4 Depth=1
	global_load_dword v4, v[8:9], off
	s_branch .LBB200_2
.LBB200_7:
	s_cmp_eq_u64 s[16:17], 0
	s_cbranch_scc1 .LBB200_9
; %bb.8:
	s_load_dword s0, s[0:1], 0x4c
	v_mov_b32_e32 v3, 0
	v_mov_b32_e32 v1, s6
	s_mov_b32 s3, 0
	v_cmp_o_f32_e32 vcc, v5, v5
	s_waitcnt lgkmcnt(0)
	s_lshr_b32 s0, s0, 16
	v_mad_u64_u32 v[6:7], s[0:1], s0, v1, v[2:3]
	v_bfe_u32 v1, v5, 16, 1
	s_movk_i32 s0, 0x7fff
	v_add3_u32 v1, v5, v1, s0
	v_mad_u64_u32 v[4:5], s[0:1], v6, s10, 0
	v_lshrrev_b32_e32 v1, 16, v1
	v_mov_b32_e32 v2, 0x7fc0
	s_lshl_b64 s[0:1], s[2:3], 6
	v_cndmask_b32_e32 v8, v2, v1, vcc
	v_mul_lo_u32 v1, v7, s10
	v_mul_lo_u32 v2, v6, s11
	s_add_u32 s0, s0, s16
	v_add3_u32 v5, v5, v2, v1
	s_addc_u32 s1, s1, s17
	v_and_b32_e32 v0, 0x3ff, v0
	v_lshl_add_u64 v[4:5], v[4:5], 1, s[0:1]
	v_lshlrev_b32_e32 v2, 1, v0
	v_lshl_add_u64 v[0:1], v[4:5], 0, v[2:3]
	global_store_short v[0:1], v8, off
.LBB200_9:
	s_endpgm
	.section	.rodata,"a",@progbits
	.p2align	6, 0x0
	.amdhsa_kernel _ZN2at6native12_GLOBAL__N_135GammaBetaBackwardCUDAKernelTemplateIN3c108BFloat16EfLj32ELj1ELj8ELb1ELb1ELb1EEEvllPKT_S7_PKT0_SA_PS5_SB_
		.amdhsa_group_segment_fixed_size 0
		.amdhsa_private_segment_fixed_size 0
		.amdhsa_kernarg_size 320
		.amdhsa_user_sgpr_count 2
		.amdhsa_user_sgpr_dispatch_ptr 0
		.amdhsa_user_sgpr_queue_ptr 0
		.amdhsa_user_sgpr_kernarg_segment_ptr 1
		.amdhsa_user_sgpr_dispatch_id 0
		.amdhsa_user_sgpr_kernarg_preload_length 0
		.amdhsa_user_sgpr_kernarg_preload_offset 0
		.amdhsa_user_sgpr_private_segment_size 0
		.amdhsa_uses_dynamic_stack 0
		.amdhsa_enable_private_segment 0
		.amdhsa_system_sgpr_workgroup_id_x 1
		.amdhsa_system_sgpr_workgroup_id_y 1
		.amdhsa_system_sgpr_workgroup_id_z 0
		.amdhsa_system_sgpr_workgroup_info 0
		.amdhsa_system_vgpr_workitem_id 1
		.amdhsa_next_free_vgpr 48
		.amdhsa_next_free_sgpr 32
		.amdhsa_accum_offset 48
		.amdhsa_reserve_vcc 1
		.amdhsa_float_round_mode_32 0
		.amdhsa_float_round_mode_16_64 0
		.amdhsa_float_denorm_mode_32 3
		.amdhsa_float_denorm_mode_16_64 3
		.amdhsa_dx10_clamp 1
		.amdhsa_ieee_mode 1
		.amdhsa_fp16_overflow 0
		.amdhsa_tg_split 0
		.amdhsa_exception_fp_ieee_invalid_op 0
		.amdhsa_exception_fp_denorm_src 0
		.amdhsa_exception_fp_ieee_div_zero 0
		.amdhsa_exception_fp_ieee_overflow 0
		.amdhsa_exception_fp_ieee_underflow 0
		.amdhsa_exception_fp_ieee_inexact 0
		.amdhsa_exception_int_div_zero 0
	.end_amdhsa_kernel
	.section	.text._ZN2at6native12_GLOBAL__N_135GammaBetaBackwardCUDAKernelTemplateIN3c108BFloat16EfLj32ELj1ELj8ELb1ELb1ELb1EEEvllPKT_S7_PKT0_SA_PS5_SB_,"axG",@progbits,_ZN2at6native12_GLOBAL__N_135GammaBetaBackwardCUDAKernelTemplateIN3c108BFloat16EfLj32ELj1ELj8ELb1ELb1ELb1EEEvllPKT_S7_PKT0_SA_PS5_SB_,comdat
.Lfunc_end200:
	.size	_ZN2at6native12_GLOBAL__N_135GammaBetaBackwardCUDAKernelTemplateIN3c108BFloat16EfLj32ELj1ELj8ELb1ELb1ELb1EEEvllPKT_S7_PKT0_SA_PS5_SB_, .Lfunc_end200-_ZN2at6native12_GLOBAL__N_135GammaBetaBackwardCUDAKernelTemplateIN3c108BFloat16EfLj32ELj1ELj8ELb1ELb1ELb1EEEvllPKT_S7_PKT0_SA_PS5_SB_
                                        ; -- End function
	.section	.AMDGPU.csdata,"",@progbits
; Kernel info:
; codeLenInByte = 1152
; NumSgprs: 38
; NumVgprs: 48
; NumAgprs: 0
; TotalNumVgprs: 48
; ScratchSize: 0
; MemoryBound: 0
; FloatMode: 240
; IeeeMode: 1
; LDSByteSize: 0 bytes/workgroup (compile time only)
; SGPRBlocks: 4
; VGPRBlocks: 5
; NumSGPRsForWavesPerEU: 38
; NumVGPRsForWavesPerEU: 48
; AccumOffset: 48
; Occupancy: 8
; WaveLimiterHint : 0
; COMPUTE_PGM_RSRC2:SCRATCH_EN: 0
; COMPUTE_PGM_RSRC2:USER_SGPR: 2
; COMPUTE_PGM_RSRC2:TRAP_HANDLER: 0
; COMPUTE_PGM_RSRC2:TGID_X_EN: 1
; COMPUTE_PGM_RSRC2:TGID_Y_EN: 1
; COMPUTE_PGM_RSRC2:TGID_Z_EN: 0
; COMPUTE_PGM_RSRC2:TIDIG_COMP_CNT: 1
; COMPUTE_PGM_RSRC3_GFX90A:ACCUM_OFFSET: 11
; COMPUTE_PGM_RSRC3_GFX90A:TG_SPLIT: 0
	.section	.text._ZN2at6native12_GLOBAL__N_135GammaBetaBackwardCUDAKernelTemplateIN3c108BFloat16EfLj32ELj1ELj8ELb1ELb0ELb1EEEvllPKT_S7_PKT0_SA_PS5_SB_,"axG",@progbits,_ZN2at6native12_GLOBAL__N_135GammaBetaBackwardCUDAKernelTemplateIN3c108BFloat16EfLj32ELj1ELj8ELb1ELb0ELb1EEEvllPKT_S7_PKT0_SA_PS5_SB_,comdat
	.globl	_ZN2at6native12_GLOBAL__N_135GammaBetaBackwardCUDAKernelTemplateIN3c108BFloat16EfLj32ELj1ELj8ELb1ELb0ELb1EEEvllPKT_S7_PKT0_SA_PS5_SB_ ; -- Begin function _ZN2at6native12_GLOBAL__N_135GammaBetaBackwardCUDAKernelTemplateIN3c108BFloat16EfLj32ELj1ELj8ELb1ELb0ELb1EEEvllPKT_S7_PKT0_SA_PS5_SB_
	.p2align	8
	.type	_ZN2at6native12_GLOBAL__N_135GammaBetaBackwardCUDAKernelTemplateIN3c108BFloat16EfLj32ELj1ELj8ELb1ELb0ELb1EEEvllPKT_S7_PKT0_SA_PS5_SB_,@function
_ZN2at6native12_GLOBAL__N_135GammaBetaBackwardCUDAKernelTemplateIN3c108BFloat16EfLj32ELj1ELj8ELb1ELb0ELb1EEEvllPKT_S7_PKT0_SA_PS5_SB_: ; @_ZN2at6native12_GLOBAL__N_135GammaBetaBackwardCUDAKernelTemplateIN3c108BFloat16EfLj32ELj1ELj8ELb1ELb0ELb1EEEvllPKT_S7_PKT0_SA_PS5_SB_
; %bb.0:
	s_load_dwordx8 s[12:19], s[0:1], 0x0
	s_load_dwordx2 s[10:11], s[0:1], 0x28
	s_mov_b32 s8, s3
	s_lshl_b32 s3, s2, 5
	s_or_b32 s28, s3, 31
	s_mov_b32 s29, 0
	s_waitcnt lgkmcnt(0)
	v_mov_b64_e32 v[2:3], s[14:15]
	v_cmp_ge_i64_e32 vcc, s[28:29], v[2:3]
	s_lshl_b32 s28, s8, 3
	v_mov_b64_e32 v[2:3], s[12:13]
	v_cmp_lt_i64_e64 s[4:5], s[28:29], v[2:3]
	s_nop 1
	v_cndmask_b32_e64 v1, 0, 1, s[4:5]
	v_cmp_ne_u32_e64 s[4:5], 1, v1
	s_cbranch_vccz .LBB201_49
; %bb.1:
	s_and_b64 vcc, exec, s[4:5]
	v_mov_b32_e32 v4, 0
	s_cbranch_vccnz .LBB201_50
; %bb.2:
	v_mov_b32_e32 v3, 0
	v_bfe_u32 v64, v0, 10, 10
	s_load_dword s9, s[0:1], 0x44
	v_lshlrev_b32_e32 v26, 3, v64
	v_mov_b32_e32 v27, v3
	v_and_b32_e32 v1, 0x3ff, v0
	v_lshl_add_u64 v[4:5], v[26:27], 0, s[28:29]
	v_add_u32_e32 v2, s3, v1
	v_lshl_add_u64 v[6:7], v[4:5], 0, 7
	s_add_u32 s30, s0, 64
	v_cmp_gt_i64_e64 s[6:7], s[14:15], v[2:3]
	v_lshlrev_b64 v[28:29], 1, v[2:3]
	v_mul_lo_u32 v2, s15, v6
	v_mul_lo_u32 v8, s14, v7
	v_mad_u64_u32 v[6:7], s[22:23], s14, v6, 0
	s_addc_u32 s31, s1, 0
	s_waitcnt lgkmcnt(0)
	s_lshl_b32 s34, s9, 3
	v_add3_u32 v7, v7, v8, v2
	v_lshlrev_b64 v[6:7], 1, v[6:7]
	s_mul_i32 s9, s15, s34
	s_mul_hi_u32 s21, s14, s34
	v_lshl_add_u64 v[30:31], s[16:17], 0, v[6:7]
	s_add_i32 s23, s21, s9
	s_mul_i32 s22, s14, s34
	v_lshl_add_u64 v[32:33], s[18:19], 0, v[6:7]
	v_lshl_add_u64 v[6:7], v[4:5], 0, 6
	s_lshl_b64 s[38:39], s[22:23], 1
	v_mul_lo_u32 v2, s15, v6
	v_mul_lo_u32 v8, s14, v7
	v_mad_u64_u32 v[6:7], s[22:23], s14, v6, 0
	v_add3_u32 v7, v7, v8, v2
	v_lshlrev_b64 v[6:7], 1, v[6:7]
	v_lshl_add_u64 v[34:35], s[16:17], 0, v[6:7]
	v_lshl_add_u64 v[36:37], s[18:19], 0, v[6:7]
	v_lshl_add_u64 v[6:7], v[4:5], 0, 5
	v_mul_lo_u32 v2, s15, v6
	v_mul_lo_u32 v8, s14, v7
	v_mad_u64_u32 v[6:7], s[22:23], s14, v6, 0
	v_add3_u32 v7, v7, v8, v2
	v_lshlrev_b64 v[6:7], 1, v[6:7]
	v_lshl_add_u64 v[38:39], s[16:17], 0, v[6:7]
	v_lshl_add_u64 v[40:41], s[18:19], 0, v[6:7]
	v_lshl_add_u64 v[6:7], v[4:5], 0, 4
	;; [unrolled: 8-line block ×4, first 2 shown]
	v_mul_lo_u32 v2, s15, v6
	v_mul_lo_u32 v8, s14, v7
	v_mad_u64_u32 v[6:7], s[22:23], s14, v6, 0
	v_add3_u32 v7, v7, v8, v2
	v_lshlrev_b64 v[6:7], 1, v[6:7]
	v_lshl_add_u64 v[50:51], s[16:17], 0, v[6:7]
	v_lshl_add_u64 v[52:53], s[18:19], 0, v[6:7]
	v_mov_b64_e32 v[6:7], s[14:15]
	v_mad_u64_u32 v[6:7], s[22:23], s14, v4, v[6:7]
	v_mul_lo_u32 v2, s14, v5
	v_mul_lo_u32 v8, s15, v4
	v_mad_u64_u32 v[4:5], s[22:23], s14, v4, 0
	v_add3_u32 v7, v8, v7, v2
	v_add3_u32 v5, v5, v2, v8
	v_mbcnt_lo_u32_b32 v2, -1, 0
	v_mbcnt_hi_u32_b32 v2, -1, v2
	s_mov_b32 s20, 0
	v_lshlrev_b64 v[6:7], 1, v[6:7]
	v_lshlrev_b64 v[4:5], 1, v[4:5]
	v_lshlrev_b32_e32 v2, 2, v2
	s_mov_b32 s35, s20
	s_mov_b64 s[36:37], 7
	v_lshl_add_u64 v[54:55], s[16:17], 0, v[6:7]
	v_lshl_add_u64 v[56:57], s[18:19], 0, v[6:7]
	;; [unrolled: 1-line block ×4, first 2 shown]
	v_and_b32_e32 v65, 0x100, v2
	s_mov_b64 s[40:41], s[28:29]
	v_mov_b32_e32 v66, 0
.LBB201_3:                              ; =>This Inner Loop Header: Depth=1
	s_add_u32 s22, s28, s36
	s_addc_u32 s23, 0, s37
	v_mov_b64_e32 v[4:5], s[12:13]
	v_cmp_ge_i64_e32 vcc, s[22:23], v[4:5]
	v_lshl_add_u64 v[62:63], s[28:29], 0, v[26:27]
	s_cbranch_vccz .LBB201_25
; %bb.4:                                ;   in Loop: Header=BB201_3 Depth=1
	s_load_dword s9, s[30:31], 0xc
	v_mov_b32_e32 v67, 0
	s_waitcnt lgkmcnt(0)
	s_and_b32 s9, s9, 0xffff
	v_mad_u32_u24 v2, v64, s9, v1
	v_and_b32_e32 v2, 63, v2
	v_cmp_gt_u32_e32 vcc, 8, v2
	s_and_saveexec_b64 s[22:23], vcc
	s_cbranch_execz .LBB201_8
; %bb.5:                                ;   in Loop: Header=BB201_3 Depth=1
	v_lshl_add_u64 v[4:5], v[62:63], 0, v[2:3]
	v_cmp_gt_i64_e32 vcc, s[12:13], v[4:5]
	v_mov_b32_e32 v67, 0
	s_and_saveexec_b64 s[24:25], vcc
	s_cbranch_execz .LBB201_7
; %bb.6:                                ;   in Loop: Header=BB201_3 Depth=1
	v_lshl_add_u64 v[4:5], v[4:5], 2, s[10:11]
	global_load_dword v67, v[4:5], off
.LBB201_7:                              ;   in Loop: Header=BB201_3 Depth=1
	s_or_b64 exec, exec, s[24:25]
.LBB201_8:                              ;   in Loop: Header=BB201_3 Depth=1
	s_or_b64 exec, exec, s[22:23]
	s_mov_b32 s21, s20
	s_mov_b32 s22, s20
	;; [unrolled: 1-line block ×7, first 2 shown]
	v_mov_b64_e32 v[10:11], s[20:21]
	v_mov_b64_e32 v[16:17], s[26:27]
	v_cmp_gt_i64_e32 vcc, s[12:13], v[62:63]
	v_mov_b64_e32 v[12:13], s[22:23]
	v_mov_b64_e32 v[14:15], s[24:25]
	;; [unrolled: 1-line block ×3, first 2 shown]
	s_and_b64 s[42:43], s[6:7], vcc
	v_mov_b64_e32 v[22:23], v[14:15]
	v_mov_b64_e32 v[20:21], v[12:13]
	v_mov_b64_e32 v[18:19], v[10:11]
	s_and_saveexec_b64 s[22:23], s[42:43]
	s_cbranch_execz .LBB201_10
; %bb.9:                                ;   in Loop: Header=BB201_3 Depth=1
	v_lshl_add_u64 v[4:5], v[58:59], 0, v[28:29]
	global_load_ushort v2, v[4:5], off
	v_lshl_add_u64 v[4:5], v[60:61], 0, v[28:29]
	global_load_ushort v10, v[4:5], off
	v_mov_b32_e32 v8, v3
	v_mov_b32_e32 v9, v3
	;; [unrolled: 1-line block ×13, first 2 shown]
	s_waitcnt vmcnt(1)
	v_lshlrev_b32_e32 v2, 16, v2
	v_mov_b64_e32 v[24:25], v[8:9]
	s_waitcnt vmcnt(0)
	v_lshlrev_b32_e32 v10, 16, v10
	v_mov_b64_e32 v[22:23], v[6:7]
	v_mov_b64_e32 v[20:21], v[4:5]
	;; [unrolled: 1-line block ×3, first 2 shown]
.LBB201_10:                             ;   in Loop: Header=BB201_3 Depth=1
	s_or_b64 exec, exec, s[22:23]
	v_lshl_add_u64 v[4:5], v[62:63], 0, 1
	v_cmp_gt_i64_e32 vcc, s[12:13], v[4:5]
	s_and_b64 s[24:25], s[6:7], vcc
	s_and_saveexec_b64 s[22:23], s[24:25]
	s_cbranch_execz .LBB201_12
; %bb.11:                               ;   in Loop: Header=BB201_3 Depth=1
	v_lshl_add_u64 v[4:5], v[54:55], 0, v[28:29]
	global_load_ushort v2, v[4:5], off
	v_lshl_add_u64 v[4:5], v[56:57], 0, v[28:29]
	global_load_ushort v4, v[4:5], off
	s_waitcnt vmcnt(1)
	v_lshlrev_b32_e32 v19, 16, v2
	s_waitcnt vmcnt(0)
	v_lshlrev_b32_e32 v11, 16, v4
.LBB201_12:                             ;   in Loop: Header=BB201_3 Depth=1
	s_or_b64 exec, exec, s[22:23]
	v_lshl_add_u64 v[4:5], v[62:63], 0, 2
	v_cmp_gt_i64_e32 vcc, s[12:13], v[4:5]
	s_and_b64 s[24:25], s[6:7], vcc
	s_and_saveexec_b64 s[22:23], s[24:25]
	s_cbranch_execz .LBB201_14
; %bb.13:                               ;   in Loop: Header=BB201_3 Depth=1
	v_lshl_add_u64 v[4:5], v[50:51], 0, v[28:29]
	global_load_ushort v2, v[4:5], off
	v_lshl_add_u64 v[4:5], v[52:53], 0, v[28:29]
	global_load_ushort v4, v[4:5], off
	s_waitcnt vmcnt(1)
	v_lshlrev_b32_e32 v20, 16, v2
	s_waitcnt vmcnt(0)
	v_lshlrev_b32_e32 v12, 16, v4
.LBB201_14:                             ;   in Loop: Header=BB201_3 Depth=1
	;; [unrolled: 16-line block ×7, first 2 shown]
	s_or_b64 exec, exec, s[22:23]
	s_waitcnt vmcnt(0)
	ds_bpermute_b32 v4, v65, v67 offset:4
	ds_bpermute_b32 v5, v65, v67 offset:8
	ds_bpermute_b32 v2, v65, v67
	v_mul_f32_e32 v8, v10, v18
	v_pk_mul_f32 v[10:11], v[10:11], v[18:19]
	v_pk_mul_f32 v[12:13], v[12:13], v[20:21]
	v_mov_b32_e32 v10, v11
	v_mov_b32_e32 v11, v12
	s_waitcnt lgkmcnt(1)
	v_pk_mul_f32 v[4:5], v[10:11], v[4:5]
	ds_bpermute_b32 v10, v65, v67 offset:12
	ds_bpermute_b32 v11, v65, v67 offset:16
	s_waitcnt lgkmcnt(2)
	v_fma_f32 v2, v8, v2, v66
	v_pk_mul_f32 v[8:9], v[14:15], v[22:23]
	v_add_f32_e32 v2, v2, v4
	v_add_f32_e32 v2, v2, v5
	v_mov_b32_e32 v4, v13
	v_mov_b32_e32 v5, v8
	s_waitcnt lgkmcnt(0)
	v_pk_mul_f32 v[4:5], v[4:5], v[10:11]
	ds_bpermute_b32 v10, v65, v67 offset:20
	ds_bpermute_b32 v11, v65, v67 offset:24
	v_pk_mul_f32 v[6:7], v[16:17], v[24:25]
	v_add_f32_e32 v2, v2, v4
	v_add_f32_e32 v7, v2, v5
	ds_bpermute_b32 v2, v65, v67 offset:28
	v_mov_b32_e32 v4, v9
	v_mov_b32_e32 v5, v6
	s_waitcnt lgkmcnt(1)
	v_pk_mul_f32 v[4:5], v[4:5], v[10:11]
	s_nop 0
	v_add_f32_e32 v4, v7, v4
	v_add_f32_e32 v4, v4, v5
	s_branch .LBB201_40
.LBB201_25:                             ;   in Loop: Header=BB201_3 Depth=1
                                        ; implicit-def: $vgpr4
                                        ; implicit-def: $vgpr10_vgpr11_vgpr12_vgpr13_vgpr14_vgpr15_vgpr16_vgpr17
                                        ; implicit-def: $vgpr18_vgpr19_vgpr20_vgpr21_vgpr22_vgpr23_vgpr24_vgpr25
                                        ; implicit-def: $vgpr2
	s_cbranch_execz .LBB201_40
; %bb.26:                               ;   in Loop: Header=BB201_3 Depth=1
	s_load_dword s9, s[30:31], 0x0
	v_mov_b32_e32 v67, 0
	s_waitcnt lgkmcnt(0)
	s_cmp_lt_u32 s2, s9
	s_cselect_b32 s9, 12, 18
	s_add_u32 s22, s30, s9
	s_addc_u32 s23, s31, 0
	global_load_ushort v2, v3, s[22:23]
	s_waitcnt vmcnt(0)
	v_mad_u32_u24 v2, v64, v2, v1
	v_and_b32_e32 v2, 63, v2
	v_cmp_gt_u32_e32 vcc, 8, v2
	s_and_saveexec_b64 s[22:23], vcc
	s_cbranch_execz .LBB201_30
; %bb.27:                               ;   in Loop: Header=BB201_3 Depth=1
	v_lshl_add_u64 v[4:5], v[62:63], 0, v[2:3]
	v_cmp_gt_i64_e32 vcc, s[12:13], v[4:5]
	v_mov_b32_e32 v67, 0
	s_and_saveexec_b64 s[24:25], vcc
	s_cbranch_execz .LBB201_29
; %bb.28:                               ;   in Loop: Header=BB201_3 Depth=1
	v_lshl_add_u64 v[4:5], v[4:5], 2, s[10:11]
	global_load_dword v67, v[4:5], off
.LBB201_29:                             ;   in Loop: Header=BB201_3 Depth=1
	s_or_b64 exec, exec, s[24:25]
.LBB201_30:                             ;   in Loop: Header=BB201_3 Depth=1
	s_or_b64 exec, exec, s[22:23]
	s_mov_b32 s21, s20
	s_mov_b32 s22, s20
	;; [unrolled: 1-line block ×7, first 2 shown]
	v_mov_b64_e32 v[10:11], s[20:21]
	v_mov_b64_e32 v[16:17], s[26:27]
	;; [unrolled: 1-line block ×8, first 2 shown]
	s_and_saveexec_b64 s[22:23], s[6:7]
	s_cbranch_execnz .LBB201_42
; %bb.31:                               ;   in Loop: Header=BB201_3 Depth=1
	s_or_b64 exec, exec, s[22:23]
	s_and_saveexec_b64 s[22:23], s[6:7]
	s_cbranch_execnz .LBB201_43
.LBB201_32:                             ;   in Loop: Header=BB201_3 Depth=1
	s_or_b64 exec, exec, s[22:23]
	s_and_saveexec_b64 s[22:23], s[6:7]
	s_cbranch_execnz .LBB201_44
.LBB201_33:                             ;   in Loop: Header=BB201_3 Depth=1
	s_or_b64 exec, exec, s[22:23]
	s_and_saveexec_b64 s[22:23], s[6:7]
	s_cbranch_execnz .LBB201_45
.LBB201_34:                             ;   in Loop: Header=BB201_3 Depth=1
	s_or_b64 exec, exec, s[22:23]
	s_and_saveexec_b64 s[22:23], s[6:7]
	s_cbranch_execnz .LBB201_46
.LBB201_35:                             ;   in Loop: Header=BB201_3 Depth=1
	s_or_b64 exec, exec, s[22:23]
	s_and_saveexec_b64 s[22:23], s[6:7]
	s_cbranch_execnz .LBB201_47
.LBB201_36:                             ;   in Loop: Header=BB201_3 Depth=1
	s_or_b64 exec, exec, s[22:23]
	s_and_saveexec_b64 s[22:23], s[6:7]
	s_cbranch_execnz .LBB201_48
.LBB201_37:                             ;   in Loop: Header=BB201_3 Depth=1
	s_or_b64 exec, exec, s[22:23]
	s_and_saveexec_b64 s[22:23], s[6:7]
	s_cbranch_execz .LBB201_39
.LBB201_38:                             ;   in Loop: Header=BB201_3 Depth=1
	v_lshl_add_u64 v[4:5], v[30:31], 0, v[28:29]
	global_load_ushort v2, v[4:5], off
	v_lshl_add_u64 v[4:5], v[32:33], 0, v[28:29]
	global_load_ushort v4, v[4:5], off
	s_waitcnt vmcnt(1)
	v_lshlrev_b32_e32 v25, 16, v2
	s_waitcnt vmcnt(0)
	v_lshlrev_b32_e32 v17, 16, v4
.LBB201_39:                             ;   in Loop: Header=BB201_3 Depth=1
	s_or_b64 exec, exec, s[22:23]
	s_waitcnt vmcnt(0)
	ds_bpermute_b32 v4, v65, v67 offset:4
	ds_bpermute_b32 v5, v65, v67 offset:8
	ds_bpermute_b32 v2, v65, v67
	v_mul_f32_e32 v8, v10, v18
	v_pk_mul_f32 v[10:11], v[10:11], v[18:19]
	v_pk_mul_f32 v[12:13], v[12:13], v[20:21]
	v_mov_b32_e32 v10, v11
	v_mov_b32_e32 v11, v12
	s_waitcnt lgkmcnt(1)
	v_pk_mul_f32 v[4:5], v[10:11], v[4:5]
	ds_bpermute_b32 v10, v65, v67 offset:12
	ds_bpermute_b32 v11, v65, v67 offset:16
	s_waitcnt lgkmcnt(2)
	v_fmac_f32_e32 v66, v8, v2
	v_pk_mul_f32 v[8:9], v[14:15], v[22:23]
	v_add_f32_e32 v2, v66, v4
	v_add_f32_e32 v2, v2, v5
	v_mov_b32_e32 v4, v13
	v_mov_b32_e32 v5, v8
	s_waitcnt lgkmcnt(0)
	v_pk_mul_f32 v[4:5], v[4:5], v[10:11]
	ds_bpermute_b32 v10, v65, v67 offset:20
	ds_bpermute_b32 v11, v65, v67 offset:24
	v_pk_mul_f32 v[6:7], v[16:17], v[24:25]
	v_add_f32_e32 v2, v2, v4
	v_add_f32_e32 v7, v2, v5
	v_mov_b32_e32 v4, v9
	v_mov_b32_e32 v5, v6
	s_waitcnt lgkmcnt(0)
	v_pk_mul_f32 v[4:5], v[4:5], v[10:11]
	ds_bpermute_b32 v2, v65, v67 offset:28
	v_add_f32_e32 v4, v7, v4
	v_add_f32_e32 v4, v4, v5
.LBB201_40:                             ;   in Loop: Header=BB201_3 Depth=1
	s_add_u32 s40, s40, s34
	s_addc_u32 s41, s41, 0
	v_mov_b64_e32 v[6:7], s[12:13]
	v_mul_f32_e32 v5, v25, v17
	s_add_u32 s36, s36, s34
	v_cmp_lt_i64_e32 vcc, s[40:41], v[6:7]
	s_waitcnt lgkmcnt(0)
	v_fmac_f32_e32 v4, v5, v2
	v_lshl_add_u64 v[30:31], v[30:31], 0, s[38:39]
	v_lshl_add_u64 v[32:33], v[32:33], 0, s[38:39]
	;; [unrolled: 1-line block ×17, first 2 shown]
	s_addc_u32 s37, s37, 0
	s_cbranch_vccz .LBB201_50
; %bb.41:                               ;   in Loop: Header=BB201_3 Depth=1
	v_mov_b32_e32 v66, v4
	s_branch .LBB201_3
.LBB201_42:                             ;   in Loop: Header=BB201_3 Depth=1
	v_lshl_add_u64 v[4:5], v[58:59], 0, v[28:29]
	global_load_ushort v2, v[4:5], off
	v_lshl_add_u64 v[4:5], v[60:61], 0, v[28:29]
	global_load_ushort v10, v[4:5], off
	v_mov_b32_e32 v8, v3
	v_mov_b32_e32 v9, v3
	;; [unrolled: 1-line block ×13, first 2 shown]
	s_waitcnt vmcnt(1)
	v_lshlrev_b32_e32 v2, 16, v2
	v_mov_b64_e32 v[24:25], v[8:9]
	s_waitcnt vmcnt(0)
	v_lshlrev_b32_e32 v10, 16, v10
	v_mov_b64_e32 v[22:23], v[6:7]
	v_mov_b64_e32 v[20:21], v[4:5]
	;; [unrolled: 1-line block ×3, first 2 shown]
	s_or_b64 exec, exec, s[22:23]
	s_and_saveexec_b64 s[22:23], s[6:7]
	s_cbranch_execz .LBB201_32
.LBB201_43:                             ;   in Loop: Header=BB201_3 Depth=1
	v_lshl_add_u64 v[4:5], v[54:55], 0, v[28:29]
	global_load_ushort v2, v[4:5], off
	v_lshl_add_u64 v[4:5], v[56:57], 0, v[28:29]
	global_load_ushort v4, v[4:5], off
	s_waitcnt vmcnt(1)
	v_lshlrev_b32_e32 v19, 16, v2
	s_waitcnt vmcnt(0)
	v_lshlrev_b32_e32 v11, 16, v4
	s_or_b64 exec, exec, s[22:23]
	s_and_saveexec_b64 s[22:23], s[6:7]
	s_cbranch_execz .LBB201_33
.LBB201_44:                             ;   in Loop: Header=BB201_3 Depth=1
	v_lshl_add_u64 v[4:5], v[50:51], 0, v[28:29]
	global_load_ushort v2, v[4:5], off
	v_lshl_add_u64 v[4:5], v[52:53], 0, v[28:29]
	global_load_ushort v4, v[4:5], off
	s_waitcnt vmcnt(1)
	v_lshlrev_b32_e32 v20, 16, v2
	s_waitcnt vmcnt(0)
	v_lshlrev_b32_e32 v12, 16, v4
	s_or_b64 exec, exec, s[22:23]
	s_and_saveexec_b64 s[22:23], s[6:7]
	s_cbranch_execz .LBB201_34
.LBB201_45:                             ;   in Loop: Header=BB201_3 Depth=1
	v_lshl_add_u64 v[4:5], v[46:47], 0, v[28:29]
	global_load_ushort v2, v[4:5], off
	v_lshl_add_u64 v[4:5], v[48:49], 0, v[28:29]
	global_load_ushort v4, v[4:5], off
	s_waitcnt vmcnt(1)
	v_lshlrev_b32_e32 v21, 16, v2
	s_waitcnt vmcnt(0)
	v_lshlrev_b32_e32 v13, 16, v4
	s_or_b64 exec, exec, s[22:23]
	s_and_saveexec_b64 s[22:23], s[6:7]
	s_cbranch_execz .LBB201_35
.LBB201_46:                             ;   in Loop: Header=BB201_3 Depth=1
	v_lshl_add_u64 v[4:5], v[42:43], 0, v[28:29]
	global_load_ushort v2, v[4:5], off
	v_lshl_add_u64 v[4:5], v[44:45], 0, v[28:29]
	global_load_ushort v4, v[4:5], off
	s_waitcnt vmcnt(1)
	v_lshlrev_b32_e32 v22, 16, v2
	s_waitcnt vmcnt(0)
	v_lshlrev_b32_e32 v14, 16, v4
	s_or_b64 exec, exec, s[22:23]
	s_and_saveexec_b64 s[22:23], s[6:7]
	s_cbranch_execz .LBB201_36
.LBB201_47:                             ;   in Loop: Header=BB201_3 Depth=1
	v_lshl_add_u64 v[4:5], v[38:39], 0, v[28:29]
	global_load_ushort v2, v[4:5], off
	v_lshl_add_u64 v[4:5], v[40:41], 0, v[28:29]
	global_load_ushort v4, v[4:5], off
	s_waitcnt vmcnt(1)
	v_lshlrev_b32_e32 v23, 16, v2
	s_waitcnt vmcnt(0)
	v_lshlrev_b32_e32 v15, 16, v4
	s_or_b64 exec, exec, s[22:23]
	s_and_saveexec_b64 s[22:23], s[6:7]
	s_cbranch_execz .LBB201_37
.LBB201_48:                             ;   in Loop: Header=BB201_3 Depth=1
	v_lshl_add_u64 v[4:5], v[34:35], 0, v[28:29]
	global_load_ushort v2, v[4:5], off
	v_lshl_add_u64 v[4:5], v[36:37], 0, v[28:29]
	global_load_ushort v4, v[4:5], off
	s_waitcnt vmcnt(1)
	v_lshlrev_b32_e32 v24, 16, v2
	s_waitcnt vmcnt(0)
	v_lshlrev_b32_e32 v16, 16, v4
	s_or_b64 exec, exec, s[22:23]
	s_and_saveexec_b64 s[22:23], s[6:7]
	s_cbranch_execnz .LBB201_38
	s_branch .LBB201_39
.LBB201_49:
                                        ; implicit-def: $vgpr4
	s_load_dwordx2 s[6:7], s[0:1], 0x30
	s_branch .LBB201_51
.LBB201_50:
	s_load_dwordx2 s[6:7], s[0:1], 0x30
	s_cbranch_execnz .LBB201_83
.LBB201_51:
	s_and_b64 vcc, exec, s[4:5]
	v_mov_b32_e32 v4, 0
	s_cbranch_vccnz .LBB201_83
; %bb.52:
	v_and_b32_e32 v1, 0x3ff, v0
	v_add_u32_e32 v2, s3, v1
	v_mov_b32_e32 v3, 0
	v_bfe_u32 v92, v0, 10, 10
	v_lshlrev_b64 v[28:29], 1, v[2:3]
	v_lshlrev_b32_e32 v2, 4, v92
	v_lshl_add_u64 v[4:5], s[28:29], 1, v[2:3]
	v_lshl_add_u64 v[6:7], v[4:5], 0, 2
	v_mov_b64_e32 v[8:9], s[16:17]
	v_lshl_add_u64 v[10:11], v[4:5], 0, 4
	v_lshl_add_u64 v[12:13], v[4:5], 0, 6
	;; [unrolled: 1-line block ×6, first 2 shown]
	v_mad_u64_u32 v[30:31], s[4:5], s14, v6, v[8:9]
	v_mad_u64_u32 v[32:33], s[4:5], s14, v10, v[8:9]
	v_mad_u64_u32 v[34:35], s[4:5], s14, v12, v[8:9]
	v_mad_u64_u32 v[36:37], s[4:5], s14, v14, v[8:9]
	v_mad_u64_u32 v[38:39], s[4:5], s14, v16, v[8:9]
	v_mad_u64_u32 v[40:41], s[4:5], s14, v18, v[8:9]
	v_mad_u64_u32 v[42:43], s[4:5], s14, v4, v[8:9]
	v_mov_b64_e32 v[8:9], s[18:19]
	v_lshlrev_b32_e32 v26, 3, v92
	v_mov_b32_e32 v27, v3
	v_mul_lo_u32 v2, s14, v7
	v_mul_lo_u32 v7, s15, v6
	v_mad_u64_u32 v[44:45], s[4:5], s14, v6, v[8:9]
	v_add3_u32 v31, v7, v31, v2
	v_mul_lo_u32 v5, s14, v5
	v_mul_lo_u32 v25, s15, v4
	v_add3_u32 v45, v7, v45, v2
	v_lshl_add_u64 v[6:7], v[26:27], 0, s[28:29]
	v_mad_u64_u32 v[56:57], s[4:5], s14, v4, v[8:9]
	v_add3_u32 v43, v25, v43, v5
	v_add3_u32 v57, v25, v57, v5
	v_lshl_add_u64 v[4:5], v[6:7], 0, 7
	v_mad_u64_u32 v[46:47], s[4:5], s14, v10, v[8:9]
	v_mad_u64_u32 v[48:49], s[4:5], s14, v12, v[8:9]
	;; [unrolled: 1-line block ×5, first 2 shown]
	v_mul_lo_u32 v8, s15, v4
	v_mul_lo_u32 v9, s14, v5
	v_mad_u64_u32 v[4:5], s[4:5], s14, v4, 0
	v_mul_lo_u32 v11, s14, v11
	v_mul_lo_u32 v20, s15, v10
	v_add3_u32 v5, v5, v9, v8
	v_lshl_add_u64 v[8:9], v[6:7], 0, 6
	v_add3_u32 v33, v20, v33, v11
	v_add3_u32 v47, v20, v47, v11
	v_mul_lo_u32 v10, s15, v8
	v_mul_lo_u32 v11, s14, v9
	v_mad_u64_u32 v[8:9], s[4:5], s14, v8, 0
	v_mul_lo_u32 v13, s14, v13
	v_mul_lo_u32 v21, s15, v12
	v_add3_u32 v9, v9, v11, v10
	v_lshl_add_u64 v[10:11], v[6:7], 0, 5
	v_add3_u32 v35, v21, v35, v13
	v_add3_u32 v49, v21, v49, v13
	;; [unrolled: 9-line block ×4, first 2 shown]
	v_mul_lo_u32 v16, s15, v14
	v_mul_lo_u32 v17, s14, v15
	v_mad_u64_u32 v[14:15], s[4:5], s14, v14, 0
	v_mul_lo_u32 v19, s14, v19
	v_mul_lo_u32 v24, s15, v18
	v_add3_u32 v15, v15, v17, v16
	v_lshl_add_u64 v[16:17], v[6:7], 0, 2
	s_load_dword s3, s[0:1], 0x44
	v_add3_u32 v41, v24, v41, v19
	v_add3_u32 v55, v24, v55, v19
	v_mul_lo_u32 v18, s15, v16
	v_mul_lo_u32 v19, s14, v17
	v_mad_u64_u32 v[16:17], s[4:5], s14, v16, 0
	v_lshlrev_b64 v[4:5], 1, v[4:5]
	v_add3_u32 v17, v17, v19, v18
	v_mov_b64_e32 v[18:19], s[14:15]
	v_lshl_add_u64 v[62:63], s[16:17], 0, v[4:5]
	v_lshl_add_u64 v[64:65], s[18:19], 0, v[4:5]
	v_lshlrev_b64 v[4:5], 1, v[8:9]
	v_mul_lo_u32 v2, s15, v6
	v_mad_u64_u32 v[18:19], s[4:5], s14, v6, v[18:19]
	v_mul_lo_u32 v20, s14, v7
	v_mad_u64_u32 v[6:7], s[4:5], s14, v6, 0
	v_lshl_add_u64 v[66:67], s[16:17], 0, v[4:5]
	v_lshl_add_u64 v[68:69], s[18:19], 0, v[4:5]
	v_lshlrev_b64 v[4:5], 1, v[10:11]
	s_add_u32 s4, s0, 64
	v_lshl_add_u64 v[70:71], s[16:17], 0, v[4:5]
	v_lshl_add_u64 v[72:73], s[18:19], 0, v[4:5]
	v_lshlrev_b64 v[4:5], 1, v[12:13]
	v_add3_u32 v7, v7, v20, v2
	v_add3_u32 v19, v2, v19, v20
	s_addc_u32 s5, s1, 0
	s_waitcnt lgkmcnt(0)
	s_lshl_b32 s30, s3, 3
	v_lshl_add_u64 v[74:75], s[16:17], 0, v[4:5]
	v_lshl_add_u64 v[76:77], s[18:19], 0, v[4:5]
	v_lshlrev_b64 v[4:5], 1, v[14:15]
	v_mbcnt_lo_u32_b32 v2, -1, 0
	s_mul_i32 s3, s15, s30
	s_mul_hi_u32 s9, s14, s30
	v_lshl_add_u64 v[78:79], s[16:17], 0, v[4:5]
	v_lshl_add_u64 v[80:81], s[18:19], 0, v[4:5]
	v_lshlrev_b64 v[4:5], 1, v[16:17]
	v_mbcnt_hi_u32_b32 v2, -1, v2
	s_mov_b32 s20, 0
	s_add_i32 s23, s9, s3
	s_mul_i32 s22, s14, s30
	v_lshlrev_b64 v[6:7], 1, v[6:7]
	v_lshl_add_u64 v[82:83], s[16:17], 0, v[4:5]
	v_lshl_add_u64 v[84:85], s[18:19], 0, v[4:5]
	v_lshlrev_b64 v[4:5], 1, v[18:19]
	v_lshlrev_b32_e32 v2, 2, v2
	s_mov_b32 s31, s20
	s_lshl_b64 s[34:35], s[22:23], 1
	v_lshl_add_u64 v[58:59], s[16:17], 0, v[6:7]
	v_lshl_add_u64 v[60:61], s[18:19], 0, v[6:7]
	s_mov_b64 s[36:37], 7
	v_lshl_add_u64 v[86:87], s[16:17], 0, v[4:5]
	v_lshl_add_u64 v[88:89], s[18:19], 0, v[4:5]
	v_and_b32_e32 v93, 0x100, v2
	s_mov_b64 s[16:17], s[28:29]
	v_mov_b32_e32 v94, 0
.LBB201_53:                             ; =>This Inner Loop Header: Depth=1
	s_add_u32 s18, s28, s36
	s_addc_u32 s19, 0, s37
	v_mov_b64_e32 v[4:5], s[12:13]
	v_cmp_ge_i64_e32 vcc, s[18:19], v[4:5]
	v_lshl_add_u64 v[90:91], s[28:29], 0, v[26:27]
	s_cbranch_vccz .LBB201_75
; %bb.54:                               ;   in Loop: Header=BB201_53 Depth=1
	s_load_dword s3, s[4:5], 0xc
	v_mov_b32_e32 v95, 0
	s_waitcnt lgkmcnt(0)
	s_and_b32 s3, s3, 0xffff
	v_mad_u32_u24 v2, v92, s3, v1
	v_and_b32_e32 v2, 63, v2
	v_cmp_gt_u32_e32 vcc, 8, v2
	s_and_saveexec_b64 s[18:19], vcc
	s_cbranch_execz .LBB201_58
; %bb.55:                               ;   in Loop: Header=BB201_53 Depth=1
	v_lshl_add_u64 v[4:5], v[90:91], 0, v[2:3]
	v_cmp_gt_i64_e32 vcc, s[12:13], v[4:5]
	v_mov_b32_e32 v95, 0
	s_and_saveexec_b64 s[22:23], vcc
	s_cbranch_execz .LBB201_57
; %bb.56:                               ;   in Loop: Header=BB201_53 Depth=1
	v_lshl_add_u64 v[4:5], v[4:5], 2, s[10:11]
	global_load_dword v95, v[4:5], off
.LBB201_57:                             ;   in Loop: Header=BB201_53 Depth=1
	s_or_b64 exec, exec, s[22:23]
.LBB201_58:                             ;   in Loop: Header=BB201_53 Depth=1
	s_or_b64 exec, exec, s[18:19]
	s_mov_b32 s21, s20
	s_mov_b32 s22, s20
	;; [unrolled: 1-line block ×7, first 2 shown]
	v_mov_b64_e32 v[10:11], s[20:21]
	v_mov_b64_e32 v[16:17], s[26:27]
	;; [unrolled: 1-line block ×5, first 2 shown]
	v_cmp_gt_i64_e32 vcc, s[12:13], v[90:91]
	v_mov_b64_e32 v[22:23], v[14:15]
	v_mov_b64_e32 v[20:21], v[12:13]
	;; [unrolled: 1-line block ×3, first 2 shown]
	s_and_saveexec_b64 s[18:19], vcc
	s_cbranch_execz .LBB201_60
; %bb.59:                               ;   in Loop: Header=BB201_53 Depth=1
	v_lshl_add_u64 v[4:5], v[58:59], 0, v[28:29]
	global_load_ushort v2, v[4:5], off
	v_lshl_add_u64 v[4:5], v[60:61], 0, v[28:29]
	global_load_ushort v10, v[4:5], off
	v_mov_b32_e32 v8, v3
	v_mov_b32_e32 v9, v3
	;; [unrolled: 1-line block ×13, first 2 shown]
	s_waitcnt vmcnt(1)
	v_lshlrev_b32_e32 v2, 16, v2
	v_mov_b64_e32 v[24:25], v[8:9]
	s_waitcnt vmcnt(0)
	v_lshlrev_b32_e32 v10, 16, v10
	v_mov_b64_e32 v[22:23], v[6:7]
	v_mov_b64_e32 v[20:21], v[4:5]
	;; [unrolled: 1-line block ×3, first 2 shown]
.LBB201_60:                             ;   in Loop: Header=BB201_53 Depth=1
	s_or_b64 exec, exec, s[18:19]
	v_lshl_add_u64 v[4:5], v[90:91], 0, 1
	v_cmp_gt_i64_e32 vcc, s[12:13], v[4:5]
	s_and_saveexec_b64 s[18:19], vcc
	s_cbranch_execz .LBB201_62
; %bb.61:                               ;   in Loop: Header=BB201_53 Depth=1
	v_lshl_add_u64 v[4:5], v[86:87], 0, v[28:29]
	global_load_ushort v2, v[4:5], off
	v_lshl_add_u64 v[4:5], v[88:89], 0, v[28:29]
	global_load_ushort v4, v[4:5], off
	s_waitcnt vmcnt(1)
	v_lshlrev_b32_e32 v19, 16, v2
	s_waitcnt vmcnt(0)
	v_lshlrev_b32_e32 v11, 16, v4
.LBB201_62:                             ;   in Loop: Header=BB201_53 Depth=1
	s_or_b64 exec, exec, s[18:19]
	v_lshl_add_u64 v[4:5], v[90:91], 0, 2
	v_cmp_gt_i64_e32 vcc, s[12:13], v[4:5]
	s_and_saveexec_b64 s[18:19], vcc
	s_cbranch_execz .LBB201_64
; %bb.63:                               ;   in Loop: Header=BB201_53 Depth=1
	v_lshl_add_u64 v[4:5], v[82:83], 0, v[28:29]
	global_load_ushort v2, v[4:5], off
	v_lshl_add_u64 v[4:5], v[84:85], 0, v[28:29]
	global_load_ushort v4, v[4:5], off
	s_waitcnt vmcnt(1)
	v_lshlrev_b32_e32 v20, 16, v2
	s_waitcnt vmcnt(0)
	v_lshlrev_b32_e32 v12, 16, v4
.LBB201_64:                             ;   in Loop: Header=BB201_53 Depth=1
	;; [unrolled: 15-line block ×7, first 2 shown]
	s_or_b64 exec, exec, s[18:19]
	s_waitcnt vmcnt(0)
	ds_bpermute_b32 v4, v93, v95
	ds_bpermute_b32 v5, v93, v95 offset:4
	v_pk_mul_f32 v[8:9], v[14:15], v[22:23]
	ds_bpermute_b32 v14, v93, v95 offset:8
	ds_bpermute_b32 v15, v93, v95 offset:12
	v_pk_mul_f32 v[10:11], v[10:11], v[18:19]
	v_pk_mul_f32 v[12:13], v[12:13], v[20:21]
	s_waitcnt lgkmcnt(2)
	v_pk_mul_f32 v[4:5], v[10:11], v[4:5]
	ds_bpermute_b32 v10, v93, v95 offset:16
	ds_bpermute_b32 v11, v93, v95 offset:20
	v_add_f32_e32 v2, v94, v4
	v_add_f32_e32 v2, v2, v5
	s_waitcnt lgkmcnt(2)
	v_pk_mul_f32 v[4:5], v[12:13], v[14:15]
	ds_bpermute_b32 v12, v93, v95 offset:24
	ds_bpermute_b32 v13, v93, v95 offset:28
	v_add_f32_e32 v2, v2, v4
	v_add_f32_e32 v2, v2, v5
	s_waitcnt lgkmcnt(2)
	v_pk_mul_f32 v[4:5], v[8:9], v[10:11]
	v_pk_mul_f32 v[6:7], v[16:17], v[24:25]
	v_add_f32_e32 v2, v2, v4
	v_add_f32_e32 v2, v2, v5
	s_waitcnt lgkmcnt(0)
	v_pk_mul_f32 v[4:5], v[6:7], v[12:13]
	s_nop 0
	v_add_f32_e32 v2, v2, v4
	v_add_f32_e32 v4, v2, v5
	s_branch .LBB201_81
.LBB201_75:                             ;   in Loop: Header=BB201_53 Depth=1
                                        ; implicit-def: $vgpr4
	s_cbranch_execz .LBB201_81
; %bb.76:                               ;   in Loop: Header=BB201_53 Depth=1
	s_load_dword s3, s[4:5], 0x0
	v_mov_b32_e32 v6, 0
	s_waitcnt lgkmcnt(0)
	s_cmp_lt_u32 s2, s3
	s_cselect_b32 s3, 12, 18
	s_add_u32 s18, s4, s3
	s_addc_u32 s19, s5, 0
	global_load_ushort v2, v3, s[18:19]
	s_waitcnt vmcnt(0)
	v_mad_u32_u24 v2, v92, v2, v1
	v_and_b32_e32 v2, 63, v2
	v_cmp_gt_u32_e32 vcc, 8, v2
	s_and_saveexec_b64 s[18:19], vcc
	s_cbranch_execz .LBB201_80
; %bb.77:                               ;   in Loop: Header=BB201_53 Depth=1
	v_lshl_add_u64 v[4:5], v[90:91], 0, v[2:3]
	v_cmp_gt_i64_e32 vcc, s[12:13], v[4:5]
	v_mov_b32_e32 v6, 0
	s_and_saveexec_b64 s[22:23], vcc
	s_cbranch_execz .LBB201_79
; %bb.78:                               ;   in Loop: Header=BB201_53 Depth=1
	v_lshl_add_u64 v[4:5], v[4:5], 2, s[10:11]
	global_load_dword v6, v[4:5], off
.LBB201_79:                             ;   in Loop: Header=BB201_53 Depth=1
	s_or_b64 exec, exec, s[22:23]
.LBB201_80:                             ;   in Loop: Header=BB201_53 Depth=1
	s_or_b64 exec, exec, s[18:19]
	v_lshl_add_u64 v[10:11], v[30:31], 0, v[28:29]
	v_lshl_add_u64 v[90:91], v[38:39], 0, v[28:29]
	v_lshl_add_u64 v[4:5], v[58:59], 0, v[28:29]
	v_lshl_add_u64 v[8:9], v[60:61], 0, v[28:29]
	v_lshl_add_u64 v[12:13], v[44:45], 0, v[28:29]
	v_lshl_add_u64 v[14:15], v[32:33], 0, v[28:29]
	v_lshl_add_u64 v[16:17], v[46:47], 0, v[28:29]
	v_lshl_add_u64 v[18:19], v[34:35], 0, v[28:29]
	v_lshl_add_u64 v[20:21], v[48:49], 0, v[28:29]
	v_lshl_add_u64 v[22:23], v[36:37], 0, v[28:29]
	v_lshl_add_u64 v[24:25], v[50:51], 0, v[28:29]
	v_lshl_add_u64 v[96:97], v[52:53], 0, v[28:29]
	v_lshl_add_u64 v[98:99], v[40:41], 0, v[28:29]
	v_lshl_add_u64 v[100:101], v[54:55], 0, v[28:29]
	v_lshl_add_u64 v[102:103], v[42:43], 0, v[28:29]
	v_lshl_add_u64 v[104:105], v[56:57], 0, v[28:29]
	global_load_ushort v2, v[10:11], off
	global_load_ushort v95, v[4:5], off
	;; [unrolled: 1-line block ×15, first 2 shown]
                                        ; kill: killed $vgpr8_vgpr9
                                        ; kill: killed $vgpr18_vgpr19
                                        ; kill: killed $vgpr96_vgpr97
                                        ; kill: killed $vgpr14_vgpr15
                                        ; kill: killed $vgpr24_vgpr25
                                        ; kill: killed $vgpr10_vgpr11
                                        ; kill: killed $vgpr102_vgpr103
                                        ; kill: killed $vgpr20_vgpr21
                                        ; kill: killed $vgpr4_vgpr5
                                        ; kill: killed $vgpr98_vgpr99
                                        ; kill: killed $vgpr16_vgpr17
                                        ; kill: killed $vgpr90_vgpr91
                                        ; kill: killed $vgpr12_vgpr13
                                        ; kill: killed $vgpr104_vgpr105
                                        ; kill: killed $vgpr22_vgpr23
	global_load_ushort v90, v[100:101], off
	s_waitcnt vmcnt(16)
	ds_bpermute_b32 v4, v93, v6
	ds_bpermute_b32 v5, v93, v6 offset:4
	ds_bpermute_b32 v8, v93, v6 offset:8
	;; [unrolled: 1-line block ×7, first 2 shown]
	s_waitcnt vmcnt(15)
	v_lshlrev_b32_e32 v7, 16, v2
	s_waitcnt vmcnt(14)
	v_lshlrev_b32_e32 v6, 16, v95
	;; [unrolled: 2-line block ×4, first 2 shown]
	v_pk_mul_f32 v[6:7], v[6:7], v[14:15]
	s_waitcnt vmcnt(11)
	v_lshlrev_b32_e32 v17, 16, v108
	s_waitcnt vmcnt(10)
	v_lshlrev_b32_e32 v16, 16, v109
	;; [unrolled: 2-line block ×4, first 2 shown]
	s_waitcnt lgkmcnt(6)
	v_pk_mul_f32 v[4:5], v[6:7], v[4:5]
	v_pk_mul_f32 v[14:15], v[16:17], v[18:19]
	v_add_f32_e32 v2, v94, v4
	s_waitcnt vmcnt(7)
	v_lshlrev_b32_e32 v21, 16, v112
	s_waitcnt vmcnt(6)
	v_lshlrev_b32_e32 v20, 16, v113
	;; [unrolled: 2-line block ×4, first 2 shown]
	s_waitcnt lgkmcnt(4)
	v_pk_mul_f32 v[6:7], v[14:15], v[8:9]
	v_add_f32_e32 v2, v2, v5
	v_pk_mul_f32 v[16:17], v[20:21], v[22:23]
	v_add_f32_e32 v2, v2, v6
	s_waitcnt vmcnt(3)
	v_lshlrev_b32_e32 v25, 16, v116
	s_waitcnt vmcnt(2)
	v_lshlrev_b32_e32 v24, 16, v117
	;; [unrolled: 2-line block ×3, first 2 shown]
	s_waitcnt lgkmcnt(2)
	v_pk_mul_f32 v[8:9], v[16:17], v[10:11]
	v_add_f32_e32 v2, v2, v7
	v_add_f32_e32 v2, v2, v8
	;; [unrolled: 1-line block ×3, first 2 shown]
	s_waitcnt vmcnt(0)
	v_lshlrev_b32_e32 v90, 16, v90
	v_pk_mul_f32 v[18:19], v[24:25], v[90:91]
	s_waitcnt lgkmcnt(0)
	v_pk_mul_f32 v[4:5], v[18:19], v[12:13]
	s_nop 0
	v_add_f32_e32 v2, v2, v4
	v_add_f32_e32 v4, v2, v5
.LBB201_81:                             ;   in Loop: Header=BB201_53 Depth=1
	s_add_u32 s16, s16, s30
	s_addc_u32 s17, s17, 0
	v_mov_b64_e32 v[6:7], s[12:13]
	s_add_u32 s36, s36, s30
	v_cmp_ge_i64_e32 vcc, s[16:17], v[6:7]
	v_lshl_add_u64 v[26:27], v[26:27], 0, s[30:31]
	v_lshl_add_u64 v[30:31], v[30:31], 0, s[34:35]
	;; [unrolled: 1-line block ×31, first 2 shown]
	s_addc_u32 s37, s37, 0
	s_cbranch_vccnz .LBB201_83
; %bb.82:                               ;   in Loop: Header=BB201_53 Depth=1
	v_mov_b32_e32 v94, v4
	s_branch .LBB201_53
.LBB201_83:
	s_mov_b32 s3, 0
	s_lshl_b64 s[2:3], s[2:3], 5
	v_and_b32_e32 v1, 0x3ff, v0
	v_or_b32_e32 v2, s2, v1
	v_mov_b32_e32 v3, s3
	s_waitcnt lgkmcnt(0)
	s_cmp_lg_u64 s[6:7], 0
	v_cmp_gt_i64_e32 vcc, s[14:15], v[2:3]
	s_cselect_b64 s[2:3], -1, 0
	s_and_b64 s[2:3], vcc, s[2:3]
	s_and_saveexec_b64 s[4:5], s[2:3]
	s_cbranch_execz .LBB201_85
; %bb.84:
	s_load_dword s0, s[0:1], 0x4c
	v_bfe_u32 v0, v0, 10, 10
	v_mov_b32_e32 v1, 0
	v_mov_b32_e32 v5, s8
	;; [unrolled: 1-line block ×3, first 2 shown]
	s_waitcnt lgkmcnt(0)
	s_lshr_b32 s0, s0, 16
	v_mad_u64_u32 v[0:1], s[0:1], s0, v5, v[0:1]
	v_bfe_u32 v5, v4, 16, 1
	s_movk_i32 s0, 0x7fff
	v_add3_u32 v5, v4, v5, s0
	v_lshrrev_b32_e32 v5, 16, v5
	v_cmp_o_f32_e32 vcc, v4, v4
	s_nop 1
	v_cndmask_b32_e32 v4, v6, v5, vcc
	v_mul_lo_u32 v5, v1, s14
	v_mul_lo_u32 v6, v0, s15
	v_mad_u64_u32 v[0:1], s[0:1], v0, s14, 0
	v_add3_u32 v1, v1, v6, v5
	v_lshl_add_u64 v[0:1], v[0:1], 1, s[6:7]
	v_lshl_add_u64 v[0:1], v[2:3], 1, v[0:1]
	global_store_short v[0:1], v4, off
.LBB201_85:
	s_endpgm
	.section	.rodata,"a",@progbits
	.p2align	6, 0x0
	.amdhsa_kernel _ZN2at6native12_GLOBAL__N_135GammaBetaBackwardCUDAKernelTemplateIN3c108BFloat16EfLj32ELj1ELj8ELb1ELb0ELb1EEEvllPKT_S7_PKT0_SA_PS5_SB_
		.amdhsa_group_segment_fixed_size 0
		.amdhsa_private_segment_fixed_size 0
		.amdhsa_kernarg_size 320
		.amdhsa_user_sgpr_count 2
		.amdhsa_user_sgpr_dispatch_ptr 0
		.amdhsa_user_sgpr_queue_ptr 0
		.amdhsa_user_sgpr_kernarg_segment_ptr 1
		.amdhsa_user_sgpr_dispatch_id 0
		.amdhsa_user_sgpr_kernarg_preload_length 0
		.amdhsa_user_sgpr_kernarg_preload_offset 0
		.amdhsa_user_sgpr_private_segment_size 0
		.amdhsa_uses_dynamic_stack 0
		.amdhsa_enable_private_segment 0
		.amdhsa_system_sgpr_workgroup_id_x 1
		.amdhsa_system_sgpr_workgroup_id_y 1
		.amdhsa_system_sgpr_workgroup_id_z 0
		.amdhsa_system_sgpr_workgroup_info 0
		.amdhsa_system_vgpr_workitem_id 1
		.amdhsa_next_free_vgpr 119
		.amdhsa_next_free_sgpr 44
		.amdhsa_accum_offset 120
		.amdhsa_reserve_vcc 1
		.amdhsa_float_round_mode_32 0
		.amdhsa_float_round_mode_16_64 0
		.amdhsa_float_denorm_mode_32 3
		.amdhsa_float_denorm_mode_16_64 3
		.amdhsa_dx10_clamp 1
		.amdhsa_ieee_mode 1
		.amdhsa_fp16_overflow 0
		.amdhsa_tg_split 0
		.amdhsa_exception_fp_ieee_invalid_op 0
		.amdhsa_exception_fp_denorm_src 0
		.amdhsa_exception_fp_ieee_div_zero 0
		.amdhsa_exception_fp_ieee_overflow 0
		.amdhsa_exception_fp_ieee_underflow 0
		.amdhsa_exception_fp_ieee_inexact 0
		.amdhsa_exception_int_div_zero 0
	.end_amdhsa_kernel
	.section	.text._ZN2at6native12_GLOBAL__N_135GammaBetaBackwardCUDAKernelTemplateIN3c108BFloat16EfLj32ELj1ELj8ELb1ELb0ELb1EEEvllPKT_S7_PKT0_SA_PS5_SB_,"axG",@progbits,_ZN2at6native12_GLOBAL__N_135GammaBetaBackwardCUDAKernelTemplateIN3c108BFloat16EfLj32ELj1ELj8ELb1ELb0ELb1EEEvllPKT_S7_PKT0_SA_PS5_SB_,comdat
.Lfunc_end201:
	.size	_ZN2at6native12_GLOBAL__N_135GammaBetaBackwardCUDAKernelTemplateIN3c108BFloat16EfLj32ELj1ELj8ELb1ELb0ELb1EEEvllPKT_S7_PKT0_SA_PS5_SB_, .Lfunc_end201-_ZN2at6native12_GLOBAL__N_135GammaBetaBackwardCUDAKernelTemplateIN3c108BFloat16EfLj32ELj1ELj8ELb1ELb0ELb1EEEvllPKT_S7_PKT0_SA_PS5_SB_
                                        ; -- End function
	.section	.AMDGPU.csdata,"",@progbits
; Kernel info:
; codeLenInByte = 6232
; NumSgprs: 50
; NumVgprs: 119
; NumAgprs: 0
; TotalNumVgprs: 119
; ScratchSize: 0
; MemoryBound: 0
; FloatMode: 240
; IeeeMode: 1
; LDSByteSize: 0 bytes/workgroup (compile time only)
; SGPRBlocks: 6
; VGPRBlocks: 14
; NumSGPRsForWavesPerEU: 50
; NumVGPRsForWavesPerEU: 119
; AccumOffset: 120
; Occupancy: 4
; WaveLimiterHint : 0
; COMPUTE_PGM_RSRC2:SCRATCH_EN: 0
; COMPUTE_PGM_RSRC2:USER_SGPR: 2
; COMPUTE_PGM_RSRC2:TRAP_HANDLER: 0
; COMPUTE_PGM_RSRC2:TGID_X_EN: 1
; COMPUTE_PGM_RSRC2:TGID_Y_EN: 1
; COMPUTE_PGM_RSRC2:TGID_Z_EN: 0
; COMPUTE_PGM_RSRC2:TIDIG_COMP_CNT: 1
; COMPUTE_PGM_RSRC3_GFX90A:ACCUM_OFFSET: 29
; COMPUTE_PGM_RSRC3_GFX90A:TG_SPLIT: 0
	.section	.text._ZN2at6native12_GLOBAL__N_135GammaBetaBackwardCUDAKernelTemplateIN3c108BFloat16EfLj32ELj8ELj64ELb0ELb1ELb1EEEvllPKT_S7_PKT0_SA_PS5_SB_,"axG",@progbits,_ZN2at6native12_GLOBAL__N_135GammaBetaBackwardCUDAKernelTemplateIN3c108BFloat16EfLj32ELj8ELj64ELb0ELb1ELb1EEEvllPKT_S7_PKT0_SA_PS5_SB_,comdat
	.globl	_ZN2at6native12_GLOBAL__N_135GammaBetaBackwardCUDAKernelTemplateIN3c108BFloat16EfLj32ELj8ELj64ELb0ELb1ELb1EEEvllPKT_S7_PKT0_SA_PS5_SB_ ; -- Begin function _ZN2at6native12_GLOBAL__N_135GammaBetaBackwardCUDAKernelTemplateIN3c108BFloat16EfLj32ELj8ELj64ELb0ELb1ELb1EEEvllPKT_S7_PKT0_SA_PS5_SB_
	.p2align	8
	.type	_ZN2at6native12_GLOBAL__N_135GammaBetaBackwardCUDAKernelTemplateIN3c108BFloat16EfLj32ELj8ELj64ELb0ELb1ELb1EEEvllPKT_S7_PKT0_SA_PS5_SB_,@function
_ZN2at6native12_GLOBAL__N_135GammaBetaBackwardCUDAKernelTemplateIN3c108BFloat16EfLj32ELj8ELj64ELb0ELb1ELb1EEEvllPKT_S7_PKT0_SA_PS5_SB_: ; @_ZN2at6native12_GLOBAL__N_135GammaBetaBackwardCUDAKernelTemplateIN3c108BFloat16EfLj32ELj8ELj64ELb0ELb1ELb1EEEvllPKT_S7_PKT0_SA_PS5_SB_
; %bb.0:
	s_load_dwordx4 s[4:7], s[0:1], 0x0
	s_lshl_b32 s14, s3, 6
	s_mov_b32 s15, 0
	v_bfe_u32 v12, v0, 10, 10
	s_waitcnt lgkmcnt(0)
	v_mov_b64_e32 v[2:3], s[4:5]
	v_cmp_lt_i64_e32 vcc, s[14:15], v[2:3]
	s_cbranch_vccnz .LBB202_2
; %bb.1:
	s_mov_b64 s[8:9], 0
	v_bfe_u32 v2, v0, 10, 10
	s_branch .LBB202_3
.LBB202_2:
	s_mov_b64 s[8:9], -1
                                        ; implicit-def: $vgpr2
.LBB202_3:
	s_load_dwordx2 s[12:13], s[0:1], 0x30
	v_and_b32_e32 v10, 0x3ff, v0
	s_andn2_b64 vcc, exec, s[8:9]
	v_mov_b32_e32 v1, s15
	v_mbcnt_lo_u32_b32 v11, -1, 0
	s_cbranch_vccnz .LBB202_11
; %bb.4:
	s_load_dword s3, s[0:1], 0x4c
	s_load_dword s16, s[0:1], 0x44
	s_load_dwordx2 s[18:19], s[0:1], 0x28
	s_load_dwordx4 s[8:11], s[0:1], 0x10
	v_lshlrev_b32_e32 v0, 3, v12
	s_waitcnt lgkmcnt(0)
	s_and_b32 s0, s3, 0xffff
	v_mad_u32_u24 v1, v12, s0, v10
	v_and_b32_e32 v2, 63, v1
	v_mov_b32_e32 v1, 0
	v_mov_b32_e32 v3, v1
	v_lshl_add_u64 v[8:9], v[0:1], 0, s[14:15]
	v_cmp_gt_u32_e64 s[0:1], 8, v2
	v_mbcnt_hi_u32_b32 v4, -1, v11
	s_lshl_b32 s16, s16, 6
	v_lshl_add_u64 v[2:3], v[8:9], 0, v[2:3]
	v_mul_lo_u32 v0, s7, v8
	v_mul_lo_u32 v21, s6, v9
	v_mad_u64_u32 v[8:9], s[20:21], s6, v8, 0
	v_lshl_add_u32 v6, s2, 5, v10
	v_mov_b32_e32 v7, v1
	v_lshlrev_b32_e32 v4, 2, v4
	s_mul_i32 s3, s7, s16
	s_mul_hi_u32 s20, s6, s16
	s_mov_b32 s17, 0
	v_and_b32_e32 v13, 0x100, v4
	v_add3_u32 v9, v9, v21, v0
	v_lshlrev_b64 v[6:7], 1, v[6:7]
	s_add_i32 s21, s20, s3
	s_mul_i32 s20, s6, s16
	v_or_b32_e32 v14, 4, v13
	v_or_b32_e32 v15, 8, v13
	;; [unrolled: 1-line block ×7, first 2 shown]
	v_lshl_add_u64 v[4:5], v[2:3], 2, s[18:19]
	s_lshl_b64 s[18:19], s[16:17], 2
	v_lshl_add_u64 v[6:7], v[8:9], 1, v[6:7]
	s_lshl_b64 s[20:21], s[20:21], 1
	s_lshl_b64 s[6:7], s[6:7], 1
	v_mov_b64_e32 v[8:9], s[4:5]
	s_branch .LBB202_7
.LBB202_5:                              ;   in Loop: Header=BB202_7 Depth=1
	s_or_b64 exec, exec, s[24:25]
.LBB202_6:                              ;   in Loop: Header=BB202_7 Depth=1
	s_or_b64 exec, exec, s[22:23]
	v_lshl_add_u64 v[22:23], s[8:9], 0, v[6:7]
	v_lshl_add_u64 v[24:25], s[10:11], 0, v[6:7]
	v_lshl_add_u64 v[26:27], v[22:23], 0, s[6:7]
	v_lshl_add_u64 v[28:29], v[24:25], 0, s[6:7]
	v_lshl_add_u64 v[30:31], v[26:27], 0, s[6:7]
	global_load_ushort v21, v[22:23], off
	global_load_ushort v34, v[24:25], off
	;; [unrolled: 1-line block ×4, first 2 shown]
	v_lshl_add_u64 v[32:33], v[28:29], 0, s[6:7]
	v_lshl_add_u64 v[22:23], v[30:31], 0, s[6:7]
	global_load_ushort v37, v[30:31], off
	global_load_ushort v38, v[32:33], off
	v_lshl_add_u64 v[24:25], v[32:33], 0, s[6:7]
	global_load_ushort v39, v[22:23], off
	global_load_ushort v40, v[24:25], off
	v_lshl_add_u64 v[22:23], v[22:23], 0, s[6:7]
	v_lshl_add_u64 v[24:25], v[24:25], 0, s[6:7]
	global_load_ushort v41, v[22:23], off
	global_load_ushort v42, v[24:25], off
	v_lshl_add_u64 v[22:23], v[22:23], 0, s[6:7]
	;; [unrolled: 4-line block ×4, first 2 shown]
	v_lshl_add_u64 v[24:25], v[24:25], 0, s[6:7]
	global_load_ushort v47, v[22:23], off
	global_load_ushort v48, v[24:25], off
	s_waitcnt vmcnt(16)
	ds_bpermute_b32 v22, v13, v0
	ds_bpermute_b32 v23, v14, v0
	ds_bpermute_b32 v24, v15, v0
	ds_bpermute_b32 v25, v16, v0
	ds_bpermute_b32 v26, v17, v0
	ds_bpermute_b32 v27, v18, v0
	ds_bpermute_b32 v28, v19, v0
	ds_bpermute_b32 v29, v20, v0
	s_add_u32 s14, s14, s16
	s_addc_u32 s15, s15, 0
	v_cmp_lt_i64_e32 vcc, s[14:15], v[8:9]
	v_lshl_add_u64 v[4:5], v[4:5], 0, s[18:19]
	v_lshl_add_u64 v[2:3], v[2:3], 0, s[16:17]
	;; [unrolled: 1-line block ×3, first 2 shown]
	s_and_b64 vcc, exec, vcc
	s_waitcnt vmcnt(15)
	v_lshlrev_b32_e32 v30, 16, v21
	s_waitcnt vmcnt(14)
	v_lshlrev_b32_e32 v32, 16, v34
	;; [unrolled: 2-line block ×4, first 2 shown]
	v_pk_mul_f32 v[30:31], v[30:31], v[32:33]
	s_waitcnt vmcnt(11)
	v_lshlrev_b32_e32 v32, 16, v37
	s_waitcnt vmcnt(10)
	v_lshlrev_b32_e32 v34, 16, v38
	s_waitcnt lgkmcnt(6)
	v_pk_mul_f32 v[22:23], v[30:31], v[22:23]
	s_waitcnt vmcnt(9)
	v_lshlrev_b32_e32 v33, 16, v39
	s_waitcnt vmcnt(8)
	v_lshlrev_b32_e32 v35, 16, v40
	v_add_f32_e32 v21, v1, v22
	v_pk_mul_f32 v[0:1], v[32:33], v[34:35]
	s_waitcnt vmcnt(7)
	v_lshlrev_b32_e32 v22, 16, v41
	s_waitcnt vmcnt(6)
	v_lshlrev_b32_e32 v30, 16, v42
	v_add_f32_e32 v21, v21, v23
	s_waitcnt lgkmcnt(4)
	v_pk_mul_f32 v[0:1], v[0:1], v[24:25]
	s_waitcnt vmcnt(5)
	v_lshlrev_b32_e32 v23, 16, v43
	s_waitcnt vmcnt(4)
	v_lshlrev_b32_e32 v31, 16, v44
	v_add_f32_e32 v21, v21, v0
	v_pk_mul_f32 v[22:23], v[22:23], v[30:31]
	s_waitcnt vmcnt(3)
	v_lshlrev_b32_e32 v0, 16, v45
	s_waitcnt vmcnt(2)
	v_lshlrev_b32_e32 v24, 16, v46
	v_add_f32_e32 v21, v21, v1
	s_waitcnt lgkmcnt(2)
	v_pk_mul_f32 v[22:23], v[22:23], v[26:27]
	s_waitcnt vmcnt(1)
	v_lshlrev_b32_e32 v1, 16, v47
	s_waitcnt vmcnt(0)
	v_lshlrev_b32_e32 v25, 16, v48
	v_add_f32_e32 v21, v21, v22
	v_pk_mul_f32 v[0:1], v[0:1], v[24:25]
	v_add_f32_e32 v21, v21, v23
	s_waitcnt lgkmcnt(0)
	v_pk_mul_f32 v[0:1], v[0:1], v[28:29]
	s_nop 0
	v_add_f32_e32 v0, v21, v0
	v_add_f32_e32 v1, v0, v1
	s_cbranch_vccz .LBB202_10
.LBB202_7:                              ; =>This Inner Loop Header: Depth=1
	v_mov_b32_e32 v0, 0
	s_and_saveexec_b64 s[22:23], s[0:1]
	s_cbranch_execz .LBB202_6
; %bb.8:                                ;   in Loop: Header=BB202_7 Depth=1
	v_cmp_gt_i64_e32 vcc, s[4:5], v[2:3]
	v_mov_b32_e32 v0, 0
	s_and_saveexec_b64 s[24:25], vcc
	s_cbranch_execz .LBB202_5
; %bb.9:                                ;   in Loop: Header=BB202_7 Depth=1
	global_load_dword v0, v[4:5], off
	s_branch .LBB202_5
.LBB202_10:
	v_mov_b32_e32 v2, v12
.LBB202_11:
	v_mad_u32_u24 v0, v2, 33, v10
	v_lshl_add_u32 v3, v0, 2, 0
	v_sub_u32_e32 v0, v0, v2
	s_movk_i32 s0, 0x800
	s_mov_b32 s3, 0
	ds_write_b32 v3, v1
	v_mov_b32_e32 v1, 0
	v_cmp_gt_u32_e32 vcc, s0, v0
	ds_write_b32 v3, v1 offset:1056
	s_waitcnt lgkmcnt(0)
	s_barrier
	s_and_saveexec_b64 s[0:1], vcc
	s_cbranch_execz .LBB202_18
; %bb.12:
	v_mbcnt_hi_u32_b32 v4, -1, v11
	v_and_b32_e32 v2, 64, v4
	s_cmp_lg_u64 s[12:13], 0
	v_add_u32_e32 v5, 64, v2
	v_cmp_eq_u32_e64 s[0:1], 0, v10
	s_cselect_b64 s[6:7], -1, 0
	v_xor_b32_e32 v2, 4, v4
	s_and_b64 s[6:7], s[0:1], s[6:7]
	v_cmp_lt_i32_e64 s[0:1], v2, v5
	v_xor_b32_e32 v3, 2, v4
	v_xor_b32_e32 v6, 1, v4
	v_cndmask_b32_e64 v2, v4, v2, s[0:1]
	v_cmp_lt_i32_e64 s[0:1], v3, v5
	v_lshrrev_b32_e32 v7, 6, v0
	v_and_b32_e32 v0, 63, v0
	v_cndmask_b32_e64 v3, v4, v3, s[0:1]
	v_cmp_lt_i32_e64 s[0:1], v6, v5
	v_cmp_gt_u32_e32 vcc, 8, v0
	v_mul_u32_u24_e32 v0, 0x84, v0
	v_cndmask_b32_e64 v4, v4, v6, s[0:1]
	s_lshl_b64 s[0:1], s[2:3], 6
	v_lshlrev_b32_e32 v5, 2, v7
	s_add_u32 s0, s12, s0
	v_add3_u32 v5, v0, v5, 0
	v_lshlrev_b32_e32 v0, 1, v7
	s_addc_u32 s1, s13, s1
	s_mov_b64 s[4:5], 0
	v_lshlrev_b32_e32 v2, 2, v2
	v_lshlrev_b32_e32 v3, 2, v3
	v_lshlrev_b32_e32 v4, 2, v4
	v_add_u32_e32 v6, -4, v7
	v_lshl_add_u64 v[0:1], s[0:1], 0, v[0:1]
	s_movk_i32 s8, 0x7fff
	v_mov_b32_e32 v7, 0x7fc0
                                        ; implicit-def: $vgpr8
	s_branch .LBB202_14
.LBB202_13:                             ;   in Loop: Header=BB202_14 Depth=1
	s_or_b64 exec, exec, s[2:3]
	v_add_u32_e32 v6, 4, v6
	v_cmp_lt_u32_e64 s[0:1], 27, v6
	v_add_u32_e32 v5, 16, v5
	s_or_b64 s[4:5], s[0:1], s[4:5]
	v_lshl_add_u64 v[0:1], v[0:1], 0, 8
	s_andn2_b64 exec, exec, s[4:5]
	s_cbranch_execz .LBB202_18
.LBB202_14:                             ; =>This Inner Loop Header: Depth=1
	s_and_saveexec_b64 s[0:1], vcc
	s_cbranch_execz .LBB202_16
; %bb.15:                               ;   in Loop: Header=BB202_14 Depth=1
	ds_read_b32 v8, v5
.LBB202_16:                             ;   in Loop: Header=BB202_14 Depth=1
	s_or_b64 exec, exec, s[0:1]
	s_waitcnt lgkmcnt(0)
	ds_bpermute_b32 v9, v2, v8
	s_waitcnt lgkmcnt(0)
	v_add_f32_e32 v8, v8, v9
	ds_bpermute_b32 v9, v3, v8
	s_waitcnt lgkmcnt(0)
	v_add_f32_e32 v8, v8, v9
	;; [unrolled: 3-line block ×3, first 2 shown]
	s_and_saveexec_b64 s[2:3], s[6:7]
	s_cbranch_execz .LBB202_13
; %bb.17:                               ;   in Loop: Header=BB202_14 Depth=1
	v_bfe_u32 v9, v8, 16, 1
	v_add3_u32 v9, v8, v9, s8
	v_lshrrev_b32_e32 v9, 16, v9
	v_cmp_o_f32_e64 s[0:1], v8, v8
	s_nop 1
	v_cndmask_b32_e64 v9, v7, v9, s[0:1]
	global_store_short v[0:1], v9, off
	s_branch .LBB202_13
.LBB202_18:
	s_endpgm
	.section	.rodata,"a",@progbits
	.p2align	6, 0x0
	.amdhsa_kernel _ZN2at6native12_GLOBAL__N_135GammaBetaBackwardCUDAKernelTemplateIN3c108BFloat16EfLj32ELj8ELj64ELb0ELb1ELb1EEEvllPKT_S7_PKT0_SA_PS5_SB_
		.amdhsa_group_segment_fixed_size 0
		.amdhsa_private_segment_fixed_size 0
		.amdhsa_kernarg_size 320
		.amdhsa_user_sgpr_count 2
		.amdhsa_user_sgpr_dispatch_ptr 0
		.amdhsa_user_sgpr_queue_ptr 0
		.amdhsa_user_sgpr_kernarg_segment_ptr 1
		.amdhsa_user_sgpr_dispatch_id 0
		.amdhsa_user_sgpr_kernarg_preload_length 0
		.amdhsa_user_sgpr_kernarg_preload_offset 0
		.amdhsa_user_sgpr_private_segment_size 0
		.amdhsa_uses_dynamic_stack 0
		.amdhsa_enable_private_segment 0
		.amdhsa_system_sgpr_workgroup_id_x 1
		.amdhsa_system_sgpr_workgroup_id_y 1
		.amdhsa_system_sgpr_workgroup_id_z 0
		.amdhsa_system_sgpr_workgroup_info 0
		.amdhsa_system_vgpr_workitem_id 1
		.amdhsa_next_free_vgpr 49
		.amdhsa_next_free_sgpr 26
		.amdhsa_accum_offset 52
		.amdhsa_reserve_vcc 1
		.amdhsa_float_round_mode_32 0
		.amdhsa_float_round_mode_16_64 0
		.amdhsa_float_denorm_mode_32 3
		.amdhsa_float_denorm_mode_16_64 3
		.amdhsa_dx10_clamp 1
		.amdhsa_ieee_mode 1
		.amdhsa_fp16_overflow 0
		.amdhsa_tg_split 0
		.amdhsa_exception_fp_ieee_invalid_op 0
		.amdhsa_exception_fp_denorm_src 0
		.amdhsa_exception_fp_ieee_div_zero 0
		.amdhsa_exception_fp_ieee_overflow 0
		.amdhsa_exception_fp_ieee_underflow 0
		.amdhsa_exception_fp_ieee_inexact 0
		.amdhsa_exception_int_div_zero 0
	.end_amdhsa_kernel
	.section	.text._ZN2at6native12_GLOBAL__N_135GammaBetaBackwardCUDAKernelTemplateIN3c108BFloat16EfLj32ELj8ELj64ELb0ELb1ELb1EEEvllPKT_S7_PKT0_SA_PS5_SB_,"axG",@progbits,_ZN2at6native12_GLOBAL__N_135GammaBetaBackwardCUDAKernelTemplateIN3c108BFloat16EfLj32ELj8ELj64ELb0ELb1ELb1EEEvllPKT_S7_PKT0_SA_PS5_SB_,comdat
.Lfunc_end202:
	.size	_ZN2at6native12_GLOBAL__N_135GammaBetaBackwardCUDAKernelTemplateIN3c108BFloat16EfLj32ELj8ELj64ELb0ELb1ELb1EEEvllPKT_S7_PKT0_SA_PS5_SB_, .Lfunc_end202-_ZN2at6native12_GLOBAL__N_135GammaBetaBackwardCUDAKernelTemplateIN3c108BFloat16EfLj32ELj8ELj64ELb0ELb1ELb1EEEvllPKT_S7_PKT0_SA_PS5_SB_
                                        ; -- End function
	.section	.AMDGPU.csdata,"",@progbits
; Kernel info:
; codeLenInByte = 1444
; NumSgprs: 32
; NumVgprs: 49
; NumAgprs: 0
; TotalNumVgprs: 49
; ScratchSize: 0
; MemoryBound: 0
; FloatMode: 240
; IeeeMode: 1
; LDSByteSize: 0 bytes/workgroup (compile time only)
; SGPRBlocks: 3
; VGPRBlocks: 6
; NumSGPRsForWavesPerEU: 32
; NumVGPRsForWavesPerEU: 49
; AccumOffset: 52
; Occupancy: 8
; WaveLimiterHint : 0
; COMPUTE_PGM_RSRC2:SCRATCH_EN: 0
; COMPUTE_PGM_RSRC2:USER_SGPR: 2
; COMPUTE_PGM_RSRC2:TRAP_HANDLER: 0
; COMPUTE_PGM_RSRC2:TGID_X_EN: 1
; COMPUTE_PGM_RSRC2:TGID_Y_EN: 1
; COMPUTE_PGM_RSRC2:TGID_Z_EN: 0
; COMPUTE_PGM_RSRC2:TIDIG_COMP_CNT: 1
; COMPUTE_PGM_RSRC3_GFX90A:ACCUM_OFFSET: 12
; COMPUTE_PGM_RSRC3_GFX90A:TG_SPLIT: 0
	.section	.text._ZN2at6native12_GLOBAL__N_135GammaBetaBackwardCUDAKernelTemplateIN3c108BFloat16EfLj32ELj8ELj64ELb0ELb0ELb1EEEvllPKT_S7_PKT0_SA_PS5_SB_,"axG",@progbits,_ZN2at6native12_GLOBAL__N_135GammaBetaBackwardCUDAKernelTemplateIN3c108BFloat16EfLj32ELj8ELj64ELb0ELb0ELb1EEEvllPKT_S7_PKT0_SA_PS5_SB_,comdat
	.globl	_ZN2at6native12_GLOBAL__N_135GammaBetaBackwardCUDAKernelTemplateIN3c108BFloat16EfLj32ELj8ELj64ELb0ELb0ELb1EEEvllPKT_S7_PKT0_SA_PS5_SB_ ; -- Begin function _ZN2at6native12_GLOBAL__N_135GammaBetaBackwardCUDAKernelTemplateIN3c108BFloat16EfLj32ELj8ELj64ELb0ELb0ELb1EEEvllPKT_S7_PKT0_SA_PS5_SB_
	.p2align	8
	.type	_ZN2at6native12_GLOBAL__N_135GammaBetaBackwardCUDAKernelTemplateIN3c108BFloat16EfLj32ELj8ELj64ELb0ELb0ELb1EEEvllPKT_S7_PKT0_SA_PS5_SB_,@function
_ZN2at6native12_GLOBAL__N_135GammaBetaBackwardCUDAKernelTemplateIN3c108BFloat16EfLj32ELj8ELj64ELb0ELb0ELb1EEEvllPKT_S7_PKT0_SA_PS5_SB_: ; @_ZN2at6native12_GLOBAL__N_135GammaBetaBackwardCUDAKernelTemplateIN3c108BFloat16EfLj32ELj8ELj64ELb0ELb0ELb1EEEvllPKT_S7_PKT0_SA_PS5_SB_
; %bb.0:
	s_load_dwordx8 s[8:15], s[0:1], 0x0
	s_load_dwordx2 s[24:25], s[0:1], 0x28
	s_lshl_b32 s33, s2, 5
	s_or_b32 s26, s33, 31
	s_mov_b32 s27, 0
	s_waitcnt lgkmcnt(0)
	v_mov_b64_e32 v[2:3], s[10:11]
	v_cmp_ge_i64_e32 vcc, s[26:27], v[2:3]
	s_lshl_b32 s26, s3, 6
	v_mov_b64_e32 v[2:3], s[8:9]
	v_cmp_lt_i64_e64 s[4:5], s[26:27], v[2:3]
	s_nop 1
	v_cndmask_b32_e64 v1, 0, 1, s[4:5]
	v_cmp_ne_u32_e64 s[4:5], 1, v1
	s_cbranch_vccz .LBB203_49
; %bb.1:
	s_and_b64 vcc, exec, s[4:5]
	v_mov_b32_e32 v2, 0
	s_cbranch_vccnz .LBB203_50
; %bb.2:
	v_mov_b32_e32 v3, 0
	v_bfe_u32 v64, v0, 10, 10
	s_load_dword s3, s[0:1], 0x44
	v_lshlrev_b32_e32 v26, 3, v64
	v_mov_b32_e32 v27, v3
	v_and_b32_e32 v1, 0x3ff, v0
	v_lshl_add_u64 v[4:5], v[26:27], 0, s[26:27]
	v_add_u32_e32 v2, s33, v1
	v_lshl_add_u64 v[6:7], v[4:5], 0, 7
	s_add_u32 s28, s0, 64
	v_cmp_gt_i64_e64 s[6:7], s[10:11], v[2:3]
	v_lshlrev_b64 v[28:29], 1, v[2:3]
	v_mul_lo_u32 v2, s11, v6
	v_mul_lo_u32 v8, s10, v7
	v_mad_u64_u32 v[6:7], s[18:19], s10, v6, 0
	s_addc_u32 s29, s1, 0
	s_waitcnt lgkmcnt(0)
	s_lshl_b32 s3, s3, 6
	v_add3_u32 v7, v7, v8, v2
	v_lshlrev_b64 v[6:7], 1, v[6:7]
	s_mul_i32 s17, s11, s3
	s_mul_hi_u32 s18, s10, s3
	v_lshl_add_u64 v[30:31], s[12:13], 0, v[6:7]
	s_add_i32 s19, s18, s17
	s_mul_i32 s18, s10, s3
	v_lshl_add_u64 v[32:33], s[14:15], 0, v[6:7]
	v_lshl_add_u64 v[6:7], v[4:5], 0, 6
	s_lshl_b64 s[30:31], s[18:19], 1
	v_mul_lo_u32 v2, s11, v6
	v_mul_lo_u32 v8, s10, v7
	v_mad_u64_u32 v[6:7], s[18:19], s10, v6, 0
	v_add3_u32 v7, v7, v8, v2
	v_lshlrev_b64 v[6:7], 1, v[6:7]
	v_lshl_add_u64 v[34:35], s[12:13], 0, v[6:7]
	v_lshl_add_u64 v[36:37], s[14:15], 0, v[6:7]
	v_lshl_add_u64 v[6:7], v[4:5], 0, 5
	v_mul_lo_u32 v2, s11, v6
	v_mul_lo_u32 v8, s10, v7
	v_mad_u64_u32 v[6:7], s[18:19], s10, v6, 0
	v_add3_u32 v7, v7, v8, v2
	v_lshlrev_b64 v[6:7], 1, v[6:7]
	v_lshl_add_u64 v[38:39], s[12:13], 0, v[6:7]
	v_lshl_add_u64 v[40:41], s[14:15], 0, v[6:7]
	v_lshl_add_u64 v[6:7], v[4:5], 0, 4
	;; [unrolled: 8-line block ×4, first 2 shown]
	v_mul_lo_u32 v2, s11, v6
	v_mul_lo_u32 v8, s10, v7
	v_mad_u64_u32 v[6:7], s[18:19], s10, v6, 0
	v_add3_u32 v7, v7, v8, v2
	v_lshlrev_b64 v[6:7], 1, v[6:7]
	v_lshl_add_u64 v[50:51], s[12:13], 0, v[6:7]
	v_lshl_add_u64 v[52:53], s[14:15], 0, v[6:7]
	v_mov_b64_e32 v[6:7], s[10:11]
	v_mad_u64_u32 v[6:7], s[18:19], s10, v4, v[6:7]
	v_mul_lo_u32 v2, s10, v5
	v_mul_lo_u32 v8, s11, v4
	v_mad_u64_u32 v[4:5], s[18:19], s10, v4, 0
	v_add3_u32 v7, v8, v7, v2
	v_add3_u32 v5, v5, v2, v8
	v_mbcnt_lo_u32_b32 v2, -1, 0
	v_mbcnt_hi_u32_b32 v2, -1, v2
	v_lshlrev_b64 v[6:7], 1, v[6:7]
	s_add_u32 s34, s26, 63
	v_lshlrev_b64 v[4:5], 1, v[4:5]
	s_movk_i32 s36, 0xffc1
	s_movk_i32 s38, 0xffc2
	;; [unrolled: 1-line block ×8, first 2 shown]
	v_lshlrev_b32_e32 v2, 2, v2
	s_mov_b32 s16, 0
	v_lshl_add_u64 v[54:55], s[12:13], 0, v[6:7]
	v_lshl_add_u64 v[56:57], s[14:15], 0, v[6:7]
	s_addc_u32 s35, 0, 0
	v_lshl_add_u64 v[58:59], s[12:13], 0, v[4:5]
	v_lshl_add_u64 v[60:61], s[14:15], 0, v[4:5]
	s_mov_b32 s37, -1
	s_mov_b32 s39, -1
	s_mov_b32 s41, -1
	s_mov_b32 s43, -1
	s_mov_b32 s45, -1
	s_mov_b32 s47, -1
	s_mov_b32 s49, -1
	s_mov_b32 s51, -1
	v_and_b32_e32 v65, 0x100, v2
	s_mov_b64 s[52:53], s[26:27]
	v_mov_b32_e32 v66, 0
.LBB203_3:                              ; =>This Inner Loop Header: Depth=1
	v_mov_b64_e32 v[4:5], s[8:9]
	v_cmp_ge_i64_e32 vcc, s[34:35], v[4:5]
	v_lshl_add_u64 v[62:63], v[26:27], 0, s[34:35]
	s_cbranch_vccz .LBB203_25
; %bb.4:                                ;   in Loop: Header=BB203_3 Depth=1
	s_load_dword s17, s[28:29], 0xc
	v_mov_b32_e32 v67, 0
	s_waitcnt lgkmcnt(0)
	s_and_b32 s17, s17, 0xffff
	v_mad_u32_u24 v2, v64, s17, v1
	v_and_b32_e32 v2, 63, v2
	v_cmp_gt_u32_e32 vcc, 8, v2
	s_and_saveexec_b64 s[18:19], vcc
	s_cbranch_execz .LBB203_8
; %bb.5:                                ;   in Loop: Header=BB203_3 Depth=1
	v_lshl_add_u64 v[4:5], v[62:63], 0, v[2:3]
	v_lshl_add_u64 v[4:5], v[4:5], 0, s[36:37]
	v_cmp_gt_i64_e32 vcc, s[8:9], v[4:5]
	v_mov_b32_e32 v67, 0
	s_and_saveexec_b64 s[20:21], vcc
	s_cbranch_execz .LBB203_7
; %bb.6:                                ;   in Loop: Header=BB203_3 Depth=1
	v_lshl_add_u64 v[4:5], v[4:5], 2, s[24:25]
	global_load_dword v67, v[4:5], off
.LBB203_7:                              ;   in Loop: Header=BB203_3 Depth=1
	s_or_b64 exec, exec, s[20:21]
.LBB203_8:                              ;   in Loop: Header=BB203_3 Depth=1
	s_or_b64 exec, exec, s[18:19]
	s_mov_b32 s17, s16
	s_mov_b32 s18, s16
	s_mov_b32 s19, s16
	s_mov_b32 s20, s16
	s_mov_b32 s21, s16
	s_mov_b32 s22, s16
	s_mov_b32 s23, s16
	v_mov_b64_e32 v[10:11], s[16:17]
	v_lshl_add_u64 v[4:5], v[62:63], 0, s[36:37]
	v_mov_b64_e32 v[16:17], s[22:23]
	v_cmp_gt_i64_e32 vcc, s[8:9], v[4:5]
	v_mov_b64_e32 v[12:13], s[18:19]
	v_mov_b64_e32 v[14:15], s[20:21]
	;; [unrolled: 1-line block ×3, first 2 shown]
	s_and_b64 s[54:55], s[6:7], vcc
	v_mov_b64_e32 v[22:23], v[14:15]
	v_mov_b64_e32 v[20:21], v[12:13]
	;; [unrolled: 1-line block ×3, first 2 shown]
	s_and_saveexec_b64 s[18:19], s[54:55]
	s_cbranch_execz .LBB203_10
; %bb.9:                                ;   in Loop: Header=BB203_3 Depth=1
	v_lshl_add_u64 v[4:5], v[58:59], 0, v[28:29]
	global_load_ushort v2, v[4:5], off
	v_lshl_add_u64 v[4:5], v[60:61], 0, v[28:29]
	global_load_ushort v10, v[4:5], off
	v_mov_b32_e32 v8, v3
	v_mov_b32_e32 v9, v3
	;; [unrolled: 1-line block ×13, first 2 shown]
	s_waitcnt vmcnt(1)
	v_lshlrev_b32_e32 v2, 16, v2
	v_mov_b64_e32 v[24:25], v[8:9]
	s_waitcnt vmcnt(0)
	v_lshlrev_b32_e32 v10, 16, v10
	v_mov_b64_e32 v[22:23], v[6:7]
	v_mov_b64_e32 v[20:21], v[4:5]
	;; [unrolled: 1-line block ×3, first 2 shown]
.LBB203_10:                             ;   in Loop: Header=BB203_3 Depth=1
	s_or_b64 exec, exec, s[18:19]
	v_lshl_add_u64 v[4:5], v[62:63], 0, s[38:39]
	v_cmp_gt_i64_e32 vcc, s[8:9], v[4:5]
	s_and_b64 s[20:21], s[6:7], vcc
	s_and_saveexec_b64 s[18:19], s[20:21]
	s_cbranch_execz .LBB203_12
; %bb.11:                               ;   in Loop: Header=BB203_3 Depth=1
	v_lshl_add_u64 v[4:5], v[54:55], 0, v[28:29]
	global_load_ushort v2, v[4:5], off
	v_lshl_add_u64 v[4:5], v[56:57], 0, v[28:29]
	global_load_ushort v4, v[4:5], off
	s_waitcnt vmcnt(1)
	v_lshlrev_b32_e32 v19, 16, v2
	s_waitcnt vmcnt(0)
	v_lshlrev_b32_e32 v11, 16, v4
.LBB203_12:                             ;   in Loop: Header=BB203_3 Depth=1
	s_or_b64 exec, exec, s[18:19]
	v_lshl_add_u64 v[4:5], v[62:63], 0, s[40:41]
	v_cmp_gt_i64_e32 vcc, s[8:9], v[4:5]
	s_and_b64 s[20:21], s[6:7], vcc
	s_and_saveexec_b64 s[18:19], s[20:21]
	s_cbranch_execz .LBB203_14
; %bb.13:                               ;   in Loop: Header=BB203_3 Depth=1
	v_lshl_add_u64 v[4:5], v[50:51], 0, v[28:29]
	global_load_ushort v2, v[4:5], off
	v_lshl_add_u64 v[4:5], v[52:53], 0, v[28:29]
	global_load_ushort v4, v[4:5], off
	s_waitcnt vmcnt(1)
	v_lshlrev_b32_e32 v20, 16, v2
	s_waitcnt vmcnt(0)
	v_lshlrev_b32_e32 v12, 16, v4
.LBB203_14:                             ;   in Loop: Header=BB203_3 Depth=1
	;; [unrolled: 16-line block ×7, first 2 shown]
	s_or_b64 exec, exec, s[18:19]
	s_waitcnt vmcnt(0)
	ds_bpermute_b32 v4, v65, v67 offset:4
	ds_bpermute_b32 v5, v65, v67 offset:8
	ds_bpermute_b32 v2, v65, v67
	v_mul_f32_e32 v8, v10, v18
	v_pk_mul_f32 v[10:11], v[10:11], v[18:19]
	v_pk_mul_f32 v[12:13], v[12:13], v[20:21]
	v_mov_b32_e32 v10, v11
	v_mov_b32_e32 v11, v12
	s_waitcnt lgkmcnt(1)
	v_pk_mul_f32 v[4:5], v[10:11], v[4:5]
	ds_bpermute_b32 v10, v65, v67 offset:12
	ds_bpermute_b32 v11, v65, v67 offset:16
	s_waitcnt lgkmcnt(2)
	v_fma_f32 v2, v8, v2, v66
	v_pk_mul_f32 v[8:9], v[14:15], v[22:23]
	v_add_f32_e32 v2, v2, v4
	v_add_f32_e32 v2, v2, v5
	v_mov_b32_e32 v4, v13
	v_mov_b32_e32 v5, v8
	s_waitcnt lgkmcnt(0)
	v_pk_mul_f32 v[4:5], v[4:5], v[10:11]
	ds_bpermute_b32 v10, v65, v67 offset:20
	ds_bpermute_b32 v11, v65, v67 offset:24
	v_pk_mul_f32 v[6:7], v[16:17], v[24:25]
	v_add_f32_e32 v2, v2, v4
	ds_bpermute_b32 v4, v65, v67 offset:28
	v_mov_b32_e32 v8, v9
	v_mov_b32_e32 v9, v6
	v_add_f32_e32 v2, v2, v5
	s_waitcnt lgkmcnt(1)
	v_pk_mul_f32 v[6:7], v[8:9], v[10:11]
	s_nop 0
	v_add_f32_e32 v2, v2, v6
	v_add_f32_e32 v2, v2, v7
	s_branch .LBB203_40
.LBB203_25:                             ;   in Loop: Header=BB203_3 Depth=1
                                        ; implicit-def: $vgpr2
                                        ; implicit-def: $vgpr10_vgpr11_vgpr12_vgpr13_vgpr14_vgpr15_vgpr16_vgpr17
                                        ; implicit-def: $vgpr18_vgpr19_vgpr20_vgpr21_vgpr22_vgpr23_vgpr24_vgpr25
                                        ; implicit-def: $vgpr4
	s_cbranch_execz .LBB203_40
; %bb.26:                               ;   in Loop: Header=BB203_3 Depth=1
	s_load_dword s17, s[28:29], 0x0
	v_mov_b32_e32 v67, 0
	s_waitcnt lgkmcnt(0)
	s_cmp_lt_u32 s2, s17
	s_cselect_b32 s17, 12, 18
	s_add_u32 s18, s28, s17
	s_addc_u32 s19, s29, 0
	global_load_ushort v2, v3, s[18:19]
	s_waitcnt vmcnt(0)
	v_mad_u32_u24 v2, v64, v2, v1
	v_and_b32_e32 v2, 63, v2
	v_cmp_gt_u32_e32 vcc, 8, v2
	s_and_saveexec_b64 s[18:19], vcc
	s_cbranch_execz .LBB203_30
; %bb.27:                               ;   in Loop: Header=BB203_3 Depth=1
	v_lshl_add_u64 v[4:5], v[62:63], 0, v[2:3]
	v_lshl_add_u64 v[4:5], v[4:5], 0, s[36:37]
	v_cmp_gt_i64_e32 vcc, s[8:9], v[4:5]
	v_mov_b32_e32 v67, 0
	s_and_saveexec_b64 s[20:21], vcc
	s_cbranch_execz .LBB203_29
; %bb.28:                               ;   in Loop: Header=BB203_3 Depth=1
	v_lshl_add_u64 v[4:5], v[4:5], 2, s[24:25]
	global_load_dword v67, v[4:5], off
.LBB203_29:                             ;   in Loop: Header=BB203_3 Depth=1
	s_or_b64 exec, exec, s[20:21]
.LBB203_30:                             ;   in Loop: Header=BB203_3 Depth=1
	s_or_b64 exec, exec, s[18:19]
	s_mov_b32 s17, s16
	s_mov_b32 s18, s16
	;; [unrolled: 1-line block ×7, first 2 shown]
	v_mov_b64_e32 v[10:11], s[16:17]
	v_mov_b64_e32 v[16:17], s[22:23]
	;; [unrolled: 1-line block ×8, first 2 shown]
	s_and_saveexec_b64 s[18:19], s[6:7]
	s_cbranch_execnz .LBB203_42
; %bb.31:                               ;   in Loop: Header=BB203_3 Depth=1
	s_or_b64 exec, exec, s[18:19]
	s_and_saveexec_b64 s[18:19], s[6:7]
	s_cbranch_execnz .LBB203_43
.LBB203_32:                             ;   in Loop: Header=BB203_3 Depth=1
	s_or_b64 exec, exec, s[18:19]
	s_and_saveexec_b64 s[18:19], s[6:7]
	s_cbranch_execnz .LBB203_44
.LBB203_33:                             ;   in Loop: Header=BB203_3 Depth=1
	s_or_b64 exec, exec, s[18:19]
	s_and_saveexec_b64 s[18:19], s[6:7]
	s_cbranch_execnz .LBB203_45
.LBB203_34:                             ;   in Loop: Header=BB203_3 Depth=1
	s_or_b64 exec, exec, s[18:19]
	s_and_saveexec_b64 s[18:19], s[6:7]
	s_cbranch_execnz .LBB203_46
.LBB203_35:                             ;   in Loop: Header=BB203_3 Depth=1
	s_or_b64 exec, exec, s[18:19]
	s_and_saveexec_b64 s[18:19], s[6:7]
	s_cbranch_execnz .LBB203_47
.LBB203_36:                             ;   in Loop: Header=BB203_3 Depth=1
	s_or_b64 exec, exec, s[18:19]
	s_and_saveexec_b64 s[18:19], s[6:7]
	s_cbranch_execnz .LBB203_48
.LBB203_37:                             ;   in Loop: Header=BB203_3 Depth=1
	s_or_b64 exec, exec, s[18:19]
	s_and_saveexec_b64 s[18:19], s[6:7]
	s_cbranch_execz .LBB203_39
.LBB203_38:                             ;   in Loop: Header=BB203_3 Depth=1
	v_lshl_add_u64 v[4:5], v[30:31], 0, v[28:29]
	global_load_ushort v2, v[4:5], off
	v_lshl_add_u64 v[4:5], v[32:33], 0, v[28:29]
	global_load_ushort v4, v[4:5], off
	s_waitcnt vmcnt(1)
	v_lshlrev_b32_e32 v25, 16, v2
	s_waitcnt vmcnt(0)
	v_lshlrev_b32_e32 v17, 16, v4
.LBB203_39:                             ;   in Loop: Header=BB203_3 Depth=1
	s_or_b64 exec, exec, s[18:19]
	s_waitcnt vmcnt(0)
	ds_bpermute_b32 v4, v65, v67 offset:4
	ds_bpermute_b32 v5, v65, v67 offset:8
	ds_bpermute_b32 v2, v65, v67
	v_mul_f32_e32 v8, v10, v18
	v_pk_mul_f32 v[10:11], v[10:11], v[18:19]
	v_pk_mul_f32 v[12:13], v[12:13], v[20:21]
	v_mov_b32_e32 v10, v11
	v_mov_b32_e32 v11, v12
	s_waitcnt lgkmcnt(1)
	v_pk_mul_f32 v[4:5], v[10:11], v[4:5]
	ds_bpermute_b32 v10, v65, v67 offset:12
	ds_bpermute_b32 v11, v65, v67 offset:16
	s_waitcnt lgkmcnt(2)
	v_fmac_f32_e32 v66, v8, v2
	v_pk_mul_f32 v[8:9], v[14:15], v[22:23]
	v_add_f32_e32 v2, v66, v4
	v_add_f32_e32 v2, v2, v5
	v_mov_b32_e32 v4, v13
	v_mov_b32_e32 v5, v8
	s_waitcnt lgkmcnt(0)
	v_pk_mul_f32 v[4:5], v[4:5], v[10:11]
	ds_bpermute_b32 v10, v65, v67 offset:20
	ds_bpermute_b32 v11, v65, v67 offset:24
	v_pk_mul_f32 v[6:7], v[16:17], v[24:25]
	v_add_f32_e32 v2, v2, v4
	v_mov_b32_e32 v8, v9
	v_mov_b32_e32 v9, v6
	v_add_f32_e32 v2, v2, v5
	s_waitcnt lgkmcnt(0)
	v_pk_mul_f32 v[6:7], v[8:9], v[10:11]
	ds_bpermute_b32 v4, v65, v67 offset:28
	v_add_f32_e32 v2, v2, v6
	v_add_f32_e32 v2, v2, v7
.LBB203_40:                             ;   in Loop: Header=BB203_3 Depth=1
	v_mul_f32_e32 v5, v25, v17
	s_add_u32 s52, s52, s3
	s_waitcnt lgkmcnt(0)
	v_fmac_f32_e32 v2, v5, v4
	s_addc_u32 s53, s53, 0
	v_mov_b64_e32 v[4:5], s[8:9]
	s_add_u32 s34, s34, s3
	v_cmp_lt_i64_e32 vcc, s[52:53], v[4:5]
	v_lshl_add_u64 v[30:31], v[30:31], 0, s[30:31]
	v_lshl_add_u64 v[32:33], v[32:33], 0, s[30:31]
	;; [unrolled: 1-line block ×14, first 2 shown]
	s_addc_u32 s35, s35, 0
	v_lshl_add_u64 v[58:59], v[58:59], 0, s[30:31]
	v_lshl_add_u64 v[60:61], v[60:61], 0, s[30:31]
	s_cbranch_vccz .LBB203_50
; %bb.41:                               ;   in Loop: Header=BB203_3 Depth=1
	v_mov_b32_e32 v66, v2
	s_branch .LBB203_3
.LBB203_42:                             ;   in Loop: Header=BB203_3 Depth=1
	v_lshl_add_u64 v[4:5], v[58:59], 0, v[28:29]
	global_load_ushort v2, v[4:5], off
	v_lshl_add_u64 v[4:5], v[60:61], 0, v[28:29]
	global_load_ushort v10, v[4:5], off
	v_mov_b32_e32 v8, v3
	v_mov_b32_e32 v9, v3
	;; [unrolled: 1-line block ×13, first 2 shown]
	s_waitcnt vmcnt(1)
	v_lshlrev_b32_e32 v2, 16, v2
	v_mov_b64_e32 v[24:25], v[8:9]
	s_waitcnt vmcnt(0)
	v_lshlrev_b32_e32 v10, 16, v10
	v_mov_b64_e32 v[22:23], v[6:7]
	v_mov_b64_e32 v[20:21], v[4:5]
	;; [unrolled: 1-line block ×3, first 2 shown]
	s_or_b64 exec, exec, s[18:19]
	s_and_saveexec_b64 s[18:19], s[6:7]
	s_cbranch_execz .LBB203_32
.LBB203_43:                             ;   in Loop: Header=BB203_3 Depth=1
	v_lshl_add_u64 v[4:5], v[54:55], 0, v[28:29]
	global_load_ushort v2, v[4:5], off
	v_lshl_add_u64 v[4:5], v[56:57], 0, v[28:29]
	global_load_ushort v4, v[4:5], off
	s_waitcnt vmcnt(1)
	v_lshlrev_b32_e32 v19, 16, v2
	s_waitcnt vmcnt(0)
	v_lshlrev_b32_e32 v11, 16, v4
	s_or_b64 exec, exec, s[18:19]
	s_and_saveexec_b64 s[18:19], s[6:7]
	s_cbranch_execz .LBB203_33
.LBB203_44:                             ;   in Loop: Header=BB203_3 Depth=1
	v_lshl_add_u64 v[4:5], v[50:51], 0, v[28:29]
	global_load_ushort v2, v[4:5], off
	v_lshl_add_u64 v[4:5], v[52:53], 0, v[28:29]
	global_load_ushort v4, v[4:5], off
	s_waitcnt vmcnt(1)
	v_lshlrev_b32_e32 v20, 16, v2
	s_waitcnt vmcnt(0)
	v_lshlrev_b32_e32 v12, 16, v4
	s_or_b64 exec, exec, s[18:19]
	s_and_saveexec_b64 s[18:19], s[6:7]
	s_cbranch_execz .LBB203_34
.LBB203_45:                             ;   in Loop: Header=BB203_3 Depth=1
	v_lshl_add_u64 v[4:5], v[46:47], 0, v[28:29]
	global_load_ushort v2, v[4:5], off
	v_lshl_add_u64 v[4:5], v[48:49], 0, v[28:29]
	global_load_ushort v4, v[4:5], off
	s_waitcnt vmcnt(1)
	v_lshlrev_b32_e32 v21, 16, v2
	s_waitcnt vmcnt(0)
	v_lshlrev_b32_e32 v13, 16, v4
	s_or_b64 exec, exec, s[18:19]
	s_and_saveexec_b64 s[18:19], s[6:7]
	s_cbranch_execz .LBB203_35
.LBB203_46:                             ;   in Loop: Header=BB203_3 Depth=1
	v_lshl_add_u64 v[4:5], v[42:43], 0, v[28:29]
	global_load_ushort v2, v[4:5], off
	v_lshl_add_u64 v[4:5], v[44:45], 0, v[28:29]
	global_load_ushort v4, v[4:5], off
	s_waitcnt vmcnt(1)
	v_lshlrev_b32_e32 v22, 16, v2
	s_waitcnt vmcnt(0)
	v_lshlrev_b32_e32 v14, 16, v4
	s_or_b64 exec, exec, s[18:19]
	s_and_saveexec_b64 s[18:19], s[6:7]
	s_cbranch_execz .LBB203_36
.LBB203_47:                             ;   in Loop: Header=BB203_3 Depth=1
	v_lshl_add_u64 v[4:5], v[38:39], 0, v[28:29]
	global_load_ushort v2, v[4:5], off
	v_lshl_add_u64 v[4:5], v[40:41], 0, v[28:29]
	global_load_ushort v4, v[4:5], off
	s_waitcnt vmcnt(1)
	v_lshlrev_b32_e32 v23, 16, v2
	s_waitcnt vmcnt(0)
	v_lshlrev_b32_e32 v15, 16, v4
	s_or_b64 exec, exec, s[18:19]
	s_and_saveexec_b64 s[18:19], s[6:7]
	s_cbranch_execz .LBB203_37
.LBB203_48:                             ;   in Loop: Header=BB203_3 Depth=1
	v_lshl_add_u64 v[4:5], v[34:35], 0, v[28:29]
	global_load_ushort v2, v[4:5], off
	v_lshl_add_u64 v[4:5], v[36:37], 0, v[28:29]
	global_load_ushort v4, v[4:5], off
	s_waitcnt vmcnt(1)
	v_lshlrev_b32_e32 v24, 16, v2
	s_waitcnt vmcnt(0)
	v_lshlrev_b32_e32 v16, 16, v4
	s_or_b64 exec, exec, s[18:19]
	s_and_saveexec_b64 s[18:19], s[6:7]
	s_cbranch_execnz .LBB203_38
	s_branch .LBB203_39
.LBB203_49:
                                        ; implicit-def: $vgpr2
	s_branch .LBB203_51
.LBB203_50:
	s_cbranch_execnz .LBB203_83
.LBB203_51:
	s_and_b64 vcc, exec, s[4:5]
	v_mov_b32_e32 v2, 0
	s_cbranch_vccnz .LBB203_83
; %bb.52:
	v_and_b32_e32 v1, 0x3ff, v0
	v_add_u32_e32 v2, s33, v1
	v_mov_b32_e32 v3, 0
	v_bfe_u32 v92, v0, 10, 10
	v_lshlrev_b64 v[28:29], 1, v[2:3]
	v_lshlrev_b32_e32 v2, 4, v92
	v_lshl_add_u64 v[4:5], s[26:27], 1, v[2:3]
	v_lshl_add_u64 v[6:7], v[4:5], 0, 2
	v_mov_b64_e32 v[8:9], s[12:13]
	v_lshl_add_u64 v[10:11], v[4:5], 0, 4
	v_lshl_add_u64 v[12:13], v[4:5], 0, 6
	;; [unrolled: 1-line block ×6, first 2 shown]
	v_mad_u64_u32 v[30:31], s[4:5], s10, v6, v[8:9]
	v_mad_u64_u32 v[32:33], s[4:5], s10, v10, v[8:9]
	;; [unrolled: 1-line block ×7, first 2 shown]
	v_mov_b64_e32 v[8:9], s[14:15]
	v_lshlrev_b32_e32 v26, 3, v92
	v_mov_b32_e32 v27, v3
	v_mul_lo_u32 v2, s10, v7
	v_mul_lo_u32 v7, s11, v6
	v_mad_u64_u32 v[44:45], s[4:5], s10, v6, v[8:9]
	v_add3_u32 v31, v7, v31, v2
	v_mul_lo_u32 v5, s10, v5
	v_mul_lo_u32 v25, s11, v4
	v_add3_u32 v45, v7, v45, v2
	v_lshl_add_u64 v[6:7], v[26:27], 0, s[26:27]
	v_mad_u64_u32 v[56:57], s[4:5], s10, v4, v[8:9]
	v_add3_u32 v43, v25, v43, v5
	v_add3_u32 v57, v25, v57, v5
	v_lshl_add_u64 v[4:5], v[6:7], 0, 7
	v_mad_u64_u32 v[46:47], s[4:5], s10, v10, v[8:9]
	v_mad_u64_u32 v[48:49], s[4:5], s10, v12, v[8:9]
	;; [unrolled: 1-line block ×5, first 2 shown]
	v_mul_lo_u32 v8, s11, v4
	v_mul_lo_u32 v9, s10, v5
	v_mad_u64_u32 v[4:5], s[4:5], s10, v4, 0
	v_mul_lo_u32 v11, s10, v11
	v_mul_lo_u32 v20, s11, v10
	v_add3_u32 v5, v5, v9, v8
	v_lshl_add_u64 v[8:9], v[6:7], 0, 6
	v_add3_u32 v33, v20, v33, v11
	v_add3_u32 v47, v20, v47, v11
	v_mul_lo_u32 v10, s11, v8
	v_mul_lo_u32 v11, s10, v9
	v_mad_u64_u32 v[8:9], s[4:5], s10, v8, 0
	v_mul_lo_u32 v13, s10, v13
	v_mul_lo_u32 v21, s11, v12
	v_add3_u32 v9, v9, v11, v10
	v_lshl_add_u64 v[10:11], v[6:7], 0, 5
	v_add3_u32 v35, v21, v35, v13
	v_add3_u32 v49, v21, v49, v13
	;; [unrolled: 9-line block ×4, first 2 shown]
	v_mul_lo_u32 v16, s11, v14
	v_mul_lo_u32 v17, s10, v15
	v_mad_u64_u32 v[14:15], s[4:5], s10, v14, 0
	v_mul_lo_u32 v19, s10, v19
	v_mul_lo_u32 v24, s11, v18
	v_add3_u32 v15, v15, v17, v16
	v_lshl_add_u64 v[16:17], v[6:7], 0, 2
	s_load_dword s3, s[0:1], 0x44
	v_lshlrev_b64 v[4:5], 1, v[4:5]
	v_add3_u32 v41, v24, v41, v19
	v_add3_u32 v55, v24, v55, v19
	v_mul_lo_u32 v18, s11, v16
	v_mul_lo_u32 v19, s10, v17
	v_mad_u64_u32 v[16:17], s[4:5], s10, v16, 0
	v_lshl_add_u64 v[62:63], s[12:13], 0, v[4:5]
	v_lshl_add_u64 v[64:65], s[14:15], 0, v[4:5]
	v_lshlrev_b64 v[4:5], 1, v[8:9]
	v_add3_u32 v17, v17, v19, v18
	v_mov_b64_e32 v[18:19], s[10:11]
	v_lshl_add_u64 v[66:67], s[12:13], 0, v[4:5]
	v_lshl_add_u64 v[68:69], s[14:15], 0, v[4:5]
	v_lshlrev_b64 v[4:5], 1, v[10:11]
	v_mul_lo_u32 v2, s11, v6
	v_mad_u64_u32 v[18:19], s[4:5], s10, v6, v[18:19]
	v_mul_lo_u32 v20, s10, v7
	v_mad_u64_u32 v[6:7], s[4:5], s10, v6, 0
	v_lshl_add_u64 v[70:71], s[12:13], 0, v[4:5]
	v_lshl_add_u64 v[72:73], s[14:15], 0, v[4:5]
	v_lshlrev_b64 v[4:5], 1, v[12:13]
	s_add_u32 s4, s0, 64
	v_lshl_add_u64 v[74:75], s[12:13], 0, v[4:5]
	v_lshl_add_u64 v[76:77], s[14:15], 0, v[4:5]
	v_lshlrev_b64 v[4:5], 1, v[14:15]
	v_add3_u32 v7, v7, v20, v2
	v_add3_u32 v19, v2, v19, v20
	s_addc_u32 s5, s1, 0
	s_waitcnt lgkmcnt(0)
	s_lshl_b32 s3, s3, 6
	v_lshl_add_u64 v[78:79], s[12:13], 0, v[4:5]
	v_lshl_add_u64 v[80:81], s[14:15], 0, v[4:5]
	v_lshlrev_b64 v[4:5], 1, v[16:17]
	v_mbcnt_lo_u32_b32 v2, -1, 0
	s_add_u32 s6, s26, 63
	s_mul_i32 s17, s11, s3
	s_mul_hi_u32 s18, s10, s3
	v_lshlrev_b64 v[6:7], 1, v[6:7]
	v_lshl_add_u64 v[82:83], s[12:13], 0, v[4:5]
	v_lshl_add_u64 v[84:85], s[14:15], 0, v[4:5]
	v_lshlrev_b64 v[4:5], 1, v[18:19]
	v_mbcnt_hi_u32_b32 v2, -1, v2
	s_addc_u32 s7, 0, 0
	s_add_i32 s19, s18, s17
	s_mul_i32 s18, s10, s3
	v_lshl_add_u64 v[58:59], s[12:13], 0, v[6:7]
	v_lshl_add_u64 v[60:61], s[14:15], 0, v[6:7]
	;; [unrolled: 1-line block ×4, first 2 shown]
	s_movk_i32 s12, 0xffc1
	s_movk_i32 s14, 0xffc2
	;; [unrolled: 1-line block ×8, first 2 shown]
	v_lshlrev_b32_e32 v2, 2, v2
	s_mov_b32 s16, 0
	s_lshl_b64 s[28:29], s[18:19], 1
	s_mov_b32 s13, -1
	s_mov_b32 s15, -1
	;; [unrolled: 1-line block ×8, first 2 shown]
	v_and_b32_e32 v93, 0x100, v2
	v_mov_b32_e32 v94, 0
.LBB203_53:                             ; =>This Inner Loop Header: Depth=1
	v_mov_b64_e32 v[4:5], s[8:9]
	v_cmp_ge_i64_e32 vcc, s[6:7], v[4:5]
	v_lshl_add_u64 v[90:91], v[26:27], 0, s[6:7]
	s_cbranch_vccz .LBB203_75
; %bb.54:                               ;   in Loop: Header=BB203_53 Depth=1
	s_load_dword s17, s[4:5], 0xc
	v_mov_b32_e32 v95, 0
	s_waitcnt lgkmcnt(0)
	s_and_b32 s17, s17, 0xffff
	v_mad_u32_u24 v2, v92, s17, v1
	v_and_b32_e32 v2, 63, v2
	v_cmp_gt_u32_e32 vcc, 8, v2
	s_and_saveexec_b64 s[18:19], vcc
	s_cbranch_execz .LBB203_58
; %bb.55:                               ;   in Loop: Header=BB203_53 Depth=1
	v_lshl_add_u64 v[4:5], v[90:91], 0, v[2:3]
	v_lshl_add_u64 v[4:5], v[4:5], 0, s[12:13]
	v_cmp_gt_i64_e32 vcc, s[8:9], v[4:5]
	v_mov_b32_e32 v95, 0
	s_and_saveexec_b64 s[20:21], vcc
	s_cbranch_execz .LBB203_57
; %bb.56:                               ;   in Loop: Header=BB203_53 Depth=1
	v_lshl_add_u64 v[4:5], v[4:5], 2, s[24:25]
	global_load_dword v95, v[4:5], off
.LBB203_57:                             ;   in Loop: Header=BB203_53 Depth=1
	s_or_b64 exec, exec, s[20:21]
.LBB203_58:                             ;   in Loop: Header=BB203_53 Depth=1
	s_or_b64 exec, exec, s[18:19]
	s_mov_b32 s17, s16
	s_mov_b32 s18, s16
	;; [unrolled: 1-line block ×7, first 2 shown]
	v_mov_b64_e32 v[10:11], s[16:17]
	v_mov_b64_e32 v[16:17], s[22:23]
	v_lshl_add_u64 v[4:5], v[90:91], 0, s[12:13]
	v_mov_b64_e32 v[12:13], s[18:19]
	v_mov_b64_e32 v[14:15], s[20:21]
	;; [unrolled: 1-line block ×3, first 2 shown]
	v_cmp_gt_i64_e32 vcc, s[8:9], v[4:5]
	v_mov_b64_e32 v[22:23], v[14:15]
	v_mov_b64_e32 v[20:21], v[12:13]
	;; [unrolled: 1-line block ×3, first 2 shown]
	s_and_saveexec_b64 s[18:19], vcc
	s_cbranch_execz .LBB203_60
; %bb.59:                               ;   in Loop: Header=BB203_53 Depth=1
	v_lshl_add_u64 v[4:5], v[58:59], 0, v[28:29]
	global_load_ushort v2, v[4:5], off
	v_lshl_add_u64 v[4:5], v[60:61], 0, v[28:29]
	global_load_ushort v10, v[4:5], off
	v_mov_b32_e32 v8, v3
	v_mov_b32_e32 v9, v3
	;; [unrolled: 1-line block ×13, first 2 shown]
	s_waitcnt vmcnt(1)
	v_lshlrev_b32_e32 v2, 16, v2
	v_mov_b64_e32 v[24:25], v[8:9]
	s_waitcnt vmcnt(0)
	v_lshlrev_b32_e32 v10, 16, v10
	v_mov_b64_e32 v[22:23], v[6:7]
	v_mov_b64_e32 v[20:21], v[4:5]
	;; [unrolled: 1-line block ×3, first 2 shown]
.LBB203_60:                             ;   in Loop: Header=BB203_53 Depth=1
	s_or_b64 exec, exec, s[18:19]
	v_lshl_add_u64 v[4:5], v[90:91], 0, s[14:15]
	v_cmp_gt_i64_e32 vcc, s[8:9], v[4:5]
	s_and_saveexec_b64 s[18:19], vcc
	s_cbranch_execz .LBB203_62
; %bb.61:                               ;   in Loop: Header=BB203_53 Depth=1
	v_lshl_add_u64 v[4:5], v[86:87], 0, v[28:29]
	global_load_ushort v2, v[4:5], off
	v_lshl_add_u64 v[4:5], v[88:89], 0, v[28:29]
	global_load_ushort v4, v[4:5], off
	s_waitcnt vmcnt(1)
	v_lshlrev_b32_e32 v19, 16, v2
	s_waitcnt vmcnt(0)
	v_lshlrev_b32_e32 v11, 16, v4
.LBB203_62:                             ;   in Loop: Header=BB203_53 Depth=1
	s_or_b64 exec, exec, s[18:19]
	v_lshl_add_u64 v[4:5], v[90:91], 0, s[30:31]
	v_cmp_gt_i64_e32 vcc, s[8:9], v[4:5]
	s_and_saveexec_b64 s[18:19], vcc
	s_cbranch_execz .LBB203_64
; %bb.63:                               ;   in Loop: Header=BB203_53 Depth=1
	v_lshl_add_u64 v[4:5], v[82:83], 0, v[28:29]
	global_load_ushort v2, v[4:5], off
	v_lshl_add_u64 v[4:5], v[84:85], 0, v[28:29]
	global_load_ushort v4, v[4:5], off
	s_waitcnt vmcnt(1)
	v_lshlrev_b32_e32 v20, 16, v2
	s_waitcnt vmcnt(0)
	v_lshlrev_b32_e32 v12, 16, v4
.LBB203_64:                             ;   in Loop: Header=BB203_53 Depth=1
	;; [unrolled: 15-line block ×7, first 2 shown]
	s_or_b64 exec, exec, s[18:19]
	s_waitcnt vmcnt(0)
	ds_bpermute_b32 v4, v93, v95
	ds_bpermute_b32 v5, v93, v95 offset:4
	v_pk_mul_f32 v[8:9], v[14:15], v[22:23]
	ds_bpermute_b32 v14, v93, v95 offset:8
	ds_bpermute_b32 v15, v93, v95 offset:12
	v_pk_mul_f32 v[10:11], v[10:11], v[18:19]
	v_pk_mul_f32 v[12:13], v[12:13], v[20:21]
	s_waitcnt lgkmcnt(2)
	v_pk_mul_f32 v[4:5], v[10:11], v[4:5]
	ds_bpermute_b32 v10, v93, v95 offset:16
	ds_bpermute_b32 v11, v93, v95 offset:20
	v_add_f32_e32 v2, v94, v4
	v_add_f32_e32 v2, v2, v5
	s_waitcnt lgkmcnt(2)
	v_pk_mul_f32 v[4:5], v[12:13], v[14:15]
	ds_bpermute_b32 v12, v93, v95 offset:24
	ds_bpermute_b32 v13, v93, v95 offset:28
	v_add_f32_e32 v2, v2, v4
	v_add_f32_e32 v2, v2, v5
	s_waitcnt lgkmcnt(2)
	v_pk_mul_f32 v[4:5], v[8:9], v[10:11]
	v_pk_mul_f32 v[6:7], v[16:17], v[24:25]
	v_add_f32_e32 v2, v2, v4
	v_add_f32_e32 v2, v2, v5
	s_waitcnt lgkmcnt(0)
	v_pk_mul_f32 v[4:5], v[6:7], v[12:13]
	s_nop 0
	v_add_f32_e32 v2, v2, v4
	v_add_f32_e32 v2, v2, v5
	s_branch .LBB203_81
.LBB203_75:                             ;   in Loop: Header=BB203_53 Depth=1
                                        ; implicit-def: $vgpr2
	s_cbranch_execz .LBB203_81
; %bb.76:                               ;   in Loop: Header=BB203_53 Depth=1
	s_load_dword s17, s[4:5], 0x0
	v_mov_b32_e32 v6, 0
	s_waitcnt lgkmcnt(0)
	s_cmp_lt_u32 s2, s17
	s_cselect_b32 s17, 12, 18
	s_add_u32 s18, s4, s17
	s_addc_u32 s19, s5, 0
	global_load_ushort v2, v3, s[18:19]
	s_waitcnt vmcnt(0)
	v_mad_u32_u24 v2, v92, v2, v1
	v_and_b32_e32 v2, 63, v2
	v_cmp_gt_u32_e32 vcc, 8, v2
	s_and_saveexec_b64 s[18:19], vcc
	s_cbranch_execz .LBB203_80
; %bb.77:                               ;   in Loop: Header=BB203_53 Depth=1
	v_lshl_add_u64 v[4:5], v[90:91], 0, v[2:3]
	v_lshl_add_u64 v[4:5], v[4:5], 0, s[12:13]
	v_cmp_gt_i64_e32 vcc, s[8:9], v[4:5]
	v_mov_b32_e32 v6, 0
	s_and_saveexec_b64 s[20:21], vcc
	s_cbranch_execz .LBB203_79
; %bb.78:                               ;   in Loop: Header=BB203_53 Depth=1
	v_lshl_add_u64 v[4:5], v[4:5], 2, s[24:25]
	global_load_dword v6, v[4:5], off
.LBB203_79:                             ;   in Loop: Header=BB203_53 Depth=1
	s_or_b64 exec, exec, s[20:21]
.LBB203_80:                             ;   in Loop: Header=BB203_53 Depth=1
	s_or_b64 exec, exec, s[18:19]
	v_lshl_add_u64 v[10:11], v[30:31], 0, v[28:29]
	v_lshl_add_u64 v[90:91], v[38:39], 0, v[28:29]
	v_lshl_add_u64 v[4:5], v[58:59], 0, v[28:29]
	v_lshl_add_u64 v[8:9], v[60:61], 0, v[28:29]
	v_lshl_add_u64 v[12:13], v[44:45], 0, v[28:29]
	v_lshl_add_u64 v[14:15], v[32:33], 0, v[28:29]
	v_lshl_add_u64 v[16:17], v[46:47], 0, v[28:29]
	v_lshl_add_u64 v[18:19], v[34:35], 0, v[28:29]
	v_lshl_add_u64 v[20:21], v[48:49], 0, v[28:29]
	v_lshl_add_u64 v[22:23], v[36:37], 0, v[28:29]
	v_lshl_add_u64 v[24:25], v[50:51], 0, v[28:29]
	v_lshl_add_u64 v[96:97], v[52:53], 0, v[28:29]
	v_lshl_add_u64 v[98:99], v[40:41], 0, v[28:29]
	v_lshl_add_u64 v[100:101], v[54:55], 0, v[28:29]
	v_lshl_add_u64 v[102:103], v[42:43], 0, v[28:29]
	v_lshl_add_u64 v[104:105], v[56:57], 0, v[28:29]
	global_load_ushort v2, v[10:11], off
	global_load_ushort v95, v[4:5], off
	;; [unrolled: 1-line block ×15, first 2 shown]
                                        ; kill: killed $vgpr24_vgpr25
                                        ; kill: killed $vgpr10_vgpr11
                                        ; kill: killed $vgpr102_vgpr103
                                        ; kill: killed $vgpr20_vgpr21
                                        ; kill: killed $vgpr4_vgpr5
                                        ; kill: killed $vgpr98_vgpr99
                                        ; kill: killed $vgpr16_vgpr17
                                        ; kill: killed $vgpr90_vgpr91
                                        ; kill: killed $vgpr12_vgpr13
                                        ; kill: killed $vgpr104_vgpr105
                                        ; kill: killed $vgpr22_vgpr23
                                        ; kill: killed $vgpr8_vgpr9
                                        ; kill: killed $vgpr18_vgpr19
                                        ; kill: killed $vgpr96_vgpr97
                                        ; kill: killed $vgpr14_vgpr15
	global_load_ushort v90, v[100:101], off
	s_waitcnt vmcnt(16)
	ds_bpermute_b32 v4, v93, v6
	ds_bpermute_b32 v5, v93, v6 offset:4
	ds_bpermute_b32 v8, v93, v6 offset:8
	;; [unrolled: 1-line block ×7, first 2 shown]
	s_waitcnt vmcnt(15)
	v_lshlrev_b32_e32 v7, 16, v2
	s_waitcnt vmcnt(14)
	v_lshlrev_b32_e32 v6, 16, v95
	;; [unrolled: 2-line block ×4, first 2 shown]
	v_pk_mul_f32 v[6:7], v[6:7], v[14:15]
	s_waitcnt vmcnt(11)
	v_lshlrev_b32_e32 v17, 16, v108
	s_waitcnt vmcnt(10)
	v_lshlrev_b32_e32 v16, 16, v109
	;; [unrolled: 2-line block ×4, first 2 shown]
	s_waitcnt lgkmcnt(6)
	v_pk_mul_f32 v[4:5], v[6:7], v[4:5]
	v_pk_mul_f32 v[14:15], v[16:17], v[18:19]
	v_add_f32_e32 v2, v94, v4
	s_waitcnt vmcnt(7)
	v_lshlrev_b32_e32 v21, 16, v112
	s_waitcnt vmcnt(6)
	v_lshlrev_b32_e32 v20, 16, v113
	;; [unrolled: 2-line block ×4, first 2 shown]
	s_waitcnt lgkmcnt(4)
	v_pk_mul_f32 v[6:7], v[14:15], v[8:9]
	v_add_f32_e32 v2, v2, v5
	v_pk_mul_f32 v[16:17], v[20:21], v[22:23]
	v_add_f32_e32 v2, v2, v6
	s_waitcnt vmcnt(3)
	v_lshlrev_b32_e32 v25, 16, v116
	s_waitcnt vmcnt(2)
	v_lshlrev_b32_e32 v24, 16, v117
	;; [unrolled: 2-line block ×3, first 2 shown]
	s_waitcnt lgkmcnt(2)
	v_pk_mul_f32 v[8:9], v[16:17], v[10:11]
	v_add_f32_e32 v2, v2, v7
	v_add_f32_e32 v2, v2, v8
	;; [unrolled: 1-line block ×3, first 2 shown]
	s_waitcnt vmcnt(0)
	v_lshlrev_b32_e32 v90, 16, v90
	v_pk_mul_f32 v[18:19], v[24:25], v[90:91]
	s_waitcnt lgkmcnt(0)
	v_pk_mul_f32 v[4:5], v[18:19], v[12:13]
	s_nop 0
	v_add_f32_e32 v2, v2, v4
	v_add_f32_e32 v2, v2, v5
.LBB203_81:                             ;   in Loop: Header=BB203_53 Depth=1
	s_add_u32 s26, s26, s3
	s_addc_u32 s27, s27, 0
	v_mov_b64_e32 v[4:5], s[8:9]
	s_add_u32 s6, s6, s3
	v_cmp_ge_i64_e32 vcc, s[26:27], v[4:5]
	s_addc_u32 s7, s7, 0
	v_lshl_add_u64 v[30:31], v[30:31], 0, s[28:29]
	v_lshl_add_u64 v[32:33], v[32:33], 0, s[28:29]
	;; [unrolled: 1-line block ×30, first 2 shown]
	s_cbranch_vccnz .LBB203_83
; %bb.82:                               ;   in Loop: Header=BB203_53 Depth=1
	v_mov_b32_e32 v94, v2
	s_branch .LBB203_53
.LBB203_83:
	v_and_b32_e32 v3, 0x3ff, v0
	v_bfe_u32 v0, v0, 10, 10
	v_mad_u32_u24 v4, v0, 33, v3
	v_lshl_add_u32 v5, v4, 2, 0
	ds_write_b32 v5, v2
	v_sub_u32_e32 v2, v4, v0
	s_movk_i32 s4, 0x800
	s_mov_b32 s3, 0
	v_mov_b32_e32 v1, 0
	v_cmp_gt_u32_e32 vcc, s4, v2
	ds_write_b32 v5, v1 offset:1056
	s_waitcnt lgkmcnt(0)
	s_barrier
	s_and_saveexec_b64 s[4:5], vcc
	s_cbranch_execz .LBB203_90
; %bb.84:
	v_mbcnt_lo_u32_b32 v4, -1, 0
	v_mbcnt_hi_u32_b32 v6, -1, v4
	v_and_b32_e32 v4, 64, v6
	s_load_dwordx2 s[14:15], s[0:1], 0x30
	v_add_u32_e32 v7, 64, v4
	v_cmp_ne_u32_e64 s[0:1], 0, v3
	v_xor_b32_e32 v3, 4, v6
	v_cmp_lt_i32_e64 s[4:5], v3, v7
	s_lshl_b64 s[6:7], s[2:3], 5
	s_waitcnt lgkmcnt(0)
	s_cmp_eq_u64 s[14:15], 0
	v_cndmask_b32_e64 v3, v6, v3, s[4:5]
	v_lshlrev_b32_e32 v4, 2, v3
	v_xor_b32_e32 v3, 2, v6
	v_cmp_lt_i32_e64 s[4:5], v3, v7
	v_lshrrev_b32_e32 v0, 6, v2
	v_and_b32_e32 v2, 63, v2
	v_cndmask_b32_e64 v3, v6, v3, s[4:5]
	v_lshlrev_b32_e32 v5, 2, v3
	v_xor_b32_e32 v3, 1, v6
	v_cmp_lt_i32_e64 s[4:5], v3, v7
	s_cselect_b64 s[12:13], -1, 0
	s_lshl_b64 s[2:3], s[2:3], 6
	v_cndmask_b32_e64 v3, v6, v3, s[4:5]
	v_cmp_gt_u32_e32 vcc, 8, v2
	v_mul_u32_u24_e32 v2, 0x84, v2
	v_lshlrev_b32_e32 v6, 2, v3
	v_lshlrev_b32_e32 v3, 2, v0
	s_add_u32 s2, s14, s2
	v_add3_u32 v7, v2, v3, 0
	v_lshlrev_b32_e32 v2, 1, v0
	v_mov_b32_e32 v3, v1
	s_addc_u32 s3, s15, s3
	s_mov_b64 s[8:9], 0
	v_lshl_add_u64 v[2:3], s[2:3], 0, v[2:3]
	s_movk_i32 s14, 0x7fff
	v_mov_b32_e32 v8, 0x7fc0
                                        ; implicit-def: $vgpr9
	s_branch .LBB203_86
.LBB203_85:                             ;   in Loop: Header=BB203_86 Depth=1
	s_or_b64 exec, exec, s[4:5]
	v_lshl_add_u64 v[0:1], v[0:1], 0, 4
	v_add_u32_e32 v10, -4, v0
	v_cmp_lt_u32_e64 s[2:3], 27, v10
	v_add_u32_e32 v7, 16, v7
	s_or_b64 s[8:9], s[2:3], s[8:9]
	v_lshl_add_u64 v[2:3], v[2:3], 0, 8
	s_andn2_b64 exec, exec, s[8:9]
	s_cbranch_execz .LBB203_90
.LBB203_86:                             ; =>This Inner Loop Header: Depth=1
	s_and_saveexec_b64 s[2:3], vcc
	s_cbranch_execz .LBB203_88
; %bb.87:                               ;   in Loop: Header=BB203_86 Depth=1
	ds_read_b32 v9, v7
.LBB203_88:                             ;   in Loop: Header=BB203_86 Depth=1
	s_or_b64 exec, exec, s[2:3]
	s_waitcnt lgkmcnt(0)
	ds_bpermute_b32 v10, v4, v9
	s_waitcnt lgkmcnt(0)
	v_add_f32_e32 v9, v9, v10
	ds_bpermute_b32 v10, v5, v9
	s_waitcnt lgkmcnt(0)
	v_add_f32_e32 v9, v9, v10
	ds_bpermute_b32 v12, v6, v9
	v_lshl_add_u64 v[10:11], s[6:7], 0, v[0:1]
	v_cmp_le_i64_e64 s[2:3], s[10:11], v[10:11]
	s_or_b64 s[2:3], s[0:1], s[2:3]
	s_or_b64 s[2:3], s[12:13], s[2:3]
	s_waitcnt lgkmcnt(0)
	v_add_f32_e32 v9, v9, v12
	s_xor_b64 s[2:3], s[2:3], -1
	s_and_saveexec_b64 s[4:5], s[2:3]
	s_cbranch_execz .LBB203_85
; %bb.89:                               ;   in Loop: Header=BB203_86 Depth=1
	v_bfe_u32 v10, v9, 16, 1
	v_add3_u32 v10, v9, v10, s14
	v_lshrrev_b32_e32 v10, 16, v10
	v_cmp_o_f32_e64 s[2:3], v9, v9
	s_nop 1
	v_cndmask_b32_e64 v10, v8, v10, s[2:3]
	global_store_short v[2:3], v10, off
	s_branch .LBB203_85
.LBB203_90:
	s_endpgm
	.section	.rodata,"a",@progbits
	.p2align	6, 0x0
	.amdhsa_kernel _ZN2at6native12_GLOBAL__N_135GammaBetaBackwardCUDAKernelTemplateIN3c108BFloat16EfLj32ELj8ELj64ELb0ELb0ELb1EEEvllPKT_S7_PKT0_SA_PS5_SB_
		.amdhsa_group_segment_fixed_size 0
		.amdhsa_private_segment_fixed_size 0
		.amdhsa_kernarg_size 320
		.amdhsa_user_sgpr_count 2
		.amdhsa_user_sgpr_dispatch_ptr 0
		.amdhsa_user_sgpr_queue_ptr 0
		.amdhsa_user_sgpr_kernarg_segment_ptr 1
		.amdhsa_user_sgpr_dispatch_id 0
		.amdhsa_user_sgpr_kernarg_preload_length 0
		.amdhsa_user_sgpr_kernarg_preload_offset 0
		.amdhsa_user_sgpr_private_segment_size 0
		.amdhsa_uses_dynamic_stack 0
		.amdhsa_enable_private_segment 0
		.amdhsa_system_sgpr_workgroup_id_x 1
		.amdhsa_system_sgpr_workgroup_id_y 1
		.amdhsa_system_sgpr_workgroup_id_z 0
		.amdhsa_system_sgpr_workgroup_info 0
		.amdhsa_system_vgpr_workitem_id 1
		.amdhsa_next_free_vgpr 119
		.amdhsa_next_free_sgpr 56
		.amdhsa_accum_offset 120
		.amdhsa_reserve_vcc 1
		.amdhsa_float_round_mode_32 0
		.amdhsa_float_round_mode_16_64 0
		.amdhsa_float_denorm_mode_32 3
		.amdhsa_float_denorm_mode_16_64 3
		.amdhsa_dx10_clamp 1
		.amdhsa_ieee_mode 1
		.amdhsa_fp16_overflow 0
		.amdhsa_tg_split 0
		.amdhsa_exception_fp_ieee_invalid_op 0
		.amdhsa_exception_fp_denorm_src 0
		.amdhsa_exception_fp_ieee_div_zero 0
		.amdhsa_exception_fp_ieee_overflow 0
		.amdhsa_exception_fp_ieee_underflow 0
		.amdhsa_exception_fp_ieee_inexact 0
		.amdhsa_exception_int_div_zero 0
	.end_amdhsa_kernel
	.section	.text._ZN2at6native12_GLOBAL__N_135GammaBetaBackwardCUDAKernelTemplateIN3c108BFloat16EfLj32ELj8ELj64ELb0ELb0ELb1EEEvllPKT_S7_PKT0_SA_PS5_SB_,"axG",@progbits,_ZN2at6native12_GLOBAL__N_135GammaBetaBackwardCUDAKernelTemplateIN3c108BFloat16EfLj32ELj8ELj64ELb0ELb0ELb1EEEvllPKT_S7_PKT0_SA_PS5_SB_,comdat
.Lfunc_end203:
	.size	_ZN2at6native12_GLOBAL__N_135GammaBetaBackwardCUDAKernelTemplateIN3c108BFloat16EfLj32ELj8ELj64ELb0ELb0ELb1EEEvllPKT_S7_PKT0_SA_PS5_SB_, .Lfunc_end203-_ZN2at6native12_GLOBAL__N_135GammaBetaBackwardCUDAKernelTemplateIN3c108BFloat16EfLj32ELj8ELj64ELb0ELb0ELb1EEEvllPKT_S7_PKT0_SA_PS5_SB_
                                        ; -- End function
	.section	.AMDGPU.csdata,"",@progbits
; Kernel info:
; codeLenInByte = 6660
; NumSgprs: 62
; NumVgprs: 119
; NumAgprs: 0
; TotalNumVgprs: 119
; ScratchSize: 0
; MemoryBound: 0
; FloatMode: 240
; IeeeMode: 1
; LDSByteSize: 0 bytes/workgroup (compile time only)
; SGPRBlocks: 7
; VGPRBlocks: 14
; NumSGPRsForWavesPerEU: 62
; NumVGPRsForWavesPerEU: 119
; AccumOffset: 120
; Occupancy: 4
; WaveLimiterHint : 0
; COMPUTE_PGM_RSRC2:SCRATCH_EN: 0
; COMPUTE_PGM_RSRC2:USER_SGPR: 2
; COMPUTE_PGM_RSRC2:TRAP_HANDLER: 0
; COMPUTE_PGM_RSRC2:TGID_X_EN: 1
; COMPUTE_PGM_RSRC2:TGID_Y_EN: 1
; COMPUTE_PGM_RSRC2:TGID_Z_EN: 0
; COMPUTE_PGM_RSRC2:TIDIG_COMP_CNT: 1
; COMPUTE_PGM_RSRC3_GFX90A:ACCUM_OFFSET: 29
; COMPUTE_PGM_RSRC3_GFX90A:TG_SPLIT: 0
	.section	.text._ZN2at6native12_GLOBAL__N_135GammaBetaBackwardCUDAKernelTemplateIN3c108BFloat16EfLj32ELj16ELj128ELb0ELb1ELb1EEEvllPKT_S7_PKT0_SA_PS5_SB_,"axG",@progbits,_ZN2at6native12_GLOBAL__N_135GammaBetaBackwardCUDAKernelTemplateIN3c108BFloat16EfLj32ELj16ELj128ELb0ELb1ELb1EEEvllPKT_S7_PKT0_SA_PS5_SB_,comdat
	.globl	_ZN2at6native12_GLOBAL__N_135GammaBetaBackwardCUDAKernelTemplateIN3c108BFloat16EfLj32ELj16ELj128ELb0ELb1ELb1EEEvllPKT_S7_PKT0_SA_PS5_SB_ ; -- Begin function _ZN2at6native12_GLOBAL__N_135GammaBetaBackwardCUDAKernelTemplateIN3c108BFloat16EfLj32ELj16ELj128ELb0ELb1ELb1EEEvllPKT_S7_PKT0_SA_PS5_SB_
	.p2align	8
	.type	_ZN2at6native12_GLOBAL__N_135GammaBetaBackwardCUDAKernelTemplateIN3c108BFloat16EfLj32ELj16ELj128ELb0ELb1ELb1EEEvllPKT_S7_PKT0_SA_PS5_SB_,@function
_ZN2at6native12_GLOBAL__N_135GammaBetaBackwardCUDAKernelTemplateIN3c108BFloat16EfLj32ELj16ELj128ELb0ELb1ELb1EEEvllPKT_S7_PKT0_SA_PS5_SB_: ; @_ZN2at6native12_GLOBAL__N_135GammaBetaBackwardCUDAKernelTemplateIN3c108BFloat16EfLj32ELj16ELj128ELb0ELb1ELb1EEEvllPKT_S7_PKT0_SA_PS5_SB_
; %bb.0:
	s_load_dwordx4 s[4:7], s[0:1], 0x0
	s_lshl_b32 s14, s3, 7
	s_mov_b32 s15, 0
	v_bfe_u32 v12, v0, 10, 10
	s_waitcnt lgkmcnt(0)
	v_mov_b64_e32 v[2:3], s[4:5]
	v_cmp_lt_i64_e32 vcc, s[14:15], v[2:3]
	s_cbranch_vccnz .LBB204_2
; %bb.1:
	s_mov_b64 s[8:9], 0
	v_bfe_u32 v2, v0, 10, 10
	s_branch .LBB204_3
.LBB204_2:
	s_mov_b64 s[8:9], -1
                                        ; implicit-def: $vgpr2
.LBB204_3:
	s_load_dwordx2 s[12:13], s[0:1], 0x30
	v_and_b32_e32 v10, 0x3ff, v0
	s_andn2_b64 vcc, exec, s[8:9]
	v_mov_b32_e32 v1, s15
	v_mbcnt_lo_u32_b32 v11, -1, 0
	s_cbranch_vccnz .LBB204_11
; %bb.4:
	s_load_dword s3, s[0:1], 0x4c
	s_load_dword s16, s[0:1], 0x44
	s_load_dwordx2 s[18:19], s[0:1], 0x28
	s_load_dwordx4 s[8:11], s[0:1], 0x10
	v_lshlrev_b32_e32 v0, 3, v12
	s_waitcnt lgkmcnt(0)
	s_and_b32 s0, s3, 0xffff
	v_mad_u32_u24 v1, v12, s0, v10
	v_and_b32_e32 v2, 63, v1
	v_mov_b32_e32 v1, 0
	v_mov_b32_e32 v3, v1
	v_lshl_add_u64 v[8:9], v[0:1], 0, s[14:15]
	v_cmp_gt_u32_e64 s[0:1], 8, v2
	v_mbcnt_hi_u32_b32 v4, -1, v11
	s_lshl_b32 s16, s16, 7
	v_lshl_add_u64 v[2:3], v[8:9], 0, v[2:3]
	v_mul_lo_u32 v0, s7, v8
	v_mul_lo_u32 v21, s6, v9
	v_mad_u64_u32 v[8:9], s[20:21], s6, v8, 0
	v_lshl_add_u32 v6, s2, 5, v10
	v_mov_b32_e32 v7, v1
	v_lshlrev_b32_e32 v4, 2, v4
	s_mul_i32 s3, s7, s16
	s_mul_hi_u32 s20, s6, s16
	s_mov_b32 s17, 0
	v_and_b32_e32 v13, 0x100, v4
	v_add3_u32 v9, v9, v21, v0
	v_lshlrev_b64 v[6:7], 1, v[6:7]
	s_add_i32 s21, s20, s3
	s_mul_i32 s20, s6, s16
	v_or_b32_e32 v14, 4, v13
	v_or_b32_e32 v15, 8, v13
	;; [unrolled: 1-line block ×7, first 2 shown]
	v_lshl_add_u64 v[4:5], v[2:3], 2, s[18:19]
	s_lshl_b64 s[18:19], s[16:17], 2
	v_lshl_add_u64 v[6:7], v[8:9], 1, v[6:7]
	s_lshl_b64 s[20:21], s[20:21], 1
	s_lshl_b64 s[6:7], s[6:7], 1
	v_mov_b64_e32 v[8:9], s[4:5]
	s_branch .LBB204_7
.LBB204_5:                              ;   in Loop: Header=BB204_7 Depth=1
	s_or_b64 exec, exec, s[24:25]
.LBB204_6:                              ;   in Loop: Header=BB204_7 Depth=1
	s_or_b64 exec, exec, s[22:23]
	v_lshl_add_u64 v[22:23], s[8:9], 0, v[6:7]
	v_lshl_add_u64 v[24:25], s[10:11], 0, v[6:7]
	;; [unrolled: 1-line block ×5, first 2 shown]
	global_load_ushort v21, v[22:23], off
	global_load_ushort v34, v[24:25], off
	;; [unrolled: 1-line block ×4, first 2 shown]
	v_lshl_add_u64 v[32:33], v[28:29], 0, s[6:7]
	v_lshl_add_u64 v[22:23], v[30:31], 0, s[6:7]
	global_load_ushort v37, v[30:31], off
	global_load_ushort v38, v[32:33], off
	v_lshl_add_u64 v[24:25], v[32:33], 0, s[6:7]
	global_load_ushort v39, v[22:23], off
	global_load_ushort v40, v[24:25], off
	v_lshl_add_u64 v[22:23], v[22:23], 0, s[6:7]
	v_lshl_add_u64 v[24:25], v[24:25], 0, s[6:7]
	global_load_ushort v41, v[22:23], off
	global_load_ushort v42, v[24:25], off
	v_lshl_add_u64 v[22:23], v[22:23], 0, s[6:7]
	;; [unrolled: 4-line block ×4, first 2 shown]
	v_lshl_add_u64 v[24:25], v[24:25], 0, s[6:7]
	global_load_ushort v47, v[22:23], off
	global_load_ushort v48, v[24:25], off
	s_waitcnt vmcnt(16)
	ds_bpermute_b32 v22, v13, v0
	ds_bpermute_b32 v23, v14, v0
	;; [unrolled: 1-line block ×8, first 2 shown]
	s_add_u32 s14, s14, s16
	s_addc_u32 s15, s15, 0
	v_cmp_lt_i64_e32 vcc, s[14:15], v[8:9]
	v_lshl_add_u64 v[4:5], v[4:5], 0, s[18:19]
	v_lshl_add_u64 v[2:3], v[2:3], 0, s[16:17]
	;; [unrolled: 1-line block ×3, first 2 shown]
	s_and_b64 vcc, exec, vcc
	s_waitcnt vmcnt(15)
	v_lshlrev_b32_e32 v30, 16, v21
	s_waitcnt vmcnt(14)
	v_lshlrev_b32_e32 v32, 16, v34
	;; [unrolled: 2-line block ×4, first 2 shown]
	v_pk_mul_f32 v[30:31], v[30:31], v[32:33]
	s_waitcnt vmcnt(11)
	v_lshlrev_b32_e32 v32, 16, v37
	s_waitcnt vmcnt(10)
	v_lshlrev_b32_e32 v34, 16, v38
	s_waitcnt lgkmcnt(6)
	v_pk_mul_f32 v[22:23], v[30:31], v[22:23]
	s_waitcnt vmcnt(9)
	v_lshlrev_b32_e32 v33, 16, v39
	s_waitcnt vmcnt(8)
	v_lshlrev_b32_e32 v35, 16, v40
	v_add_f32_e32 v21, v1, v22
	v_pk_mul_f32 v[0:1], v[32:33], v[34:35]
	s_waitcnt vmcnt(7)
	v_lshlrev_b32_e32 v22, 16, v41
	s_waitcnt vmcnt(6)
	v_lshlrev_b32_e32 v30, 16, v42
	v_add_f32_e32 v21, v21, v23
	s_waitcnt lgkmcnt(4)
	v_pk_mul_f32 v[0:1], v[0:1], v[24:25]
	s_waitcnt vmcnt(5)
	v_lshlrev_b32_e32 v23, 16, v43
	s_waitcnt vmcnt(4)
	v_lshlrev_b32_e32 v31, 16, v44
	v_add_f32_e32 v21, v21, v0
	v_pk_mul_f32 v[22:23], v[22:23], v[30:31]
	s_waitcnt vmcnt(3)
	v_lshlrev_b32_e32 v0, 16, v45
	s_waitcnt vmcnt(2)
	v_lshlrev_b32_e32 v24, 16, v46
	v_add_f32_e32 v21, v21, v1
	s_waitcnt lgkmcnt(2)
	v_pk_mul_f32 v[22:23], v[22:23], v[26:27]
	s_waitcnt vmcnt(1)
	v_lshlrev_b32_e32 v1, 16, v47
	s_waitcnt vmcnt(0)
	v_lshlrev_b32_e32 v25, 16, v48
	v_add_f32_e32 v21, v21, v22
	v_pk_mul_f32 v[0:1], v[0:1], v[24:25]
	v_add_f32_e32 v21, v21, v23
	s_waitcnt lgkmcnt(0)
	v_pk_mul_f32 v[0:1], v[0:1], v[28:29]
	s_nop 0
	v_add_f32_e32 v0, v21, v0
	v_add_f32_e32 v1, v0, v1
	s_cbranch_vccz .LBB204_10
.LBB204_7:                              ; =>This Inner Loop Header: Depth=1
	v_mov_b32_e32 v0, 0
	s_and_saveexec_b64 s[22:23], s[0:1]
	s_cbranch_execz .LBB204_6
; %bb.8:                                ;   in Loop: Header=BB204_7 Depth=1
	v_cmp_gt_i64_e32 vcc, s[4:5], v[2:3]
	v_mov_b32_e32 v0, 0
	s_and_saveexec_b64 s[24:25], vcc
	s_cbranch_execz .LBB204_5
; %bb.9:                                ;   in Loop: Header=BB204_7 Depth=1
	global_load_dword v0, v[4:5], off
	s_branch .LBB204_5
.LBB204_10:
	v_mov_b32_e32 v2, v12
.LBB204_11:
	v_mad_u32_u24 v0, v2, 33, v10
	v_lshl_add_u32 v3, v0, 2, 0
	v_sub_u32_e32 v0, v0, v2
	s_movk_i32 s0, 0x800
	s_mov_b32 s3, 0
	ds_write_b32 v3, v1
	v_mov_b32_e32 v1, 0
	v_cmp_gt_u32_e32 vcc, s0, v0
	ds_write_b32 v3, v1 offset:2112
	s_waitcnt lgkmcnt(0)
	s_barrier
	s_and_saveexec_b64 s[0:1], vcc
	s_cbranch_execz .LBB204_18
; %bb.12:
	v_mbcnt_hi_u32_b32 v5, -1, v11
	v_and_b32_e32 v2, 64, v5
	s_cmp_lg_u64 s[12:13], 0
	v_add_u32_e32 v6, 64, v2
	v_cmp_eq_u32_e64 s[0:1], 0, v10
	s_cselect_b64 s[6:7], -1, 0
	v_xor_b32_e32 v2, 8, v5
	s_and_b64 s[6:7], s[0:1], s[6:7]
	v_cmp_lt_i32_e64 s[0:1], v2, v6
	v_xor_b32_e32 v3, 4, v5
	v_xor_b32_e32 v4, 2, v5
	v_cndmask_b32_e64 v2, v5, v2, s[0:1]
	v_cmp_lt_i32_e64 s[0:1], v3, v6
	v_xor_b32_e32 v7, 1, v5
	v_lshrrev_b32_e32 v8, 6, v0
	v_cndmask_b32_e64 v3, v5, v3, s[0:1]
	v_cmp_lt_i32_e64 s[0:1], v4, v6
	v_and_b32_e32 v0, 63, v0
	v_cmp_gt_u32_e32 vcc, 16, v0
	v_cndmask_b32_e64 v4, v5, v4, s[0:1]
	v_cmp_lt_i32_e64 s[0:1], v7, v6
	v_mul_u32_u24_e32 v0, 0x84, v0
	v_lshlrev_b32_e32 v6, 2, v8
	v_cndmask_b32_e64 v5, v5, v7, s[0:1]
	s_lshl_b64 s[0:1], s[2:3], 6
	s_add_u32 s0, s12, s0
	v_add3_u32 v6, v0, v6, 0
	v_lshlrev_b32_e32 v0, 1, v8
	s_addc_u32 s1, s13, s1
	s_mov_b64 s[4:5], 0
	v_lshlrev_b32_e32 v2, 2, v2
	v_lshlrev_b32_e32 v3, 2, v3
	;; [unrolled: 1-line block ×4, first 2 shown]
	v_add_u32_e32 v7, -8, v8
	v_lshl_add_u64 v[0:1], s[0:1], 0, v[0:1]
	s_movk_i32 s8, 0x7fff
	v_mov_b32_e32 v8, 0x7fc0
                                        ; implicit-def: $vgpr9
	s_branch .LBB204_14
.LBB204_13:                             ;   in Loop: Header=BB204_14 Depth=1
	s_or_b64 exec, exec, s[2:3]
	v_add_u32_e32 v7, 8, v7
	v_cmp_lt_u32_e64 s[0:1], 23, v7
	v_add_u32_e32 v6, 32, v6
	s_or_b64 s[4:5], s[0:1], s[4:5]
	v_lshl_add_u64 v[0:1], v[0:1], 0, 16
	s_andn2_b64 exec, exec, s[4:5]
	s_cbranch_execz .LBB204_18
.LBB204_14:                             ; =>This Inner Loop Header: Depth=1
	s_and_saveexec_b64 s[0:1], vcc
	s_cbranch_execz .LBB204_16
; %bb.15:                               ;   in Loop: Header=BB204_14 Depth=1
	ds_read_b32 v9, v6
.LBB204_16:                             ;   in Loop: Header=BB204_14 Depth=1
	s_or_b64 exec, exec, s[0:1]
	s_waitcnt lgkmcnt(0)
	ds_bpermute_b32 v10, v2, v9
	s_waitcnt lgkmcnt(0)
	v_add_f32_e32 v9, v9, v10
	ds_bpermute_b32 v10, v3, v9
	s_waitcnt lgkmcnt(0)
	v_add_f32_e32 v9, v9, v10
	;; [unrolled: 3-line block ×4, first 2 shown]
	s_and_saveexec_b64 s[2:3], s[6:7]
	s_cbranch_execz .LBB204_13
; %bb.17:                               ;   in Loop: Header=BB204_14 Depth=1
	v_bfe_u32 v10, v9, 16, 1
	v_add3_u32 v10, v9, v10, s8
	v_lshrrev_b32_e32 v10, 16, v10
	v_cmp_o_f32_e64 s[0:1], v9, v9
	s_nop 1
	v_cndmask_b32_e64 v10, v8, v10, s[0:1]
	global_store_short v[0:1], v10, off
	s_branch .LBB204_13
.LBB204_18:
	s_endpgm
	.section	.rodata,"a",@progbits
	.p2align	6, 0x0
	.amdhsa_kernel _ZN2at6native12_GLOBAL__N_135GammaBetaBackwardCUDAKernelTemplateIN3c108BFloat16EfLj32ELj16ELj128ELb0ELb1ELb1EEEvllPKT_S7_PKT0_SA_PS5_SB_
		.amdhsa_group_segment_fixed_size 0
		.amdhsa_private_segment_fixed_size 0
		.amdhsa_kernarg_size 320
		.amdhsa_user_sgpr_count 2
		.amdhsa_user_sgpr_dispatch_ptr 0
		.amdhsa_user_sgpr_queue_ptr 0
		.amdhsa_user_sgpr_kernarg_segment_ptr 1
		.amdhsa_user_sgpr_dispatch_id 0
		.amdhsa_user_sgpr_kernarg_preload_length 0
		.amdhsa_user_sgpr_kernarg_preload_offset 0
		.amdhsa_user_sgpr_private_segment_size 0
		.amdhsa_uses_dynamic_stack 0
		.amdhsa_enable_private_segment 0
		.amdhsa_system_sgpr_workgroup_id_x 1
		.amdhsa_system_sgpr_workgroup_id_y 1
		.amdhsa_system_sgpr_workgroup_id_z 0
		.amdhsa_system_sgpr_workgroup_info 0
		.amdhsa_system_vgpr_workitem_id 1
		.amdhsa_next_free_vgpr 49
		.amdhsa_next_free_sgpr 26
		.amdhsa_accum_offset 52
		.amdhsa_reserve_vcc 1
		.amdhsa_float_round_mode_32 0
		.amdhsa_float_round_mode_16_64 0
		.amdhsa_float_denorm_mode_32 3
		.amdhsa_float_denorm_mode_16_64 3
		.amdhsa_dx10_clamp 1
		.amdhsa_ieee_mode 1
		.amdhsa_fp16_overflow 0
		.amdhsa_tg_split 0
		.amdhsa_exception_fp_ieee_invalid_op 0
		.amdhsa_exception_fp_denorm_src 0
		.amdhsa_exception_fp_ieee_div_zero 0
		.amdhsa_exception_fp_ieee_overflow 0
		.amdhsa_exception_fp_ieee_underflow 0
		.amdhsa_exception_fp_ieee_inexact 0
		.amdhsa_exception_int_div_zero 0
	.end_amdhsa_kernel
	.section	.text._ZN2at6native12_GLOBAL__N_135GammaBetaBackwardCUDAKernelTemplateIN3c108BFloat16EfLj32ELj16ELj128ELb0ELb1ELb1EEEvllPKT_S7_PKT0_SA_PS5_SB_,"axG",@progbits,_ZN2at6native12_GLOBAL__N_135GammaBetaBackwardCUDAKernelTemplateIN3c108BFloat16EfLj32ELj16ELj128ELb0ELb1ELb1EEEvllPKT_S7_PKT0_SA_PS5_SB_,comdat
.Lfunc_end204:
	.size	_ZN2at6native12_GLOBAL__N_135GammaBetaBackwardCUDAKernelTemplateIN3c108BFloat16EfLj32ELj16ELj128ELb0ELb1ELb1EEEvllPKT_S7_PKT0_SA_PS5_SB_, .Lfunc_end204-_ZN2at6native12_GLOBAL__N_135GammaBetaBackwardCUDAKernelTemplateIN3c108BFloat16EfLj32ELj16ELj128ELb0ELb1ELb1EEEvllPKT_S7_PKT0_SA_PS5_SB_
                                        ; -- End function
	.section	.AMDGPU.csdata,"",@progbits
; Kernel info:
; codeLenInByte = 1484
; NumSgprs: 32
; NumVgprs: 49
; NumAgprs: 0
; TotalNumVgprs: 49
; ScratchSize: 0
; MemoryBound: 0
; FloatMode: 240
; IeeeMode: 1
; LDSByteSize: 0 bytes/workgroup (compile time only)
; SGPRBlocks: 3
; VGPRBlocks: 6
; NumSGPRsForWavesPerEU: 32
; NumVGPRsForWavesPerEU: 49
; AccumOffset: 52
; Occupancy: 8
; WaveLimiterHint : 0
; COMPUTE_PGM_RSRC2:SCRATCH_EN: 0
; COMPUTE_PGM_RSRC2:USER_SGPR: 2
; COMPUTE_PGM_RSRC2:TRAP_HANDLER: 0
; COMPUTE_PGM_RSRC2:TGID_X_EN: 1
; COMPUTE_PGM_RSRC2:TGID_Y_EN: 1
; COMPUTE_PGM_RSRC2:TGID_Z_EN: 0
; COMPUTE_PGM_RSRC2:TIDIG_COMP_CNT: 1
; COMPUTE_PGM_RSRC3_GFX90A:ACCUM_OFFSET: 12
; COMPUTE_PGM_RSRC3_GFX90A:TG_SPLIT: 0
	.section	.text._ZN2at6native12_GLOBAL__N_135GammaBetaBackwardCUDAKernelTemplateIN3c108BFloat16EfLj32ELj16ELj128ELb0ELb0ELb1EEEvllPKT_S7_PKT0_SA_PS5_SB_,"axG",@progbits,_ZN2at6native12_GLOBAL__N_135GammaBetaBackwardCUDAKernelTemplateIN3c108BFloat16EfLj32ELj16ELj128ELb0ELb0ELb1EEEvllPKT_S7_PKT0_SA_PS5_SB_,comdat
	.globl	_ZN2at6native12_GLOBAL__N_135GammaBetaBackwardCUDAKernelTemplateIN3c108BFloat16EfLj32ELj16ELj128ELb0ELb0ELb1EEEvllPKT_S7_PKT0_SA_PS5_SB_ ; -- Begin function _ZN2at6native12_GLOBAL__N_135GammaBetaBackwardCUDAKernelTemplateIN3c108BFloat16EfLj32ELj16ELj128ELb0ELb0ELb1EEEvllPKT_S7_PKT0_SA_PS5_SB_
	.p2align	8
	.type	_ZN2at6native12_GLOBAL__N_135GammaBetaBackwardCUDAKernelTemplateIN3c108BFloat16EfLj32ELj16ELj128ELb0ELb0ELb1EEEvllPKT_S7_PKT0_SA_PS5_SB_,@function
_ZN2at6native12_GLOBAL__N_135GammaBetaBackwardCUDAKernelTemplateIN3c108BFloat16EfLj32ELj16ELj128ELb0ELb0ELb1EEEvllPKT_S7_PKT0_SA_PS5_SB_: ; @_ZN2at6native12_GLOBAL__N_135GammaBetaBackwardCUDAKernelTemplateIN3c108BFloat16EfLj32ELj16ELj128ELb0ELb0ELb1EEEvllPKT_S7_PKT0_SA_PS5_SB_
; %bb.0:
	s_load_dwordx8 s[8:15], s[0:1], 0x0
	s_load_dwordx2 s[24:25], s[0:1], 0x28
	s_lshl_b32 s33, s2, 5
	s_or_b32 s26, s33, 31
	s_mov_b32 s27, 0
	s_waitcnt lgkmcnt(0)
	v_mov_b64_e32 v[2:3], s[10:11]
	v_cmp_ge_i64_e32 vcc, s[26:27], v[2:3]
	s_lshl_b32 s26, s3, 7
	v_mov_b64_e32 v[2:3], s[8:9]
	v_cmp_lt_i64_e64 s[4:5], s[26:27], v[2:3]
	s_nop 1
	v_cndmask_b32_e64 v1, 0, 1, s[4:5]
	v_cmp_ne_u32_e64 s[4:5], 1, v1
	s_cbranch_vccz .LBB205_49
; %bb.1:
	s_and_b64 vcc, exec, s[4:5]
	v_mov_b32_e32 v2, 0
	s_cbranch_vccnz .LBB205_50
; %bb.2:
	v_mov_b32_e32 v3, 0
	v_bfe_u32 v64, v0, 10, 10
	s_load_dword s3, s[0:1], 0x44
	v_lshlrev_b32_e32 v26, 3, v64
	v_mov_b32_e32 v27, v3
	v_and_b32_e32 v1, 0x3ff, v0
	v_lshl_add_u64 v[4:5], v[26:27], 0, s[26:27]
	v_add_u32_e32 v2, s33, v1
	v_lshl_add_u64 v[6:7], v[4:5], 0, 7
	s_add_u32 s28, s0, 64
	v_cmp_gt_i64_e64 s[6:7], s[10:11], v[2:3]
	v_lshlrev_b64 v[28:29], 1, v[2:3]
	v_mul_lo_u32 v2, s11, v6
	v_mul_lo_u32 v8, s10, v7
	v_mad_u64_u32 v[6:7], s[18:19], s10, v6, 0
	s_addc_u32 s29, s1, 0
	s_waitcnt lgkmcnt(0)
	s_lshl_b32 s3, s3, 7
	v_add3_u32 v7, v7, v8, v2
	v_lshlrev_b64 v[6:7], 1, v[6:7]
	s_mul_i32 s17, s11, s3
	s_mul_hi_u32 s18, s10, s3
	v_lshl_add_u64 v[30:31], s[12:13], 0, v[6:7]
	s_add_i32 s19, s18, s17
	s_mul_i32 s18, s10, s3
	v_lshl_add_u64 v[32:33], s[14:15], 0, v[6:7]
	v_lshl_add_u64 v[6:7], v[4:5], 0, 6
	s_lshl_b64 s[30:31], s[18:19], 1
	v_mul_lo_u32 v2, s11, v6
	v_mul_lo_u32 v8, s10, v7
	v_mad_u64_u32 v[6:7], s[18:19], s10, v6, 0
	v_add3_u32 v7, v7, v8, v2
	v_lshlrev_b64 v[6:7], 1, v[6:7]
	v_lshl_add_u64 v[34:35], s[12:13], 0, v[6:7]
	v_lshl_add_u64 v[36:37], s[14:15], 0, v[6:7]
	v_lshl_add_u64 v[6:7], v[4:5], 0, 5
	v_mul_lo_u32 v2, s11, v6
	v_mul_lo_u32 v8, s10, v7
	v_mad_u64_u32 v[6:7], s[18:19], s10, v6, 0
	v_add3_u32 v7, v7, v8, v2
	v_lshlrev_b64 v[6:7], 1, v[6:7]
	v_lshl_add_u64 v[38:39], s[12:13], 0, v[6:7]
	v_lshl_add_u64 v[40:41], s[14:15], 0, v[6:7]
	v_lshl_add_u64 v[6:7], v[4:5], 0, 4
	;; [unrolled: 8-line block ×4, first 2 shown]
	v_mul_lo_u32 v2, s11, v6
	v_mul_lo_u32 v8, s10, v7
	v_mad_u64_u32 v[6:7], s[18:19], s10, v6, 0
	v_add3_u32 v7, v7, v8, v2
	v_lshlrev_b64 v[6:7], 1, v[6:7]
	v_lshl_add_u64 v[50:51], s[12:13], 0, v[6:7]
	v_lshl_add_u64 v[52:53], s[14:15], 0, v[6:7]
	v_mov_b64_e32 v[6:7], s[10:11]
	v_mad_u64_u32 v[6:7], s[18:19], s10, v4, v[6:7]
	v_mul_lo_u32 v2, s10, v5
	v_mul_lo_u32 v8, s11, v4
	v_mad_u64_u32 v[4:5], s[18:19], s10, v4, 0
	v_add3_u32 v7, v8, v7, v2
	v_add3_u32 v5, v5, v2, v8
	v_mbcnt_lo_u32_b32 v2, -1, 0
	v_mbcnt_hi_u32_b32 v2, -1, v2
	v_lshlrev_b64 v[6:7], 1, v[6:7]
	s_add_u32 s34, s26, 0x7f
	v_lshlrev_b64 v[4:5], 1, v[4:5]
	s_movk_i32 s36, 0xff81
	s_movk_i32 s38, 0xff82
	;; [unrolled: 1-line block ×8, first 2 shown]
	v_lshlrev_b32_e32 v2, 2, v2
	s_mov_b32 s16, 0
	v_lshl_add_u64 v[54:55], s[12:13], 0, v[6:7]
	v_lshl_add_u64 v[56:57], s[14:15], 0, v[6:7]
	s_addc_u32 s35, 0, 0
	v_lshl_add_u64 v[58:59], s[12:13], 0, v[4:5]
	v_lshl_add_u64 v[60:61], s[14:15], 0, v[4:5]
	s_mov_b32 s37, -1
	s_mov_b32 s39, -1
	;; [unrolled: 1-line block ×8, first 2 shown]
	v_and_b32_e32 v65, 0x100, v2
	s_mov_b64 s[52:53], s[26:27]
	v_mov_b32_e32 v66, 0
.LBB205_3:                              ; =>This Inner Loop Header: Depth=1
	v_mov_b64_e32 v[4:5], s[8:9]
	v_cmp_ge_i64_e32 vcc, s[34:35], v[4:5]
	v_lshl_add_u64 v[62:63], v[26:27], 0, s[34:35]
	s_cbranch_vccz .LBB205_25
; %bb.4:                                ;   in Loop: Header=BB205_3 Depth=1
	s_load_dword s17, s[28:29], 0xc
	v_mov_b32_e32 v67, 0
	s_waitcnt lgkmcnt(0)
	s_and_b32 s17, s17, 0xffff
	v_mad_u32_u24 v2, v64, s17, v1
	v_and_b32_e32 v2, 63, v2
	v_cmp_gt_u32_e32 vcc, 8, v2
	s_and_saveexec_b64 s[18:19], vcc
	s_cbranch_execz .LBB205_8
; %bb.5:                                ;   in Loop: Header=BB205_3 Depth=1
	v_lshl_add_u64 v[4:5], v[62:63], 0, v[2:3]
	v_lshl_add_u64 v[4:5], v[4:5], 0, s[36:37]
	v_cmp_gt_i64_e32 vcc, s[8:9], v[4:5]
	v_mov_b32_e32 v67, 0
	s_and_saveexec_b64 s[20:21], vcc
	s_cbranch_execz .LBB205_7
; %bb.6:                                ;   in Loop: Header=BB205_3 Depth=1
	v_lshl_add_u64 v[4:5], v[4:5], 2, s[24:25]
	global_load_dword v67, v[4:5], off
.LBB205_7:                              ;   in Loop: Header=BB205_3 Depth=1
	s_or_b64 exec, exec, s[20:21]
.LBB205_8:                              ;   in Loop: Header=BB205_3 Depth=1
	s_or_b64 exec, exec, s[18:19]
	s_mov_b32 s17, s16
	s_mov_b32 s18, s16
	;; [unrolled: 1-line block ×7, first 2 shown]
	v_mov_b64_e32 v[10:11], s[16:17]
	v_lshl_add_u64 v[4:5], v[62:63], 0, s[36:37]
	v_mov_b64_e32 v[16:17], s[22:23]
	v_cmp_gt_i64_e32 vcc, s[8:9], v[4:5]
	v_mov_b64_e32 v[12:13], s[18:19]
	v_mov_b64_e32 v[14:15], s[20:21]
	;; [unrolled: 1-line block ×3, first 2 shown]
	s_and_b64 s[54:55], s[6:7], vcc
	v_mov_b64_e32 v[22:23], v[14:15]
	v_mov_b64_e32 v[20:21], v[12:13]
	;; [unrolled: 1-line block ×3, first 2 shown]
	s_and_saveexec_b64 s[18:19], s[54:55]
	s_cbranch_execz .LBB205_10
; %bb.9:                                ;   in Loop: Header=BB205_3 Depth=1
	v_lshl_add_u64 v[4:5], v[58:59], 0, v[28:29]
	global_load_ushort v2, v[4:5], off
	v_lshl_add_u64 v[4:5], v[60:61], 0, v[28:29]
	global_load_ushort v10, v[4:5], off
	v_mov_b32_e32 v8, v3
	v_mov_b32_e32 v9, v3
	;; [unrolled: 1-line block ×13, first 2 shown]
	s_waitcnt vmcnt(1)
	v_lshlrev_b32_e32 v2, 16, v2
	v_mov_b64_e32 v[24:25], v[8:9]
	s_waitcnt vmcnt(0)
	v_lshlrev_b32_e32 v10, 16, v10
	v_mov_b64_e32 v[22:23], v[6:7]
	v_mov_b64_e32 v[20:21], v[4:5]
	;; [unrolled: 1-line block ×3, first 2 shown]
.LBB205_10:                             ;   in Loop: Header=BB205_3 Depth=1
	s_or_b64 exec, exec, s[18:19]
	v_lshl_add_u64 v[4:5], v[62:63], 0, s[38:39]
	v_cmp_gt_i64_e32 vcc, s[8:9], v[4:5]
	s_and_b64 s[20:21], s[6:7], vcc
	s_and_saveexec_b64 s[18:19], s[20:21]
	s_cbranch_execz .LBB205_12
; %bb.11:                               ;   in Loop: Header=BB205_3 Depth=1
	v_lshl_add_u64 v[4:5], v[54:55], 0, v[28:29]
	global_load_ushort v2, v[4:5], off
	v_lshl_add_u64 v[4:5], v[56:57], 0, v[28:29]
	global_load_ushort v4, v[4:5], off
	s_waitcnt vmcnt(1)
	v_lshlrev_b32_e32 v19, 16, v2
	s_waitcnt vmcnt(0)
	v_lshlrev_b32_e32 v11, 16, v4
.LBB205_12:                             ;   in Loop: Header=BB205_3 Depth=1
	s_or_b64 exec, exec, s[18:19]
	v_lshl_add_u64 v[4:5], v[62:63], 0, s[40:41]
	v_cmp_gt_i64_e32 vcc, s[8:9], v[4:5]
	s_and_b64 s[20:21], s[6:7], vcc
	s_and_saveexec_b64 s[18:19], s[20:21]
	s_cbranch_execz .LBB205_14
; %bb.13:                               ;   in Loop: Header=BB205_3 Depth=1
	v_lshl_add_u64 v[4:5], v[50:51], 0, v[28:29]
	global_load_ushort v2, v[4:5], off
	v_lshl_add_u64 v[4:5], v[52:53], 0, v[28:29]
	global_load_ushort v4, v[4:5], off
	s_waitcnt vmcnt(1)
	v_lshlrev_b32_e32 v20, 16, v2
	s_waitcnt vmcnt(0)
	v_lshlrev_b32_e32 v12, 16, v4
.LBB205_14:                             ;   in Loop: Header=BB205_3 Depth=1
	;; [unrolled: 16-line block ×7, first 2 shown]
	s_or_b64 exec, exec, s[18:19]
	s_waitcnt vmcnt(0)
	ds_bpermute_b32 v4, v65, v67 offset:4
	ds_bpermute_b32 v5, v65, v67 offset:8
	ds_bpermute_b32 v2, v65, v67
	v_mul_f32_e32 v8, v10, v18
	v_pk_mul_f32 v[10:11], v[10:11], v[18:19]
	v_pk_mul_f32 v[12:13], v[12:13], v[20:21]
	v_mov_b32_e32 v10, v11
	v_mov_b32_e32 v11, v12
	s_waitcnt lgkmcnt(1)
	v_pk_mul_f32 v[4:5], v[10:11], v[4:5]
	ds_bpermute_b32 v10, v65, v67 offset:12
	ds_bpermute_b32 v11, v65, v67 offset:16
	s_waitcnt lgkmcnt(2)
	v_fma_f32 v2, v8, v2, v66
	v_pk_mul_f32 v[8:9], v[14:15], v[22:23]
	v_add_f32_e32 v2, v2, v4
	v_add_f32_e32 v2, v2, v5
	v_mov_b32_e32 v4, v13
	v_mov_b32_e32 v5, v8
	s_waitcnt lgkmcnt(0)
	v_pk_mul_f32 v[4:5], v[4:5], v[10:11]
	ds_bpermute_b32 v10, v65, v67 offset:20
	ds_bpermute_b32 v11, v65, v67 offset:24
	v_pk_mul_f32 v[6:7], v[16:17], v[24:25]
	v_add_f32_e32 v2, v2, v4
	ds_bpermute_b32 v4, v65, v67 offset:28
	v_mov_b32_e32 v8, v9
	v_mov_b32_e32 v9, v6
	v_add_f32_e32 v2, v2, v5
	s_waitcnt lgkmcnt(1)
	v_pk_mul_f32 v[6:7], v[8:9], v[10:11]
	s_nop 0
	v_add_f32_e32 v2, v2, v6
	v_add_f32_e32 v2, v2, v7
	s_branch .LBB205_40
.LBB205_25:                             ;   in Loop: Header=BB205_3 Depth=1
                                        ; implicit-def: $vgpr2
                                        ; implicit-def: $vgpr10_vgpr11_vgpr12_vgpr13_vgpr14_vgpr15_vgpr16_vgpr17
                                        ; implicit-def: $vgpr18_vgpr19_vgpr20_vgpr21_vgpr22_vgpr23_vgpr24_vgpr25
                                        ; implicit-def: $vgpr4
	s_cbranch_execz .LBB205_40
; %bb.26:                               ;   in Loop: Header=BB205_3 Depth=1
	s_load_dword s17, s[28:29], 0x0
	v_mov_b32_e32 v67, 0
	s_waitcnt lgkmcnt(0)
	s_cmp_lt_u32 s2, s17
	s_cselect_b32 s17, 12, 18
	s_add_u32 s18, s28, s17
	s_addc_u32 s19, s29, 0
	global_load_ushort v2, v3, s[18:19]
	s_waitcnt vmcnt(0)
	v_mad_u32_u24 v2, v64, v2, v1
	v_and_b32_e32 v2, 63, v2
	v_cmp_gt_u32_e32 vcc, 8, v2
	s_and_saveexec_b64 s[18:19], vcc
	s_cbranch_execz .LBB205_30
; %bb.27:                               ;   in Loop: Header=BB205_3 Depth=1
	v_lshl_add_u64 v[4:5], v[62:63], 0, v[2:3]
	v_lshl_add_u64 v[4:5], v[4:5], 0, s[36:37]
	v_cmp_gt_i64_e32 vcc, s[8:9], v[4:5]
	v_mov_b32_e32 v67, 0
	s_and_saveexec_b64 s[20:21], vcc
	s_cbranch_execz .LBB205_29
; %bb.28:                               ;   in Loop: Header=BB205_3 Depth=1
	v_lshl_add_u64 v[4:5], v[4:5], 2, s[24:25]
	global_load_dword v67, v[4:5], off
.LBB205_29:                             ;   in Loop: Header=BB205_3 Depth=1
	s_or_b64 exec, exec, s[20:21]
.LBB205_30:                             ;   in Loop: Header=BB205_3 Depth=1
	s_or_b64 exec, exec, s[18:19]
	s_mov_b32 s17, s16
	s_mov_b32 s18, s16
	;; [unrolled: 1-line block ×7, first 2 shown]
	v_mov_b64_e32 v[10:11], s[16:17]
	v_mov_b64_e32 v[16:17], s[22:23]
	;; [unrolled: 1-line block ×8, first 2 shown]
	s_and_saveexec_b64 s[18:19], s[6:7]
	s_cbranch_execnz .LBB205_42
; %bb.31:                               ;   in Loop: Header=BB205_3 Depth=1
	s_or_b64 exec, exec, s[18:19]
	s_and_saveexec_b64 s[18:19], s[6:7]
	s_cbranch_execnz .LBB205_43
.LBB205_32:                             ;   in Loop: Header=BB205_3 Depth=1
	s_or_b64 exec, exec, s[18:19]
	s_and_saveexec_b64 s[18:19], s[6:7]
	s_cbranch_execnz .LBB205_44
.LBB205_33:                             ;   in Loop: Header=BB205_3 Depth=1
	s_or_b64 exec, exec, s[18:19]
	s_and_saveexec_b64 s[18:19], s[6:7]
	s_cbranch_execnz .LBB205_45
.LBB205_34:                             ;   in Loop: Header=BB205_3 Depth=1
	s_or_b64 exec, exec, s[18:19]
	s_and_saveexec_b64 s[18:19], s[6:7]
	s_cbranch_execnz .LBB205_46
.LBB205_35:                             ;   in Loop: Header=BB205_3 Depth=1
	s_or_b64 exec, exec, s[18:19]
	s_and_saveexec_b64 s[18:19], s[6:7]
	s_cbranch_execnz .LBB205_47
.LBB205_36:                             ;   in Loop: Header=BB205_3 Depth=1
	s_or_b64 exec, exec, s[18:19]
	s_and_saveexec_b64 s[18:19], s[6:7]
	s_cbranch_execnz .LBB205_48
.LBB205_37:                             ;   in Loop: Header=BB205_3 Depth=1
	s_or_b64 exec, exec, s[18:19]
	s_and_saveexec_b64 s[18:19], s[6:7]
	s_cbranch_execz .LBB205_39
.LBB205_38:                             ;   in Loop: Header=BB205_3 Depth=1
	v_lshl_add_u64 v[4:5], v[30:31], 0, v[28:29]
	global_load_ushort v2, v[4:5], off
	v_lshl_add_u64 v[4:5], v[32:33], 0, v[28:29]
	global_load_ushort v4, v[4:5], off
	s_waitcnt vmcnt(1)
	v_lshlrev_b32_e32 v25, 16, v2
	s_waitcnt vmcnt(0)
	v_lshlrev_b32_e32 v17, 16, v4
.LBB205_39:                             ;   in Loop: Header=BB205_3 Depth=1
	s_or_b64 exec, exec, s[18:19]
	s_waitcnt vmcnt(0)
	ds_bpermute_b32 v4, v65, v67 offset:4
	ds_bpermute_b32 v5, v65, v67 offset:8
	ds_bpermute_b32 v2, v65, v67
	v_mul_f32_e32 v8, v10, v18
	v_pk_mul_f32 v[10:11], v[10:11], v[18:19]
	v_pk_mul_f32 v[12:13], v[12:13], v[20:21]
	v_mov_b32_e32 v10, v11
	v_mov_b32_e32 v11, v12
	s_waitcnt lgkmcnt(1)
	v_pk_mul_f32 v[4:5], v[10:11], v[4:5]
	ds_bpermute_b32 v10, v65, v67 offset:12
	ds_bpermute_b32 v11, v65, v67 offset:16
	s_waitcnt lgkmcnt(2)
	v_fmac_f32_e32 v66, v8, v2
	v_pk_mul_f32 v[8:9], v[14:15], v[22:23]
	v_add_f32_e32 v2, v66, v4
	v_add_f32_e32 v2, v2, v5
	v_mov_b32_e32 v4, v13
	v_mov_b32_e32 v5, v8
	s_waitcnt lgkmcnt(0)
	v_pk_mul_f32 v[4:5], v[4:5], v[10:11]
	ds_bpermute_b32 v10, v65, v67 offset:20
	ds_bpermute_b32 v11, v65, v67 offset:24
	v_pk_mul_f32 v[6:7], v[16:17], v[24:25]
	v_add_f32_e32 v2, v2, v4
	v_mov_b32_e32 v8, v9
	v_mov_b32_e32 v9, v6
	v_add_f32_e32 v2, v2, v5
	s_waitcnt lgkmcnt(0)
	v_pk_mul_f32 v[6:7], v[8:9], v[10:11]
	ds_bpermute_b32 v4, v65, v67 offset:28
	v_add_f32_e32 v2, v2, v6
	v_add_f32_e32 v2, v2, v7
.LBB205_40:                             ;   in Loop: Header=BB205_3 Depth=1
	v_mul_f32_e32 v5, v25, v17
	s_add_u32 s52, s52, s3
	s_waitcnt lgkmcnt(0)
	v_fmac_f32_e32 v2, v5, v4
	s_addc_u32 s53, s53, 0
	v_mov_b64_e32 v[4:5], s[8:9]
	s_add_u32 s34, s34, s3
	v_cmp_lt_i64_e32 vcc, s[52:53], v[4:5]
	v_lshl_add_u64 v[30:31], v[30:31], 0, s[30:31]
	v_lshl_add_u64 v[32:33], v[32:33], 0, s[30:31]
	;; [unrolled: 1-line block ×14, first 2 shown]
	s_addc_u32 s35, s35, 0
	v_lshl_add_u64 v[58:59], v[58:59], 0, s[30:31]
	v_lshl_add_u64 v[60:61], v[60:61], 0, s[30:31]
	s_cbranch_vccz .LBB205_50
; %bb.41:                               ;   in Loop: Header=BB205_3 Depth=1
	v_mov_b32_e32 v66, v2
	s_branch .LBB205_3
.LBB205_42:                             ;   in Loop: Header=BB205_3 Depth=1
	v_lshl_add_u64 v[4:5], v[58:59], 0, v[28:29]
	global_load_ushort v2, v[4:5], off
	v_lshl_add_u64 v[4:5], v[60:61], 0, v[28:29]
	global_load_ushort v10, v[4:5], off
	v_mov_b32_e32 v8, v3
	v_mov_b32_e32 v9, v3
	;; [unrolled: 1-line block ×13, first 2 shown]
	s_waitcnt vmcnt(1)
	v_lshlrev_b32_e32 v2, 16, v2
	v_mov_b64_e32 v[24:25], v[8:9]
	s_waitcnt vmcnt(0)
	v_lshlrev_b32_e32 v10, 16, v10
	v_mov_b64_e32 v[22:23], v[6:7]
	v_mov_b64_e32 v[20:21], v[4:5]
	;; [unrolled: 1-line block ×3, first 2 shown]
	s_or_b64 exec, exec, s[18:19]
	s_and_saveexec_b64 s[18:19], s[6:7]
	s_cbranch_execz .LBB205_32
.LBB205_43:                             ;   in Loop: Header=BB205_3 Depth=1
	v_lshl_add_u64 v[4:5], v[54:55], 0, v[28:29]
	global_load_ushort v2, v[4:5], off
	v_lshl_add_u64 v[4:5], v[56:57], 0, v[28:29]
	global_load_ushort v4, v[4:5], off
	s_waitcnt vmcnt(1)
	v_lshlrev_b32_e32 v19, 16, v2
	s_waitcnt vmcnt(0)
	v_lshlrev_b32_e32 v11, 16, v4
	s_or_b64 exec, exec, s[18:19]
	s_and_saveexec_b64 s[18:19], s[6:7]
	s_cbranch_execz .LBB205_33
.LBB205_44:                             ;   in Loop: Header=BB205_3 Depth=1
	v_lshl_add_u64 v[4:5], v[50:51], 0, v[28:29]
	global_load_ushort v2, v[4:5], off
	v_lshl_add_u64 v[4:5], v[52:53], 0, v[28:29]
	global_load_ushort v4, v[4:5], off
	s_waitcnt vmcnt(1)
	v_lshlrev_b32_e32 v20, 16, v2
	s_waitcnt vmcnt(0)
	v_lshlrev_b32_e32 v12, 16, v4
	s_or_b64 exec, exec, s[18:19]
	s_and_saveexec_b64 s[18:19], s[6:7]
	s_cbranch_execz .LBB205_34
.LBB205_45:                             ;   in Loop: Header=BB205_3 Depth=1
	v_lshl_add_u64 v[4:5], v[46:47], 0, v[28:29]
	global_load_ushort v2, v[4:5], off
	v_lshl_add_u64 v[4:5], v[48:49], 0, v[28:29]
	global_load_ushort v4, v[4:5], off
	s_waitcnt vmcnt(1)
	v_lshlrev_b32_e32 v21, 16, v2
	s_waitcnt vmcnt(0)
	v_lshlrev_b32_e32 v13, 16, v4
	s_or_b64 exec, exec, s[18:19]
	s_and_saveexec_b64 s[18:19], s[6:7]
	s_cbranch_execz .LBB205_35
.LBB205_46:                             ;   in Loop: Header=BB205_3 Depth=1
	v_lshl_add_u64 v[4:5], v[42:43], 0, v[28:29]
	global_load_ushort v2, v[4:5], off
	v_lshl_add_u64 v[4:5], v[44:45], 0, v[28:29]
	global_load_ushort v4, v[4:5], off
	s_waitcnt vmcnt(1)
	v_lshlrev_b32_e32 v22, 16, v2
	s_waitcnt vmcnt(0)
	v_lshlrev_b32_e32 v14, 16, v4
	s_or_b64 exec, exec, s[18:19]
	s_and_saveexec_b64 s[18:19], s[6:7]
	s_cbranch_execz .LBB205_36
.LBB205_47:                             ;   in Loop: Header=BB205_3 Depth=1
	v_lshl_add_u64 v[4:5], v[38:39], 0, v[28:29]
	global_load_ushort v2, v[4:5], off
	v_lshl_add_u64 v[4:5], v[40:41], 0, v[28:29]
	global_load_ushort v4, v[4:5], off
	s_waitcnt vmcnt(1)
	v_lshlrev_b32_e32 v23, 16, v2
	s_waitcnt vmcnt(0)
	v_lshlrev_b32_e32 v15, 16, v4
	s_or_b64 exec, exec, s[18:19]
	s_and_saveexec_b64 s[18:19], s[6:7]
	s_cbranch_execz .LBB205_37
.LBB205_48:                             ;   in Loop: Header=BB205_3 Depth=1
	v_lshl_add_u64 v[4:5], v[34:35], 0, v[28:29]
	global_load_ushort v2, v[4:5], off
	v_lshl_add_u64 v[4:5], v[36:37], 0, v[28:29]
	global_load_ushort v4, v[4:5], off
	s_waitcnt vmcnt(1)
	v_lshlrev_b32_e32 v24, 16, v2
	s_waitcnt vmcnt(0)
	v_lshlrev_b32_e32 v16, 16, v4
	s_or_b64 exec, exec, s[18:19]
	s_and_saveexec_b64 s[18:19], s[6:7]
	s_cbranch_execnz .LBB205_38
	s_branch .LBB205_39
.LBB205_49:
                                        ; implicit-def: $vgpr2
	s_branch .LBB205_51
.LBB205_50:
	s_cbranch_execnz .LBB205_83
.LBB205_51:
	s_and_b64 vcc, exec, s[4:5]
	v_mov_b32_e32 v2, 0
	s_cbranch_vccnz .LBB205_83
; %bb.52:
	v_and_b32_e32 v1, 0x3ff, v0
	v_add_u32_e32 v2, s33, v1
	v_mov_b32_e32 v3, 0
	v_bfe_u32 v92, v0, 10, 10
	v_lshlrev_b64 v[28:29], 1, v[2:3]
	v_lshlrev_b32_e32 v2, 4, v92
	v_lshl_add_u64 v[4:5], s[26:27], 1, v[2:3]
	v_lshl_add_u64 v[6:7], v[4:5], 0, 2
	v_mov_b64_e32 v[8:9], s[12:13]
	v_lshl_add_u64 v[10:11], v[4:5], 0, 4
	v_lshl_add_u64 v[12:13], v[4:5], 0, 6
	;; [unrolled: 1-line block ×6, first 2 shown]
	v_mad_u64_u32 v[30:31], s[4:5], s10, v6, v[8:9]
	v_mad_u64_u32 v[32:33], s[4:5], s10, v10, v[8:9]
	;; [unrolled: 1-line block ×7, first 2 shown]
	v_mov_b64_e32 v[8:9], s[14:15]
	v_lshlrev_b32_e32 v26, 3, v92
	v_mov_b32_e32 v27, v3
	v_mul_lo_u32 v2, s10, v7
	v_mul_lo_u32 v7, s11, v6
	v_mad_u64_u32 v[44:45], s[4:5], s10, v6, v[8:9]
	v_add3_u32 v31, v7, v31, v2
	v_mul_lo_u32 v5, s10, v5
	v_mul_lo_u32 v25, s11, v4
	v_add3_u32 v45, v7, v45, v2
	v_lshl_add_u64 v[6:7], v[26:27], 0, s[26:27]
	v_mad_u64_u32 v[56:57], s[4:5], s10, v4, v[8:9]
	v_add3_u32 v43, v25, v43, v5
	v_add3_u32 v57, v25, v57, v5
	v_lshl_add_u64 v[4:5], v[6:7], 0, 7
	v_mad_u64_u32 v[46:47], s[4:5], s10, v10, v[8:9]
	v_mad_u64_u32 v[48:49], s[4:5], s10, v12, v[8:9]
	;; [unrolled: 1-line block ×5, first 2 shown]
	v_mul_lo_u32 v8, s11, v4
	v_mul_lo_u32 v9, s10, v5
	v_mad_u64_u32 v[4:5], s[4:5], s10, v4, 0
	v_mul_lo_u32 v11, s10, v11
	v_mul_lo_u32 v20, s11, v10
	v_add3_u32 v5, v5, v9, v8
	v_lshl_add_u64 v[8:9], v[6:7], 0, 6
	v_add3_u32 v33, v20, v33, v11
	v_add3_u32 v47, v20, v47, v11
	v_mul_lo_u32 v10, s11, v8
	v_mul_lo_u32 v11, s10, v9
	v_mad_u64_u32 v[8:9], s[4:5], s10, v8, 0
	v_mul_lo_u32 v13, s10, v13
	v_mul_lo_u32 v21, s11, v12
	v_add3_u32 v9, v9, v11, v10
	v_lshl_add_u64 v[10:11], v[6:7], 0, 5
	v_add3_u32 v35, v21, v35, v13
	v_add3_u32 v49, v21, v49, v13
	;; [unrolled: 9-line block ×4, first 2 shown]
	v_mul_lo_u32 v16, s11, v14
	v_mul_lo_u32 v17, s10, v15
	v_mad_u64_u32 v[14:15], s[4:5], s10, v14, 0
	v_mul_lo_u32 v19, s10, v19
	v_mul_lo_u32 v24, s11, v18
	v_add3_u32 v15, v15, v17, v16
	v_lshl_add_u64 v[16:17], v[6:7], 0, 2
	s_load_dword s3, s[0:1], 0x44
	v_lshlrev_b64 v[4:5], 1, v[4:5]
	v_add3_u32 v41, v24, v41, v19
	v_add3_u32 v55, v24, v55, v19
	v_mul_lo_u32 v18, s11, v16
	v_mul_lo_u32 v19, s10, v17
	v_mad_u64_u32 v[16:17], s[4:5], s10, v16, 0
	v_lshl_add_u64 v[62:63], s[12:13], 0, v[4:5]
	v_lshl_add_u64 v[64:65], s[14:15], 0, v[4:5]
	v_lshlrev_b64 v[4:5], 1, v[8:9]
	v_add3_u32 v17, v17, v19, v18
	v_mov_b64_e32 v[18:19], s[10:11]
	v_lshl_add_u64 v[66:67], s[12:13], 0, v[4:5]
	v_lshl_add_u64 v[68:69], s[14:15], 0, v[4:5]
	v_lshlrev_b64 v[4:5], 1, v[10:11]
	v_mul_lo_u32 v2, s11, v6
	v_mad_u64_u32 v[18:19], s[4:5], s10, v6, v[18:19]
	v_mul_lo_u32 v20, s10, v7
	v_mad_u64_u32 v[6:7], s[4:5], s10, v6, 0
	v_lshl_add_u64 v[70:71], s[12:13], 0, v[4:5]
	v_lshl_add_u64 v[72:73], s[14:15], 0, v[4:5]
	v_lshlrev_b64 v[4:5], 1, v[12:13]
	s_add_u32 s4, s0, 64
	v_lshl_add_u64 v[74:75], s[12:13], 0, v[4:5]
	v_lshl_add_u64 v[76:77], s[14:15], 0, v[4:5]
	v_lshlrev_b64 v[4:5], 1, v[14:15]
	v_add3_u32 v7, v7, v20, v2
	v_add3_u32 v19, v2, v19, v20
	s_addc_u32 s5, s1, 0
	s_waitcnt lgkmcnt(0)
	s_lshl_b32 s3, s3, 7
	v_lshl_add_u64 v[78:79], s[12:13], 0, v[4:5]
	v_lshl_add_u64 v[80:81], s[14:15], 0, v[4:5]
	v_lshlrev_b64 v[4:5], 1, v[16:17]
	v_mbcnt_lo_u32_b32 v2, -1, 0
	s_add_u32 s6, s26, 0x7f
	s_mul_i32 s17, s11, s3
	s_mul_hi_u32 s18, s10, s3
	v_lshlrev_b64 v[6:7], 1, v[6:7]
	v_lshl_add_u64 v[82:83], s[12:13], 0, v[4:5]
	v_lshl_add_u64 v[84:85], s[14:15], 0, v[4:5]
	v_lshlrev_b64 v[4:5], 1, v[18:19]
	v_mbcnt_hi_u32_b32 v2, -1, v2
	s_addc_u32 s7, 0, 0
	s_add_i32 s19, s18, s17
	s_mul_i32 s18, s10, s3
	v_lshl_add_u64 v[58:59], s[12:13], 0, v[6:7]
	v_lshl_add_u64 v[60:61], s[14:15], 0, v[6:7]
	;; [unrolled: 1-line block ×4, first 2 shown]
	s_movk_i32 s12, 0xff81
	s_movk_i32 s14, 0xff82
	;; [unrolled: 1-line block ×8, first 2 shown]
	v_lshlrev_b32_e32 v2, 2, v2
	s_mov_b32 s16, 0
	s_lshl_b64 s[28:29], s[18:19], 1
	s_mov_b32 s13, -1
	s_mov_b32 s15, -1
	;; [unrolled: 1-line block ×8, first 2 shown]
	v_and_b32_e32 v93, 0x100, v2
	v_mov_b32_e32 v94, 0
.LBB205_53:                             ; =>This Inner Loop Header: Depth=1
	v_mov_b64_e32 v[4:5], s[8:9]
	v_cmp_ge_i64_e32 vcc, s[6:7], v[4:5]
	v_lshl_add_u64 v[90:91], v[26:27], 0, s[6:7]
	s_cbranch_vccz .LBB205_75
; %bb.54:                               ;   in Loop: Header=BB205_53 Depth=1
	s_load_dword s17, s[4:5], 0xc
	v_mov_b32_e32 v95, 0
	s_waitcnt lgkmcnt(0)
	s_and_b32 s17, s17, 0xffff
	v_mad_u32_u24 v2, v92, s17, v1
	v_and_b32_e32 v2, 63, v2
	v_cmp_gt_u32_e32 vcc, 8, v2
	s_and_saveexec_b64 s[18:19], vcc
	s_cbranch_execz .LBB205_58
; %bb.55:                               ;   in Loop: Header=BB205_53 Depth=1
	v_lshl_add_u64 v[4:5], v[90:91], 0, v[2:3]
	v_lshl_add_u64 v[4:5], v[4:5], 0, s[12:13]
	v_cmp_gt_i64_e32 vcc, s[8:9], v[4:5]
	v_mov_b32_e32 v95, 0
	s_and_saveexec_b64 s[20:21], vcc
	s_cbranch_execz .LBB205_57
; %bb.56:                               ;   in Loop: Header=BB205_53 Depth=1
	v_lshl_add_u64 v[4:5], v[4:5], 2, s[24:25]
	global_load_dword v95, v[4:5], off
.LBB205_57:                             ;   in Loop: Header=BB205_53 Depth=1
	s_or_b64 exec, exec, s[20:21]
.LBB205_58:                             ;   in Loop: Header=BB205_53 Depth=1
	s_or_b64 exec, exec, s[18:19]
	s_mov_b32 s17, s16
	s_mov_b32 s18, s16
	;; [unrolled: 1-line block ×7, first 2 shown]
	v_mov_b64_e32 v[10:11], s[16:17]
	v_mov_b64_e32 v[16:17], s[22:23]
	v_lshl_add_u64 v[4:5], v[90:91], 0, s[12:13]
	v_mov_b64_e32 v[12:13], s[18:19]
	v_mov_b64_e32 v[14:15], s[20:21]
	;; [unrolled: 1-line block ×3, first 2 shown]
	v_cmp_gt_i64_e32 vcc, s[8:9], v[4:5]
	v_mov_b64_e32 v[22:23], v[14:15]
	v_mov_b64_e32 v[20:21], v[12:13]
	;; [unrolled: 1-line block ×3, first 2 shown]
	s_and_saveexec_b64 s[18:19], vcc
	s_cbranch_execz .LBB205_60
; %bb.59:                               ;   in Loop: Header=BB205_53 Depth=1
	v_lshl_add_u64 v[4:5], v[58:59], 0, v[28:29]
	global_load_ushort v2, v[4:5], off
	v_lshl_add_u64 v[4:5], v[60:61], 0, v[28:29]
	global_load_ushort v10, v[4:5], off
	v_mov_b32_e32 v8, v3
	v_mov_b32_e32 v9, v3
	;; [unrolled: 1-line block ×13, first 2 shown]
	s_waitcnt vmcnt(1)
	v_lshlrev_b32_e32 v2, 16, v2
	v_mov_b64_e32 v[24:25], v[8:9]
	s_waitcnt vmcnt(0)
	v_lshlrev_b32_e32 v10, 16, v10
	v_mov_b64_e32 v[22:23], v[6:7]
	v_mov_b64_e32 v[20:21], v[4:5]
	;; [unrolled: 1-line block ×3, first 2 shown]
.LBB205_60:                             ;   in Loop: Header=BB205_53 Depth=1
	s_or_b64 exec, exec, s[18:19]
	v_lshl_add_u64 v[4:5], v[90:91], 0, s[14:15]
	v_cmp_gt_i64_e32 vcc, s[8:9], v[4:5]
	s_and_saveexec_b64 s[18:19], vcc
	s_cbranch_execz .LBB205_62
; %bb.61:                               ;   in Loop: Header=BB205_53 Depth=1
	v_lshl_add_u64 v[4:5], v[86:87], 0, v[28:29]
	global_load_ushort v2, v[4:5], off
	v_lshl_add_u64 v[4:5], v[88:89], 0, v[28:29]
	global_load_ushort v4, v[4:5], off
	s_waitcnt vmcnt(1)
	v_lshlrev_b32_e32 v19, 16, v2
	s_waitcnt vmcnt(0)
	v_lshlrev_b32_e32 v11, 16, v4
.LBB205_62:                             ;   in Loop: Header=BB205_53 Depth=1
	s_or_b64 exec, exec, s[18:19]
	v_lshl_add_u64 v[4:5], v[90:91], 0, s[30:31]
	v_cmp_gt_i64_e32 vcc, s[8:9], v[4:5]
	s_and_saveexec_b64 s[18:19], vcc
	s_cbranch_execz .LBB205_64
; %bb.63:                               ;   in Loop: Header=BB205_53 Depth=1
	v_lshl_add_u64 v[4:5], v[82:83], 0, v[28:29]
	global_load_ushort v2, v[4:5], off
	v_lshl_add_u64 v[4:5], v[84:85], 0, v[28:29]
	global_load_ushort v4, v[4:5], off
	s_waitcnt vmcnt(1)
	v_lshlrev_b32_e32 v20, 16, v2
	s_waitcnt vmcnt(0)
	v_lshlrev_b32_e32 v12, 16, v4
.LBB205_64:                             ;   in Loop: Header=BB205_53 Depth=1
	;; [unrolled: 15-line block ×7, first 2 shown]
	s_or_b64 exec, exec, s[18:19]
	s_waitcnt vmcnt(0)
	ds_bpermute_b32 v4, v93, v95
	ds_bpermute_b32 v5, v93, v95 offset:4
	v_pk_mul_f32 v[8:9], v[14:15], v[22:23]
	ds_bpermute_b32 v14, v93, v95 offset:8
	ds_bpermute_b32 v15, v93, v95 offset:12
	v_pk_mul_f32 v[10:11], v[10:11], v[18:19]
	v_pk_mul_f32 v[12:13], v[12:13], v[20:21]
	s_waitcnt lgkmcnt(2)
	v_pk_mul_f32 v[4:5], v[10:11], v[4:5]
	ds_bpermute_b32 v10, v93, v95 offset:16
	ds_bpermute_b32 v11, v93, v95 offset:20
	v_add_f32_e32 v2, v94, v4
	v_add_f32_e32 v2, v2, v5
	s_waitcnt lgkmcnt(2)
	v_pk_mul_f32 v[4:5], v[12:13], v[14:15]
	ds_bpermute_b32 v12, v93, v95 offset:24
	ds_bpermute_b32 v13, v93, v95 offset:28
	v_add_f32_e32 v2, v2, v4
	v_add_f32_e32 v2, v2, v5
	s_waitcnt lgkmcnt(2)
	v_pk_mul_f32 v[4:5], v[8:9], v[10:11]
	v_pk_mul_f32 v[6:7], v[16:17], v[24:25]
	v_add_f32_e32 v2, v2, v4
	v_add_f32_e32 v2, v2, v5
	s_waitcnt lgkmcnt(0)
	v_pk_mul_f32 v[4:5], v[6:7], v[12:13]
	s_nop 0
	v_add_f32_e32 v2, v2, v4
	v_add_f32_e32 v2, v2, v5
	s_branch .LBB205_81
.LBB205_75:                             ;   in Loop: Header=BB205_53 Depth=1
                                        ; implicit-def: $vgpr2
	s_cbranch_execz .LBB205_81
; %bb.76:                               ;   in Loop: Header=BB205_53 Depth=1
	s_load_dword s17, s[4:5], 0x0
	v_mov_b32_e32 v6, 0
	s_waitcnt lgkmcnt(0)
	s_cmp_lt_u32 s2, s17
	s_cselect_b32 s17, 12, 18
	s_add_u32 s18, s4, s17
	s_addc_u32 s19, s5, 0
	global_load_ushort v2, v3, s[18:19]
	s_waitcnt vmcnt(0)
	v_mad_u32_u24 v2, v92, v2, v1
	v_and_b32_e32 v2, 63, v2
	v_cmp_gt_u32_e32 vcc, 8, v2
	s_and_saveexec_b64 s[18:19], vcc
	s_cbranch_execz .LBB205_80
; %bb.77:                               ;   in Loop: Header=BB205_53 Depth=1
	v_lshl_add_u64 v[4:5], v[90:91], 0, v[2:3]
	v_lshl_add_u64 v[4:5], v[4:5], 0, s[12:13]
	v_cmp_gt_i64_e32 vcc, s[8:9], v[4:5]
	v_mov_b32_e32 v6, 0
	s_and_saveexec_b64 s[20:21], vcc
	s_cbranch_execz .LBB205_79
; %bb.78:                               ;   in Loop: Header=BB205_53 Depth=1
	v_lshl_add_u64 v[4:5], v[4:5], 2, s[24:25]
	global_load_dword v6, v[4:5], off
.LBB205_79:                             ;   in Loop: Header=BB205_53 Depth=1
	s_or_b64 exec, exec, s[20:21]
.LBB205_80:                             ;   in Loop: Header=BB205_53 Depth=1
	s_or_b64 exec, exec, s[18:19]
	v_lshl_add_u64 v[10:11], v[30:31], 0, v[28:29]
	v_lshl_add_u64 v[90:91], v[38:39], 0, v[28:29]
	;; [unrolled: 1-line block ×16, first 2 shown]
	global_load_ushort v2, v[10:11], off
	global_load_ushort v95, v[4:5], off
	;; [unrolled: 1-line block ×15, first 2 shown]
                                        ; kill: killed $vgpr22_vgpr23
                                        ; kill: killed $vgpr8_vgpr9
                                        ; kill: killed $vgpr18_vgpr19
                                        ; kill: killed $vgpr96_vgpr97
                                        ; kill: killed $vgpr14_vgpr15
                                        ; kill: killed $vgpr24_vgpr25
                                        ; kill: killed $vgpr10_vgpr11
                                        ; kill: killed $vgpr102_vgpr103
                                        ; kill: killed $vgpr20_vgpr21
                                        ; kill: killed $vgpr4_vgpr5
                                        ; kill: killed $vgpr98_vgpr99
                                        ; kill: killed $vgpr16_vgpr17
                                        ; kill: killed $vgpr90_vgpr91
                                        ; kill: killed $vgpr12_vgpr13
                                        ; kill: killed $vgpr104_vgpr105
	global_load_ushort v90, v[100:101], off
	s_waitcnt vmcnt(16)
	ds_bpermute_b32 v4, v93, v6
	ds_bpermute_b32 v5, v93, v6 offset:4
	ds_bpermute_b32 v8, v93, v6 offset:8
	;; [unrolled: 1-line block ×7, first 2 shown]
	s_waitcnt vmcnt(15)
	v_lshlrev_b32_e32 v7, 16, v2
	s_waitcnt vmcnt(14)
	v_lshlrev_b32_e32 v6, 16, v95
	s_waitcnt vmcnt(13)
	v_lshlrev_b32_e32 v15, 16, v106
	s_waitcnt vmcnt(12)
	v_lshlrev_b32_e32 v14, 16, v107
	v_pk_mul_f32 v[6:7], v[6:7], v[14:15]
	s_waitcnt vmcnt(11)
	v_lshlrev_b32_e32 v17, 16, v108
	s_waitcnt vmcnt(10)
	v_lshlrev_b32_e32 v16, 16, v109
	;; [unrolled: 2-line block ×4, first 2 shown]
	s_waitcnt lgkmcnt(6)
	v_pk_mul_f32 v[4:5], v[6:7], v[4:5]
	v_pk_mul_f32 v[14:15], v[16:17], v[18:19]
	v_add_f32_e32 v2, v94, v4
	s_waitcnt vmcnt(7)
	v_lshlrev_b32_e32 v21, 16, v112
	s_waitcnt vmcnt(6)
	v_lshlrev_b32_e32 v20, 16, v113
	;; [unrolled: 2-line block ×4, first 2 shown]
	s_waitcnt lgkmcnt(4)
	v_pk_mul_f32 v[6:7], v[14:15], v[8:9]
	v_add_f32_e32 v2, v2, v5
	v_pk_mul_f32 v[16:17], v[20:21], v[22:23]
	v_add_f32_e32 v2, v2, v6
	s_waitcnt vmcnt(3)
	v_lshlrev_b32_e32 v25, 16, v116
	s_waitcnt vmcnt(2)
	v_lshlrev_b32_e32 v24, 16, v117
	;; [unrolled: 2-line block ×3, first 2 shown]
	s_waitcnt lgkmcnt(2)
	v_pk_mul_f32 v[8:9], v[16:17], v[10:11]
	v_add_f32_e32 v2, v2, v7
	v_add_f32_e32 v2, v2, v8
	;; [unrolled: 1-line block ×3, first 2 shown]
	s_waitcnt vmcnt(0)
	v_lshlrev_b32_e32 v90, 16, v90
	v_pk_mul_f32 v[18:19], v[24:25], v[90:91]
	s_waitcnt lgkmcnt(0)
	v_pk_mul_f32 v[4:5], v[18:19], v[12:13]
	s_nop 0
	v_add_f32_e32 v2, v2, v4
	v_add_f32_e32 v2, v2, v5
.LBB205_81:                             ;   in Loop: Header=BB205_53 Depth=1
	s_add_u32 s26, s26, s3
	s_addc_u32 s27, s27, 0
	v_mov_b64_e32 v[4:5], s[8:9]
	s_add_u32 s6, s6, s3
	v_cmp_ge_i64_e32 vcc, s[26:27], v[4:5]
	s_addc_u32 s7, s7, 0
	v_lshl_add_u64 v[30:31], v[30:31], 0, s[28:29]
	v_lshl_add_u64 v[32:33], v[32:33], 0, s[28:29]
	;; [unrolled: 1-line block ×30, first 2 shown]
	s_cbranch_vccnz .LBB205_83
; %bb.82:                               ;   in Loop: Header=BB205_53 Depth=1
	v_mov_b32_e32 v94, v2
	s_branch .LBB205_53
.LBB205_83:
	v_and_b32_e32 v3, 0x3ff, v0
	v_bfe_u32 v0, v0, 10, 10
	v_mad_u32_u24 v4, v0, 33, v3
	v_lshl_add_u32 v5, v4, 2, 0
	ds_write_b32 v5, v2
	v_sub_u32_e32 v2, v4, v0
	s_movk_i32 s4, 0x800
	s_mov_b32 s3, 0
	v_mov_b32_e32 v1, 0
	v_cmp_gt_u32_e32 vcc, s4, v2
	ds_write_b32 v5, v1 offset:2112
	s_waitcnt lgkmcnt(0)
	s_barrier
	s_and_saveexec_b64 s[4:5], vcc
	s_cbranch_execz .LBB205_90
; %bb.84:
	v_mbcnt_lo_u32_b32 v4, -1, 0
	v_mbcnt_hi_u32_b32 v7, -1, v4
	v_and_b32_e32 v4, 64, v7
	s_load_dwordx2 s[14:15], s[0:1], 0x30
	v_add_u32_e32 v8, 64, v4
	v_cmp_ne_u32_e64 s[0:1], 0, v3
	v_xor_b32_e32 v3, 8, v7
	v_cmp_lt_i32_e64 s[4:5], v3, v8
	s_lshl_b64 s[6:7], s[2:3], 5
	s_waitcnt lgkmcnt(0)
	s_cmp_eq_u64 s[14:15], 0
	v_cndmask_b32_e64 v3, v7, v3, s[4:5]
	v_lshlrev_b32_e32 v4, 2, v3
	v_xor_b32_e32 v3, 4, v7
	v_cmp_lt_i32_e64 s[4:5], v3, v8
	v_lshrrev_b32_e32 v0, 6, v2
	v_and_b32_e32 v2, 63, v2
	v_cndmask_b32_e64 v3, v7, v3, s[4:5]
	v_lshlrev_b32_e32 v5, 2, v3
	v_xor_b32_e32 v3, 2, v7
	v_cmp_lt_i32_e64 s[4:5], v3, v8
	s_cselect_b64 s[12:13], -1, 0
	s_lshl_b64 s[2:3], s[2:3], 6
	v_cndmask_b32_e64 v3, v7, v3, s[4:5]
	v_lshlrev_b32_e32 v6, 2, v3
	v_xor_b32_e32 v3, 1, v7
	v_cmp_lt_i32_e64 s[4:5], v3, v8
	v_cmp_gt_u32_e32 vcc, 16, v2
	v_mul_u32_u24_e32 v2, 0x84, v2
	v_cndmask_b32_e64 v3, v7, v3, s[4:5]
	v_lshlrev_b32_e32 v7, 2, v3
	v_lshlrev_b32_e32 v3, 2, v0
	s_add_u32 s2, s14, s2
	v_add3_u32 v8, v2, v3, 0
	v_lshlrev_b32_e32 v2, 1, v0
	v_mov_b32_e32 v3, v1
	s_addc_u32 s3, s15, s3
	s_mov_b64 s[8:9], 0
	v_lshl_add_u64 v[2:3], s[2:3], 0, v[2:3]
	s_movk_i32 s14, 0x7fff
	v_mov_b32_e32 v9, 0x7fc0
                                        ; implicit-def: $vgpr10
	s_branch .LBB205_86
.LBB205_85:                             ;   in Loop: Header=BB205_86 Depth=1
	s_or_b64 exec, exec, s[4:5]
	v_lshl_add_u64 v[0:1], v[0:1], 0, 8
	v_add_u32_e32 v11, -8, v0
	v_cmp_lt_u32_e64 s[2:3], 23, v11
	v_add_u32_e32 v8, 32, v8
	s_or_b64 s[8:9], s[2:3], s[8:9]
	v_lshl_add_u64 v[2:3], v[2:3], 0, 16
	s_andn2_b64 exec, exec, s[8:9]
	s_cbranch_execz .LBB205_90
.LBB205_86:                             ; =>This Inner Loop Header: Depth=1
	s_and_saveexec_b64 s[2:3], vcc
	s_cbranch_execz .LBB205_88
; %bb.87:                               ;   in Loop: Header=BB205_86 Depth=1
	ds_read_b32 v10, v8
.LBB205_88:                             ;   in Loop: Header=BB205_86 Depth=1
	s_or_b64 exec, exec, s[2:3]
	s_waitcnt lgkmcnt(0)
	ds_bpermute_b32 v11, v4, v10
	s_waitcnt lgkmcnt(0)
	v_add_f32_e32 v10, v10, v11
	ds_bpermute_b32 v11, v5, v10
	s_waitcnt lgkmcnt(0)
	v_add_f32_e32 v10, v10, v11
	;; [unrolled: 3-line block ×3, first 2 shown]
	ds_bpermute_b32 v13, v7, v12
	v_lshl_add_u64 v[10:11], s[6:7], 0, v[0:1]
	v_cmp_le_i64_e64 s[2:3], s[10:11], v[10:11]
	s_or_b64 s[2:3], s[0:1], s[2:3]
	s_or_b64 s[2:3], s[12:13], s[2:3]
	s_waitcnt lgkmcnt(0)
	v_add_f32_e32 v10, v12, v13
	s_xor_b64 s[2:3], s[2:3], -1
	s_and_saveexec_b64 s[4:5], s[2:3]
	s_cbranch_execz .LBB205_85
; %bb.89:                               ;   in Loop: Header=BB205_86 Depth=1
	v_bfe_u32 v11, v10, 16, 1
	v_add3_u32 v11, v10, v11, s14
	v_lshrrev_b32_e32 v11, 16, v11
	v_cmp_o_f32_e64 s[2:3], v10, v10
	s_nop 1
	v_cndmask_b32_e64 v11, v9, v11, s[2:3]
	global_store_short v[2:3], v11, off
	s_branch .LBB205_85
.LBB205_90:
	s_endpgm
	.section	.rodata,"a",@progbits
	.p2align	6, 0x0
	.amdhsa_kernel _ZN2at6native12_GLOBAL__N_135GammaBetaBackwardCUDAKernelTemplateIN3c108BFloat16EfLj32ELj16ELj128ELb0ELb0ELb1EEEvllPKT_S7_PKT0_SA_PS5_SB_
		.amdhsa_group_segment_fixed_size 0
		.amdhsa_private_segment_fixed_size 0
		.amdhsa_kernarg_size 320
		.amdhsa_user_sgpr_count 2
		.amdhsa_user_sgpr_dispatch_ptr 0
		.amdhsa_user_sgpr_queue_ptr 0
		.amdhsa_user_sgpr_kernarg_segment_ptr 1
		.amdhsa_user_sgpr_dispatch_id 0
		.amdhsa_user_sgpr_kernarg_preload_length 0
		.amdhsa_user_sgpr_kernarg_preload_offset 0
		.amdhsa_user_sgpr_private_segment_size 0
		.amdhsa_uses_dynamic_stack 0
		.amdhsa_enable_private_segment 0
		.amdhsa_system_sgpr_workgroup_id_x 1
		.amdhsa_system_sgpr_workgroup_id_y 1
		.amdhsa_system_sgpr_workgroup_id_z 0
		.amdhsa_system_sgpr_workgroup_info 0
		.amdhsa_system_vgpr_workitem_id 1
		.amdhsa_next_free_vgpr 119
		.amdhsa_next_free_sgpr 56
		.amdhsa_accum_offset 120
		.amdhsa_reserve_vcc 1
		.amdhsa_float_round_mode_32 0
		.amdhsa_float_round_mode_16_64 0
		.amdhsa_float_denorm_mode_32 3
		.amdhsa_float_denorm_mode_16_64 3
		.amdhsa_dx10_clamp 1
		.amdhsa_ieee_mode 1
		.amdhsa_fp16_overflow 0
		.amdhsa_tg_split 0
		.amdhsa_exception_fp_ieee_invalid_op 0
		.amdhsa_exception_fp_denorm_src 0
		.amdhsa_exception_fp_ieee_div_zero 0
		.amdhsa_exception_fp_ieee_overflow 0
		.amdhsa_exception_fp_ieee_underflow 0
		.amdhsa_exception_fp_ieee_inexact 0
		.amdhsa_exception_int_div_zero 0
	.end_amdhsa_kernel
	.section	.text._ZN2at6native12_GLOBAL__N_135GammaBetaBackwardCUDAKernelTemplateIN3c108BFloat16EfLj32ELj16ELj128ELb0ELb0ELb1EEEvllPKT_S7_PKT0_SA_PS5_SB_,"axG",@progbits,_ZN2at6native12_GLOBAL__N_135GammaBetaBackwardCUDAKernelTemplateIN3c108BFloat16EfLj32ELj16ELj128ELb0ELb0ELb1EEEvllPKT_S7_PKT0_SA_PS5_SB_,comdat
.Lfunc_end205:
	.size	_ZN2at6native12_GLOBAL__N_135GammaBetaBackwardCUDAKernelTemplateIN3c108BFloat16EfLj32ELj16ELj128ELb0ELb0ELb1EEEvllPKT_S7_PKT0_SA_PS5_SB_, .Lfunc_end205-_ZN2at6native12_GLOBAL__N_135GammaBetaBackwardCUDAKernelTemplateIN3c108BFloat16EfLj32ELj16ELj128ELb0ELb0ELb1EEEvllPKT_S7_PKT0_SA_PS5_SB_
                                        ; -- End function
	.section	.AMDGPU.csdata,"",@progbits
; Kernel info:
; codeLenInByte = 6708
; NumSgprs: 62
; NumVgprs: 119
; NumAgprs: 0
; TotalNumVgprs: 119
; ScratchSize: 0
; MemoryBound: 0
; FloatMode: 240
; IeeeMode: 1
; LDSByteSize: 0 bytes/workgroup (compile time only)
; SGPRBlocks: 7
; VGPRBlocks: 14
; NumSGPRsForWavesPerEU: 62
; NumVGPRsForWavesPerEU: 119
; AccumOffset: 120
; Occupancy: 4
; WaveLimiterHint : 0
; COMPUTE_PGM_RSRC2:SCRATCH_EN: 0
; COMPUTE_PGM_RSRC2:USER_SGPR: 2
; COMPUTE_PGM_RSRC2:TRAP_HANDLER: 0
; COMPUTE_PGM_RSRC2:TGID_X_EN: 1
; COMPUTE_PGM_RSRC2:TGID_Y_EN: 1
; COMPUTE_PGM_RSRC2:TGID_Z_EN: 0
; COMPUTE_PGM_RSRC2:TIDIG_COMP_CNT: 1
; COMPUTE_PGM_RSRC3_GFX90A:ACCUM_OFFSET: 29
; COMPUTE_PGM_RSRC3_GFX90A:TG_SPLIT: 0
	.section	.text._ZN2at6native12_GLOBAL__N_135GammaBetaBackwardCUDAKernelTemplateIN3c108BFloat16EfLj32ELj32ELj256ELb0ELb1ELb1EEEvllPKT_S7_PKT0_SA_PS5_SB_,"axG",@progbits,_ZN2at6native12_GLOBAL__N_135GammaBetaBackwardCUDAKernelTemplateIN3c108BFloat16EfLj32ELj32ELj256ELb0ELb1ELb1EEEvllPKT_S7_PKT0_SA_PS5_SB_,comdat
	.globl	_ZN2at6native12_GLOBAL__N_135GammaBetaBackwardCUDAKernelTemplateIN3c108BFloat16EfLj32ELj32ELj256ELb0ELb1ELb1EEEvllPKT_S7_PKT0_SA_PS5_SB_ ; -- Begin function _ZN2at6native12_GLOBAL__N_135GammaBetaBackwardCUDAKernelTemplateIN3c108BFloat16EfLj32ELj32ELj256ELb0ELb1ELb1EEEvllPKT_S7_PKT0_SA_PS5_SB_
	.p2align	8
	.type	_ZN2at6native12_GLOBAL__N_135GammaBetaBackwardCUDAKernelTemplateIN3c108BFloat16EfLj32ELj32ELj256ELb0ELb1ELb1EEEvllPKT_S7_PKT0_SA_PS5_SB_,@function
_ZN2at6native12_GLOBAL__N_135GammaBetaBackwardCUDAKernelTemplateIN3c108BFloat16EfLj32ELj32ELj256ELb0ELb1ELb1EEEvllPKT_S7_PKT0_SA_PS5_SB_: ; @_ZN2at6native12_GLOBAL__N_135GammaBetaBackwardCUDAKernelTemplateIN3c108BFloat16EfLj32ELj32ELj256ELb0ELb1ELb1EEEvllPKT_S7_PKT0_SA_PS5_SB_
; %bb.0:
	s_load_dwordx4 s[4:7], s[0:1], 0x0
	s_lshl_b32 s14, s3, 8
	s_mov_b32 s15, 0
	v_bfe_u32 v12, v0, 10, 10
	s_waitcnt lgkmcnt(0)
	v_mov_b64_e32 v[2:3], s[4:5]
	v_cmp_lt_i64_e32 vcc, s[14:15], v[2:3]
	s_cbranch_vccnz .LBB206_2
; %bb.1:
	s_mov_b64 s[8:9], 0
	v_bfe_u32 v2, v0, 10, 10
	s_branch .LBB206_3
.LBB206_2:
	s_mov_b64 s[8:9], -1
                                        ; implicit-def: $vgpr2
.LBB206_3:
	s_load_dwordx2 s[12:13], s[0:1], 0x30
	v_and_b32_e32 v10, 0x3ff, v0
	s_andn2_b64 vcc, exec, s[8:9]
	v_mov_b32_e32 v1, s15
	v_mbcnt_lo_u32_b32 v11, -1, 0
	s_cbranch_vccnz .LBB206_11
; %bb.4:
	s_load_dword s3, s[0:1], 0x4c
	s_load_dword s16, s[0:1], 0x44
	s_load_dwordx2 s[18:19], s[0:1], 0x28
	s_load_dwordx4 s[8:11], s[0:1], 0x10
	v_lshlrev_b32_e32 v0, 3, v12
	s_waitcnt lgkmcnt(0)
	s_and_b32 s0, s3, 0xffff
	v_mad_u32_u24 v1, v12, s0, v10
	v_and_b32_e32 v2, 63, v1
	v_mov_b32_e32 v1, 0
	v_mov_b32_e32 v3, v1
	v_lshl_add_u64 v[8:9], v[0:1], 0, s[14:15]
	v_cmp_gt_u32_e64 s[0:1], 8, v2
	v_mbcnt_hi_u32_b32 v4, -1, v11
	s_lshl_b32 s16, s16, 8
	v_lshl_add_u64 v[2:3], v[8:9], 0, v[2:3]
	v_mul_lo_u32 v0, s7, v8
	v_mul_lo_u32 v21, s6, v9
	v_mad_u64_u32 v[8:9], s[20:21], s6, v8, 0
	v_lshl_add_u32 v6, s2, 5, v10
	v_mov_b32_e32 v7, v1
	v_lshlrev_b32_e32 v4, 2, v4
	s_mul_i32 s3, s7, s16
	s_mul_hi_u32 s20, s6, s16
	s_mov_b32 s17, 0
	v_and_b32_e32 v13, 0x100, v4
	v_add3_u32 v9, v9, v21, v0
	v_lshlrev_b64 v[6:7], 1, v[6:7]
	s_add_i32 s21, s20, s3
	s_mul_i32 s20, s6, s16
	v_or_b32_e32 v14, 4, v13
	v_or_b32_e32 v15, 8, v13
	;; [unrolled: 1-line block ×7, first 2 shown]
	v_lshl_add_u64 v[4:5], v[2:3], 2, s[18:19]
	s_lshl_b64 s[18:19], s[16:17], 2
	v_lshl_add_u64 v[6:7], v[8:9], 1, v[6:7]
	s_lshl_b64 s[20:21], s[20:21], 1
	s_lshl_b64 s[6:7], s[6:7], 1
	v_mov_b64_e32 v[8:9], s[4:5]
	s_branch .LBB206_7
.LBB206_5:                              ;   in Loop: Header=BB206_7 Depth=1
	s_or_b64 exec, exec, s[24:25]
.LBB206_6:                              ;   in Loop: Header=BB206_7 Depth=1
	s_or_b64 exec, exec, s[22:23]
	v_lshl_add_u64 v[22:23], s[8:9], 0, v[6:7]
	v_lshl_add_u64 v[24:25], s[10:11], 0, v[6:7]
	;; [unrolled: 1-line block ×5, first 2 shown]
	global_load_ushort v21, v[22:23], off
	global_load_ushort v34, v[24:25], off
	;; [unrolled: 1-line block ×4, first 2 shown]
	v_lshl_add_u64 v[32:33], v[28:29], 0, s[6:7]
	v_lshl_add_u64 v[22:23], v[30:31], 0, s[6:7]
	global_load_ushort v37, v[30:31], off
	global_load_ushort v38, v[32:33], off
	v_lshl_add_u64 v[24:25], v[32:33], 0, s[6:7]
	global_load_ushort v39, v[22:23], off
	global_load_ushort v40, v[24:25], off
	v_lshl_add_u64 v[22:23], v[22:23], 0, s[6:7]
	v_lshl_add_u64 v[24:25], v[24:25], 0, s[6:7]
	global_load_ushort v41, v[22:23], off
	global_load_ushort v42, v[24:25], off
	v_lshl_add_u64 v[22:23], v[22:23], 0, s[6:7]
	;; [unrolled: 4-line block ×4, first 2 shown]
	v_lshl_add_u64 v[24:25], v[24:25], 0, s[6:7]
	global_load_ushort v47, v[22:23], off
	global_load_ushort v48, v[24:25], off
	s_waitcnt vmcnt(16)
	ds_bpermute_b32 v22, v13, v0
	ds_bpermute_b32 v23, v14, v0
	;; [unrolled: 1-line block ×8, first 2 shown]
	s_add_u32 s14, s14, s16
	s_addc_u32 s15, s15, 0
	v_cmp_lt_i64_e32 vcc, s[14:15], v[8:9]
	v_lshl_add_u64 v[4:5], v[4:5], 0, s[18:19]
	v_lshl_add_u64 v[2:3], v[2:3], 0, s[16:17]
	;; [unrolled: 1-line block ×3, first 2 shown]
	s_and_b64 vcc, exec, vcc
	s_waitcnt vmcnt(15)
	v_lshlrev_b32_e32 v30, 16, v21
	s_waitcnt vmcnt(14)
	v_lshlrev_b32_e32 v32, 16, v34
	;; [unrolled: 2-line block ×4, first 2 shown]
	v_pk_mul_f32 v[30:31], v[30:31], v[32:33]
	s_waitcnt vmcnt(11)
	v_lshlrev_b32_e32 v32, 16, v37
	s_waitcnt vmcnt(10)
	v_lshlrev_b32_e32 v34, 16, v38
	s_waitcnt lgkmcnt(6)
	v_pk_mul_f32 v[22:23], v[30:31], v[22:23]
	s_waitcnt vmcnt(9)
	v_lshlrev_b32_e32 v33, 16, v39
	s_waitcnt vmcnt(8)
	v_lshlrev_b32_e32 v35, 16, v40
	v_add_f32_e32 v21, v1, v22
	v_pk_mul_f32 v[0:1], v[32:33], v[34:35]
	s_waitcnt vmcnt(7)
	v_lshlrev_b32_e32 v22, 16, v41
	s_waitcnt vmcnt(6)
	v_lshlrev_b32_e32 v30, 16, v42
	v_add_f32_e32 v21, v21, v23
	s_waitcnt lgkmcnt(4)
	v_pk_mul_f32 v[0:1], v[0:1], v[24:25]
	s_waitcnt vmcnt(5)
	v_lshlrev_b32_e32 v23, 16, v43
	s_waitcnt vmcnt(4)
	v_lshlrev_b32_e32 v31, 16, v44
	v_add_f32_e32 v21, v21, v0
	v_pk_mul_f32 v[22:23], v[22:23], v[30:31]
	s_waitcnt vmcnt(3)
	v_lshlrev_b32_e32 v0, 16, v45
	s_waitcnt vmcnt(2)
	v_lshlrev_b32_e32 v24, 16, v46
	v_add_f32_e32 v21, v21, v1
	s_waitcnt lgkmcnt(2)
	v_pk_mul_f32 v[22:23], v[22:23], v[26:27]
	s_waitcnt vmcnt(1)
	v_lshlrev_b32_e32 v1, 16, v47
	s_waitcnt vmcnt(0)
	v_lshlrev_b32_e32 v25, 16, v48
	v_add_f32_e32 v21, v21, v22
	v_pk_mul_f32 v[0:1], v[0:1], v[24:25]
	v_add_f32_e32 v21, v21, v23
	s_waitcnt lgkmcnt(0)
	v_pk_mul_f32 v[0:1], v[0:1], v[28:29]
	s_nop 0
	v_add_f32_e32 v0, v21, v0
	v_add_f32_e32 v1, v0, v1
	s_cbranch_vccz .LBB206_10
.LBB206_7:                              ; =>This Inner Loop Header: Depth=1
	v_mov_b32_e32 v0, 0
	s_and_saveexec_b64 s[22:23], s[0:1]
	s_cbranch_execz .LBB206_6
; %bb.8:                                ;   in Loop: Header=BB206_7 Depth=1
	v_cmp_gt_i64_e32 vcc, s[4:5], v[2:3]
	v_mov_b32_e32 v0, 0
	s_and_saveexec_b64 s[24:25], vcc
	s_cbranch_execz .LBB206_5
; %bb.9:                                ;   in Loop: Header=BB206_7 Depth=1
	global_load_dword v0, v[4:5], off
	s_branch .LBB206_5
.LBB206_10:
	v_mov_b32_e32 v2, v12
.LBB206_11:
	v_mad_u32_u24 v0, v2, 33, v10
	v_lshl_add_u32 v3, v0, 2, 0
	v_sub_u32_e32 v0, v0, v2
	s_movk_i32 s0, 0x800
	s_mov_b32 s3, 0
	ds_write_b32 v3, v1
	v_mov_b32_e32 v1, 0
	v_cmp_gt_u32_e32 vcc, s0, v0
	ds_write_b32 v3, v1 offset:4224
	s_waitcnt lgkmcnt(0)
	s_barrier
	s_and_saveexec_b64 s[0:1], vcc
	s_cbranch_execz .LBB206_18
; %bb.12:
	v_mbcnt_hi_u32_b32 v6, -1, v11
	v_and_b32_e32 v2, 64, v6
	s_cmp_lg_u64 s[12:13], 0
	v_add_u32_e32 v7, 64, v2
	v_cmp_eq_u32_e64 s[0:1], 0, v10
	s_cselect_b64 s[6:7], -1, 0
	v_xor_b32_e32 v2, 16, v6
	s_and_b64 s[6:7], s[0:1], s[6:7]
	v_cmp_lt_i32_e64 s[0:1], v2, v7
	v_xor_b32_e32 v3, 8, v6
	v_xor_b32_e32 v4, 4, v6
	v_cndmask_b32_e64 v2, v6, v2, s[0:1]
	v_cmp_lt_i32_e64 s[0:1], v3, v7
	v_xor_b32_e32 v5, 2, v6
	v_xor_b32_e32 v8, 1, v6
	v_cndmask_b32_e64 v3, v6, v3, s[0:1]
	v_cmp_lt_i32_e64 s[0:1], v4, v7
	v_lshrrev_b32_e32 v9, 6, v0
	v_and_b32_e32 v0, 63, v0
	v_cndmask_b32_e64 v4, v6, v4, s[0:1]
	v_cmp_lt_i32_e64 s[0:1], v5, v7
	v_cmp_gt_u32_e32 vcc, 32, v0
	v_mul_u32_u24_e32 v0, 0x84, v0
	v_cndmask_b32_e64 v5, v6, v5, s[0:1]
	v_cmp_lt_i32_e64 s[0:1], v8, v7
	v_lshlrev_b32_e32 v7, 2, v9
	v_add3_u32 v7, v0, v7, 0
	v_cndmask_b32_e64 v6, v6, v8, s[0:1]
	s_lshl_b64 s[0:1], s[2:3], 6
	s_add_u32 s0, s12, s0
	v_lshlrev_b32_e32 v0, 1, v9
	s_addc_u32 s1, s13, s1
	s_mov_b64 s[4:5], 0
	v_lshlrev_b32_e32 v2, 2, v2
	v_lshlrev_b32_e32 v3, 2, v3
	;; [unrolled: 1-line block ×5, first 2 shown]
	v_add_u32_e32 v8, -16, v9
	v_lshl_add_u64 v[0:1], s[0:1], 0, v[0:1]
	s_movk_i32 s8, 0x7fff
	v_mov_b32_e32 v9, 0x7fc0
                                        ; implicit-def: $vgpr10
	s_branch .LBB206_14
.LBB206_13:                             ;   in Loop: Header=BB206_14 Depth=1
	s_or_b64 exec, exec, s[2:3]
	v_add_co_u32_e64 v8, s[0:1], 16, v8
	s_xor_b64 s[0:1], s[0:1], -1
	s_and_b64 s[0:1], exec, s[0:1]
	v_add_u32_e32 v7, 64, v7
	s_or_b64 s[4:5], s[0:1], s[4:5]
	v_lshl_add_u64 v[0:1], v[0:1], 0, 32
	s_andn2_b64 exec, exec, s[4:5]
	s_cbranch_execz .LBB206_18
.LBB206_14:                             ; =>This Inner Loop Header: Depth=1
	s_and_saveexec_b64 s[0:1], vcc
	s_cbranch_execz .LBB206_16
; %bb.15:                               ;   in Loop: Header=BB206_14 Depth=1
	ds_read_b32 v10, v7
.LBB206_16:                             ;   in Loop: Header=BB206_14 Depth=1
	s_or_b64 exec, exec, s[0:1]
	s_waitcnt lgkmcnt(0)
	ds_bpermute_b32 v11, v2, v10
	s_waitcnt lgkmcnt(0)
	v_add_f32_e32 v10, v10, v11
	ds_bpermute_b32 v11, v3, v10
	s_waitcnt lgkmcnt(0)
	v_add_f32_e32 v10, v10, v11
	;; [unrolled: 3-line block ×5, first 2 shown]
	s_and_saveexec_b64 s[2:3], s[6:7]
	s_cbranch_execz .LBB206_13
; %bb.17:                               ;   in Loop: Header=BB206_14 Depth=1
	v_bfe_u32 v11, v10, 16, 1
	v_add3_u32 v11, v10, v11, s8
	v_lshrrev_b32_e32 v11, 16, v11
	v_cmp_o_f32_e64 s[0:1], v10, v10
	s_nop 1
	v_cndmask_b32_e64 v11, v9, v11, s[0:1]
	global_store_short v[0:1], v11, off
	s_branch .LBB206_13
.LBB206_18:
	s_endpgm
	.section	.rodata,"a",@progbits
	.p2align	6, 0x0
	.amdhsa_kernel _ZN2at6native12_GLOBAL__N_135GammaBetaBackwardCUDAKernelTemplateIN3c108BFloat16EfLj32ELj32ELj256ELb0ELb1ELb1EEEvllPKT_S7_PKT0_SA_PS5_SB_
		.amdhsa_group_segment_fixed_size 0
		.amdhsa_private_segment_fixed_size 0
		.amdhsa_kernarg_size 320
		.amdhsa_user_sgpr_count 2
		.amdhsa_user_sgpr_dispatch_ptr 0
		.amdhsa_user_sgpr_queue_ptr 0
		.amdhsa_user_sgpr_kernarg_segment_ptr 1
		.amdhsa_user_sgpr_dispatch_id 0
		.amdhsa_user_sgpr_kernarg_preload_length 0
		.amdhsa_user_sgpr_kernarg_preload_offset 0
		.amdhsa_user_sgpr_private_segment_size 0
		.amdhsa_uses_dynamic_stack 0
		.amdhsa_enable_private_segment 0
		.amdhsa_system_sgpr_workgroup_id_x 1
		.amdhsa_system_sgpr_workgroup_id_y 1
		.amdhsa_system_sgpr_workgroup_id_z 0
		.amdhsa_system_sgpr_workgroup_info 0
		.amdhsa_system_vgpr_workitem_id 1
		.amdhsa_next_free_vgpr 49
		.amdhsa_next_free_sgpr 26
		.amdhsa_accum_offset 52
		.amdhsa_reserve_vcc 1
		.amdhsa_float_round_mode_32 0
		.amdhsa_float_round_mode_16_64 0
		.amdhsa_float_denorm_mode_32 3
		.amdhsa_float_denorm_mode_16_64 3
		.amdhsa_dx10_clamp 1
		.amdhsa_ieee_mode 1
		.amdhsa_fp16_overflow 0
		.amdhsa_tg_split 0
		.amdhsa_exception_fp_ieee_invalid_op 0
		.amdhsa_exception_fp_denorm_src 0
		.amdhsa_exception_fp_ieee_div_zero 0
		.amdhsa_exception_fp_ieee_overflow 0
		.amdhsa_exception_fp_ieee_underflow 0
		.amdhsa_exception_fp_ieee_inexact 0
		.amdhsa_exception_int_div_zero 0
	.end_amdhsa_kernel
	.section	.text._ZN2at6native12_GLOBAL__N_135GammaBetaBackwardCUDAKernelTemplateIN3c108BFloat16EfLj32ELj32ELj256ELb0ELb1ELb1EEEvllPKT_S7_PKT0_SA_PS5_SB_,"axG",@progbits,_ZN2at6native12_GLOBAL__N_135GammaBetaBackwardCUDAKernelTemplateIN3c108BFloat16EfLj32ELj32ELj256ELb0ELb1ELb1EEEvllPKT_S7_PKT0_SA_PS5_SB_,comdat
.Lfunc_end206:
	.size	_ZN2at6native12_GLOBAL__N_135GammaBetaBackwardCUDAKernelTemplateIN3c108BFloat16EfLj32ELj32ELj256ELb0ELb1ELb1EEEvllPKT_S7_PKT0_SA_PS5_SB_, .Lfunc_end206-_ZN2at6native12_GLOBAL__N_135GammaBetaBackwardCUDAKernelTemplateIN3c108BFloat16EfLj32ELj32ELj256ELb0ELb1ELb1EEEvllPKT_S7_PKT0_SA_PS5_SB_
                                        ; -- End function
	.section	.AMDGPU.csdata,"",@progbits
; Kernel info:
; codeLenInByte = 1528
; NumSgprs: 32
; NumVgprs: 49
; NumAgprs: 0
; TotalNumVgprs: 49
; ScratchSize: 0
; MemoryBound: 0
; FloatMode: 240
; IeeeMode: 1
; LDSByteSize: 0 bytes/workgroup (compile time only)
; SGPRBlocks: 3
; VGPRBlocks: 6
; NumSGPRsForWavesPerEU: 32
; NumVGPRsForWavesPerEU: 49
; AccumOffset: 52
; Occupancy: 8
; WaveLimiterHint : 0
; COMPUTE_PGM_RSRC2:SCRATCH_EN: 0
; COMPUTE_PGM_RSRC2:USER_SGPR: 2
; COMPUTE_PGM_RSRC2:TRAP_HANDLER: 0
; COMPUTE_PGM_RSRC2:TGID_X_EN: 1
; COMPUTE_PGM_RSRC2:TGID_Y_EN: 1
; COMPUTE_PGM_RSRC2:TGID_Z_EN: 0
; COMPUTE_PGM_RSRC2:TIDIG_COMP_CNT: 1
; COMPUTE_PGM_RSRC3_GFX90A:ACCUM_OFFSET: 12
; COMPUTE_PGM_RSRC3_GFX90A:TG_SPLIT: 0
	.section	.text._ZN2at6native12_GLOBAL__N_135GammaBetaBackwardCUDAKernelTemplateIN3c108BFloat16EfLj32ELj32ELj256ELb0ELb0ELb1EEEvllPKT_S7_PKT0_SA_PS5_SB_,"axG",@progbits,_ZN2at6native12_GLOBAL__N_135GammaBetaBackwardCUDAKernelTemplateIN3c108BFloat16EfLj32ELj32ELj256ELb0ELb0ELb1EEEvllPKT_S7_PKT0_SA_PS5_SB_,comdat
	.globl	_ZN2at6native12_GLOBAL__N_135GammaBetaBackwardCUDAKernelTemplateIN3c108BFloat16EfLj32ELj32ELj256ELb0ELb0ELb1EEEvllPKT_S7_PKT0_SA_PS5_SB_ ; -- Begin function _ZN2at6native12_GLOBAL__N_135GammaBetaBackwardCUDAKernelTemplateIN3c108BFloat16EfLj32ELj32ELj256ELb0ELb0ELb1EEEvllPKT_S7_PKT0_SA_PS5_SB_
	.p2align	8
	.type	_ZN2at6native12_GLOBAL__N_135GammaBetaBackwardCUDAKernelTemplateIN3c108BFloat16EfLj32ELj32ELj256ELb0ELb0ELb1EEEvllPKT_S7_PKT0_SA_PS5_SB_,@function
_ZN2at6native12_GLOBAL__N_135GammaBetaBackwardCUDAKernelTemplateIN3c108BFloat16EfLj32ELj32ELj256ELb0ELb0ELb1EEEvllPKT_S7_PKT0_SA_PS5_SB_: ; @_ZN2at6native12_GLOBAL__N_135GammaBetaBackwardCUDAKernelTemplateIN3c108BFloat16EfLj32ELj32ELj256ELb0ELb0ELb1EEEvllPKT_S7_PKT0_SA_PS5_SB_
; %bb.0:
	s_load_dwordx8 s[8:15], s[0:1], 0x0
	s_load_dwordx2 s[24:25], s[0:1], 0x28
	s_lshl_b32 s33, s2, 5
	s_or_b32 s26, s33, 31
	s_mov_b32 s27, 0
	s_waitcnt lgkmcnt(0)
	v_mov_b64_e32 v[2:3], s[10:11]
	v_cmp_ge_i64_e32 vcc, s[26:27], v[2:3]
	s_lshl_b32 s26, s3, 8
	v_mov_b64_e32 v[2:3], s[8:9]
	v_cmp_lt_i64_e64 s[4:5], s[26:27], v[2:3]
	s_nop 1
	v_cndmask_b32_e64 v1, 0, 1, s[4:5]
	v_cmp_ne_u32_e64 s[4:5], 1, v1
	s_cbranch_vccz .LBB207_49
; %bb.1:
	s_and_b64 vcc, exec, s[4:5]
	v_mov_b32_e32 v2, 0
	s_cbranch_vccnz .LBB207_50
; %bb.2:
	v_mov_b32_e32 v3, 0
	v_bfe_u32 v64, v0, 10, 10
	s_load_dword s3, s[0:1], 0x44
	v_lshlrev_b32_e32 v26, 3, v64
	v_mov_b32_e32 v27, v3
	v_and_b32_e32 v1, 0x3ff, v0
	v_lshl_add_u64 v[4:5], v[26:27], 0, s[26:27]
	v_add_u32_e32 v2, s33, v1
	v_lshl_add_u64 v[6:7], v[4:5], 0, 7
	s_add_u32 s28, s0, 64
	v_cmp_gt_i64_e64 s[6:7], s[10:11], v[2:3]
	v_lshlrev_b64 v[28:29], 1, v[2:3]
	v_mul_lo_u32 v2, s11, v6
	v_mul_lo_u32 v8, s10, v7
	v_mad_u64_u32 v[6:7], s[18:19], s10, v6, 0
	s_addc_u32 s29, s1, 0
	s_waitcnt lgkmcnt(0)
	s_lshl_b32 s3, s3, 8
	v_add3_u32 v7, v7, v8, v2
	v_lshlrev_b64 v[6:7], 1, v[6:7]
	s_mul_i32 s17, s11, s3
	s_mul_hi_u32 s18, s10, s3
	v_lshl_add_u64 v[30:31], s[12:13], 0, v[6:7]
	s_add_i32 s19, s18, s17
	s_mul_i32 s18, s10, s3
	v_lshl_add_u64 v[32:33], s[14:15], 0, v[6:7]
	v_lshl_add_u64 v[6:7], v[4:5], 0, 6
	s_lshl_b64 s[30:31], s[18:19], 1
	v_mul_lo_u32 v2, s11, v6
	v_mul_lo_u32 v8, s10, v7
	v_mad_u64_u32 v[6:7], s[18:19], s10, v6, 0
	v_add3_u32 v7, v7, v8, v2
	v_lshlrev_b64 v[6:7], 1, v[6:7]
	v_lshl_add_u64 v[34:35], s[12:13], 0, v[6:7]
	v_lshl_add_u64 v[36:37], s[14:15], 0, v[6:7]
	v_lshl_add_u64 v[6:7], v[4:5], 0, 5
	v_mul_lo_u32 v2, s11, v6
	v_mul_lo_u32 v8, s10, v7
	v_mad_u64_u32 v[6:7], s[18:19], s10, v6, 0
	v_add3_u32 v7, v7, v8, v2
	v_lshlrev_b64 v[6:7], 1, v[6:7]
	v_lshl_add_u64 v[38:39], s[12:13], 0, v[6:7]
	v_lshl_add_u64 v[40:41], s[14:15], 0, v[6:7]
	v_lshl_add_u64 v[6:7], v[4:5], 0, 4
	;; [unrolled: 8-line block ×4, first 2 shown]
	v_mul_lo_u32 v2, s11, v6
	v_mul_lo_u32 v8, s10, v7
	v_mad_u64_u32 v[6:7], s[18:19], s10, v6, 0
	v_add3_u32 v7, v7, v8, v2
	v_lshlrev_b64 v[6:7], 1, v[6:7]
	v_lshl_add_u64 v[50:51], s[12:13], 0, v[6:7]
	v_lshl_add_u64 v[52:53], s[14:15], 0, v[6:7]
	v_mov_b64_e32 v[6:7], s[10:11]
	v_mad_u64_u32 v[6:7], s[18:19], s10, v4, v[6:7]
	v_mul_lo_u32 v2, s10, v5
	v_mul_lo_u32 v8, s11, v4
	v_mad_u64_u32 v[4:5], s[18:19], s10, v4, 0
	v_add3_u32 v7, v8, v7, v2
	v_add3_u32 v5, v5, v2, v8
	v_mbcnt_lo_u32_b32 v2, -1, 0
	v_mbcnt_hi_u32_b32 v2, -1, v2
	v_lshlrev_b64 v[6:7], 1, v[6:7]
	s_add_u32 s34, s26, 0xff
	v_lshlrev_b64 v[4:5], 1, v[4:5]
	s_movk_i32 s36, 0xff01
	s_movk_i32 s38, 0xff02
	s_movk_i32 s40, 0xff03
	s_movk_i32 s42, 0xff04
	s_movk_i32 s44, 0xff05
	s_movk_i32 s46, 0xff06
	s_movk_i32 s48, 0xff07
	s_movk_i32 s50, 0xff08
	v_lshlrev_b32_e32 v2, 2, v2
	s_mov_b32 s16, 0
	v_lshl_add_u64 v[54:55], s[12:13], 0, v[6:7]
	v_lshl_add_u64 v[56:57], s[14:15], 0, v[6:7]
	s_addc_u32 s35, 0, 0
	v_lshl_add_u64 v[58:59], s[12:13], 0, v[4:5]
	v_lshl_add_u64 v[60:61], s[14:15], 0, v[4:5]
	s_mov_b32 s37, -1
	s_mov_b32 s39, -1
	;; [unrolled: 1-line block ×8, first 2 shown]
	v_and_b32_e32 v65, 0x100, v2
	s_mov_b64 s[52:53], s[26:27]
	v_mov_b32_e32 v66, 0
.LBB207_3:                              ; =>This Inner Loop Header: Depth=1
	v_mov_b64_e32 v[4:5], s[8:9]
	v_cmp_ge_i64_e32 vcc, s[34:35], v[4:5]
	v_lshl_add_u64 v[62:63], v[26:27], 0, s[34:35]
	s_cbranch_vccz .LBB207_25
; %bb.4:                                ;   in Loop: Header=BB207_3 Depth=1
	s_load_dword s17, s[28:29], 0xc
	v_mov_b32_e32 v67, 0
	s_waitcnt lgkmcnt(0)
	s_and_b32 s17, s17, 0xffff
	v_mad_u32_u24 v2, v64, s17, v1
	v_and_b32_e32 v2, 63, v2
	v_cmp_gt_u32_e32 vcc, 8, v2
	s_and_saveexec_b64 s[18:19], vcc
	s_cbranch_execz .LBB207_8
; %bb.5:                                ;   in Loop: Header=BB207_3 Depth=1
	v_lshl_add_u64 v[4:5], v[62:63], 0, v[2:3]
	v_lshl_add_u64 v[4:5], v[4:5], 0, s[36:37]
	v_cmp_gt_i64_e32 vcc, s[8:9], v[4:5]
	v_mov_b32_e32 v67, 0
	s_and_saveexec_b64 s[20:21], vcc
	s_cbranch_execz .LBB207_7
; %bb.6:                                ;   in Loop: Header=BB207_3 Depth=1
	v_lshl_add_u64 v[4:5], v[4:5], 2, s[24:25]
	global_load_dword v67, v[4:5], off
.LBB207_7:                              ;   in Loop: Header=BB207_3 Depth=1
	s_or_b64 exec, exec, s[20:21]
.LBB207_8:                              ;   in Loop: Header=BB207_3 Depth=1
	s_or_b64 exec, exec, s[18:19]
	s_mov_b32 s17, s16
	s_mov_b32 s18, s16
	;; [unrolled: 1-line block ×7, first 2 shown]
	v_mov_b64_e32 v[10:11], s[16:17]
	v_lshl_add_u64 v[4:5], v[62:63], 0, s[36:37]
	v_mov_b64_e32 v[16:17], s[22:23]
	v_cmp_gt_i64_e32 vcc, s[8:9], v[4:5]
	v_mov_b64_e32 v[12:13], s[18:19]
	v_mov_b64_e32 v[14:15], s[20:21]
	;; [unrolled: 1-line block ×3, first 2 shown]
	s_and_b64 s[54:55], s[6:7], vcc
	v_mov_b64_e32 v[22:23], v[14:15]
	v_mov_b64_e32 v[20:21], v[12:13]
	;; [unrolled: 1-line block ×3, first 2 shown]
	s_and_saveexec_b64 s[18:19], s[54:55]
	s_cbranch_execz .LBB207_10
; %bb.9:                                ;   in Loop: Header=BB207_3 Depth=1
	v_lshl_add_u64 v[4:5], v[58:59], 0, v[28:29]
	global_load_ushort v2, v[4:5], off
	v_lshl_add_u64 v[4:5], v[60:61], 0, v[28:29]
	global_load_ushort v10, v[4:5], off
	v_mov_b32_e32 v8, v3
	v_mov_b32_e32 v9, v3
	;; [unrolled: 1-line block ×13, first 2 shown]
	s_waitcnt vmcnt(1)
	v_lshlrev_b32_e32 v2, 16, v2
	v_mov_b64_e32 v[24:25], v[8:9]
	s_waitcnt vmcnt(0)
	v_lshlrev_b32_e32 v10, 16, v10
	v_mov_b64_e32 v[22:23], v[6:7]
	v_mov_b64_e32 v[20:21], v[4:5]
	v_mov_b64_e32 v[18:19], v[2:3]
.LBB207_10:                             ;   in Loop: Header=BB207_3 Depth=1
	s_or_b64 exec, exec, s[18:19]
	v_lshl_add_u64 v[4:5], v[62:63], 0, s[38:39]
	v_cmp_gt_i64_e32 vcc, s[8:9], v[4:5]
	s_and_b64 s[20:21], s[6:7], vcc
	s_and_saveexec_b64 s[18:19], s[20:21]
	s_cbranch_execz .LBB207_12
; %bb.11:                               ;   in Loop: Header=BB207_3 Depth=1
	v_lshl_add_u64 v[4:5], v[54:55], 0, v[28:29]
	global_load_ushort v2, v[4:5], off
	v_lshl_add_u64 v[4:5], v[56:57], 0, v[28:29]
	global_load_ushort v4, v[4:5], off
	s_waitcnt vmcnt(1)
	v_lshlrev_b32_e32 v19, 16, v2
	s_waitcnt vmcnt(0)
	v_lshlrev_b32_e32 v11, 16, v4
.LBB207_12:                             ;   in Loop: Header=BB207_3 Depth=1
	s_or_b64 exec, exec, s[18:19]
	v_lshl_add_u64 v[4:5], v[62:63], 0, s[40:41]
	v_cmp_gt_i64_e32 vcc, s[8:9], v[4:5]
	s_and_b64 s[20:21], s[6:7], vcc
	s_and_saveexec_b64 s[18:19], s[20:21]
	s_cbranch_execz .LBB207_14
; %bb.13:                               ;   in Loop: Header=BB207_3 Depth=1
	v_lshl_add_u64 v[4:5], v[50:51], 0, v[28:29]
	global_load_ushort v2, v[4:5], off
	v_lshl_add_u64 v[4:5], v[52:53], 0, v[28:29]
	global_load_ushort v4, v[4:5], off
	s_waitcnt vmcnt(1)
	v_lshlrev_b32_e32 v20, 16, v2
	s_waitcnt vmcnt(0)
	v_lshlrev_b32_e32 v12, 16, v4
.LBB207_14:                             ;   in Loop: Header=BB207_3 Depth=1
	s_or_b64 exec, exec, s[18:19]
	v_lshl_add_u64 v[4:5], v[62:63], 0, s[42:43]
	v_cmp_gt_i64_e32 vcc, s[8:9], v[4:5]
	s_and_b64 s[20:21], s[6:7], vcc
	s_and_saveexec_b64 s[18:19], s[20:21]
	s_cbranch_execz .LBB207_16
; %bb.15:                               ;   in Loop: Header=BB207_3 Depth=1
	v_lshl_add_u64 v[4:5], v[46:47], 0, v[28:29]
	global_load_ushort v2, v[4:5], off
	v_lshl_add_u64 v[4:5], v[48:49], 0, v[28:29]
	global_load_ushort v4, v[4:5], off
	s_waitcnt vmcnt(1)
	v_lshlrev_b32_e32 v21, 16, v2
	s_waitcnt vmcnt(0)
	v_lshlrev_b32_e32 v13, 16, v4
.LBB207_16:                             ;   in Loop: Header=BB207_3 Depth=1
	s_or_b64 exec, exec, s[18:19]
	v_lshl_add_u64 v[4:5], v[62:63], 0, s[44:45]
	v_cmp_gt_i64_e32 vcc, s[8:9], v[4:5]
	s_and_b64 s[20:21], s[6:7], vcc
	s_and_saveexec_b64 s[18:19], s[20:21]
	s_cbranch_execz .LBB207_18
; %bb.17:                               ;   in Loop: Header=BB207_3 Depth=1
	v_lshl_add_u64 v[4:5], v[42:43], 0, v[28:29]
	global_load_ushort v2, v[4:5], off
	v_lshl_add_u64 v[4:5], v[44:45], 0, v[28:29]
	global_load_ushort v4, v[4:5], off
	s_waitcnt vmcnt(1)
	v_lshlrev_b32_e32 v22, 16, v2
	s_waitcnt vmcnt(0)
	v_lshlrev_b32_e32 v14, 16, v4
.LBB207_18:                             ;   in Loop: Header=BB207_3 Depth=1
	s_or_b64 exec, exec, s[18:19]
	v_lshl_add_u64 v[4:5], v[62:63], 0, s[46:47]
	v_cmp_gt_i64_e32 vcc, s[8:9], v[4:5]
	s_and_b64 s[20:21], s[6:7], vcc
	s_and_saveexec_b64 s[18:19], s[20:21]
	s_cbranch_execz .LBB207_20
; %bb.19:                               ;   in Loop: Header=BB207_3 Depth=1
	v_lshl_add_u64 v[4:5], v[38:39], 0, v[28:29]
	global_load_ushort v2, v[4:5], off
	v_lshl_add_u64 v[4:5], v[40:41], 0, v[28:29]
	global_load_ushort v4, v[4:5], off
	s_waitcnt vmcnt(1)
	v_lshlrev_b32_e32 v23, 16, v2
	s_waitcnt vmcnt(0)
	v_lshlrev_b32_e32 v15, 16, v4
.LBB207_20:                             ;   in Loop: Header=BB207_3 Depth=1
	s_or_b64 exec, exec, s[18:19]
	v_lshl_add_u64 v[4:5], v[62:63], 0, s[48:49]
	v_cmp_gt_i64_e32 vcc, s[8:9], v[4:5]
	s_and_b64 s[20:21], s[6:7], vcc
	s_and_saveexec_b64 s[18:19], s[20:21]
	s_cbranch_execz .LBB207_22
; %bb.21:                               ;   in Loop: Header=BB207_3 Depth=1
	v_lshl_add_u64 v[4:5], v[34:35], 0, v[28:29]
	global_load_ushort v2, v[4:5], off
	v_lshl_add_u64 v[4:5], v[36:37], 0, v[28:29]
	global_load_ushort v4, v[4:5], off
	s_waitcnt vmcnt(1)
	v_lshlrev_b32_e32 v24, 16, v2
	s_waitcnt vmcnt(0)
	v_lshlrev_b32_e32 v16, 16, v4
.LBB207_22:                             ;   in Loop: Header=BB207_3 Depth=1
	s_or_b64 exec, exec, s[18:19]
	v_lshl_add_u64 v[4:5], v[62:63], 0, s[50:51]
	v_cmp_gt_i64_e32 vcc, s[8:9], v[4:5]
	s_and_b64 s[20:21], s[6:7], vcc
	s_and_saveexec_b64 s[18:19], s[20:21]
	s_cbranch_execz .LBB207_24
; %bb.23:                               ;   in Loop: Header=BB207_3 Depth=1
	v_lshl_add_u64 v[4:5], v[30:31], 0, v[28:29]
	global_load_ushort v2, v[4:5], off
	v_lshl_add_u64 v[4:5], v[32:33], 0, v[28:29]
	global_load_ushort v4, v[4:5], off
	s_waitcnt vmcnt(1)
	v_lshlrev_b32_e32 v25, 16, v2
	s_waitcnt vmcnt(0)
	v_lshlrev_b32_e32 v17, 16, v4
.LBB207_24:                             ;   in Loop: Header=BB207_3 Depth=1
	s_or_b64 exec, exec, s[18:19]
	s_waitcnt vmcnt(0)
	ds_bpermute_b32 v4, v65, v67 offset:4
	ds_bpermute_b32 v5, v65, v67 offset:8
	ds_bpermute_b32 v2, v65, v67
	v_mul_f32_e32 v8, v10, v18
	v_pk_mul_f32 v[10:11], v[10:11], v[18:19]
	v_pk_mul_f32 v[12:13], v[12:13], v[20:21]
	v_mov_b32_e32 v10, v11
	v_mov_b32_e32 v11, v12
	s_waitcnt lgkmcnt(1)
	v_pk_mul_f32 v[4:5], v[10:11], v[4:5]
	ds_bpermute_b32 v10, v65, v67 offset:12
	ds_bpermute_b32 v11, v65, v67 offset:16
	s_waitcnt lgkmcnt(2)
	v_fma_f32 v2, v8, v2, v66
	v_pk_mul_f32 v[8:9], v[14:15], v[22:23]
	v_add_f32_e32 v2, v2, v4
	v_add_f32_e32 v2, v2, v5
	v_mov_b32_e32 v4, v13
	v_mov_b32_e32 v5, v8
	s_waitcnt lgkmcnt(0)
	v_pk_mul_f32 v[4:5], v[4:5], v[10:11]
	ds_bpermute_b32 v10, v65, v67 offset:20
	ds_bpermute_b32 v11, v65, v67 offset:24
	v_pk_mul_f32 v[6:7], v[16:17], v[24:25]
	v_add_f32_e32 v2, v2, v4
	ds_bpermute_b32 v4, v65, v67 offset:28
	v_mov_b32_e32 v8, v9
	v_mov_b32_e32 v9, v6
	v_add_f32_e32 v2, v2, v5
	s_waitcnt lgkmcnt(1)
	v_pk_mul_f32 v[6:7], v[8:9], v[10:11]
	s_nop 0
	v_add_f32_e32 v2, v2, v6
	v_add_f32_e32 v2, v2, v7
	s_branch .LBB207_40
.LBB207_25:                             ;   in Loop: Header=BB207_3 Depth=1
                                        ; implicit-def: $vgpr2
                                        ; implicit-def: $vgpr10_vgpr11_vgpr12_vgpr13_vgpr14_vgpr15_vgpr16_vgpr17
                                        ; implicit-def: $vgpr18_vgpr19_vgpr20_vgpr21_vgpr22_vgpr23_vgpr24_vgpr25
                                        ; implicit-def: $vgpr4
	s_cbranch_execz .LBB207_40
; %bb.26:                               ;   in Loop: Header=BB207_3 Depth=1
	s_load_dword s17, s[28:29], 0x0
	v_mov_b32_e32 v67, 0
	s_waitcnt lgkmcnt(0)
	s_cmp_lt_u32 s2, s17
	s_cselect_b32 s17, 12, 18
	s_add_u32 s18, s28, s17
	s_addc_u32 s19, s29, 0
	global_load_ushort v2, v3, s[18:19]
	s_waitcnt vmcnt(0)
	v_mad_u32_u24 v2, v64, v2, v1
	v_and_b32_e32 v2, 63, v2
	v_cmp_gt_u32_e32 vcc, 8, v2
	s_and_saveexec_b64 s[18:19], vcc
	s_cbranch_execz .LBB207_30
; %bb.27:                               ;   in Loop: Header=BB207_3 Depth=1
	v_lshl_add_u64 v[4:5], v[62:63], 0, v[2:3]
	v_lshl_add_u64 v[4:5], v[4:5], 0, s[36:37]
	v_cmp_gt_i64_e32 vcc, s[8:9], v[4:5]
	v_mov_b32_e32 v67, 0
	s_and_saveexec_b64 s[20:21], vcc
	s_cbranch_execz .LBB207_29
; %bb.28:                               ;   in Loop: Header=BB207_3 Depth=1
	v_lshl_add_u64 v[4:5], v[4:5], 2, s[24:25]
	global_load_dword v67, v[4:5], off
.LBB207_29:                             ;   in Loop: Header=BB207_3 Depth=1
	s_or_b64 exec, exec, s[20:21]
.LBB207_30:                             ;   in Loop: Header=BB207_3 Depth=1
	s_or_b64 exec, exec, s[18:19]
	s_mov_b32 s17, s16
	s_mov_b32 s18, s16
	;; [unrolled: 1-line block ×7, first 2 shown]
	v_mov_b64_e32 v[10:11], s[16:17]
	v_mov_b64_e32 v[16:17], s[22:23]
	;; [unrolled: 1-line block ×8, first 2 shown]
	s_and_saveexec_b64 s[18:19], s[6:7]
	s_cbranch_execnz .LBB207_42
; %bb.31:                               ;   in Loop: Header=BB207_3 Depth=1
	s_or_b64 exec, exec, s[18:19]
	s_and_saveexec_b64 s[18:19], s[6:7]
	s_cbranch_execnz .LBB207_43
.LBB207_32:                             ;   in Loop: Header=BB207_3 Depth=1
	s_or_b64 exec, exec, s[18:19]
	s_and_saveexec_b64 s[18:19], s[6:7]
	s_cbranch_execnz .LBB207_44
.LBB207_33:                             ;   in Loop: Header=BB207_3 Depth=1
	s_or_b64 exec, exec, s[18:19]
	s_and_saveexec_b64 s[18:19], s[6:7]
	s_cbranch_execnz .LBB207_45
.LBB207_34:                             ;   in Loop: Header=BB207_3 Depth=1
	s_or_b64 exec, exec, s[18:19]
	s_and_saveexec_b64 s[18:19], s[6:7]
	s_cbranch_execnz .LBB207_46
.LBB207_35:                             ;   in Loop: Header=BB207_3 Depth=1
	s_or_b64 exec, exec, s[18:19]
	s_and_saveexec_b64 s[18:19], s[6:7]
	s_cbranch_execnz .LBB207_47
.LBB207_36:                             ;   in Loop: Header=BB207_3 Depth=1
	s_or_b64 exec, exec, s[18:19]
	s_and_saveexec_b64 s[18:19], s[6:7]
	s_cbranch_execnz .LBB207_48
.LBB207_37:                             ;   in Loop: Header=BB207_3 Depth=1
	s_or_b64 exec, exec, s[18:19]
	s_and_saveexec_b64 s[18:19], s[6:7]
	s_cbranch_execz .LBB207_39
.LBB207_38:                             ;   in Loop: Header=BB207_3 Depth=1
	v_lshl_add_u64 v[4:5], v[30:31], 0, v[28:29]
	global_load_ushort v2, v[4:5], off
	v_lshl_add_u64 v[4:5], v[32:33], 0, v[28:29]
	global_load_ushort v4, v[4:5], off
	s_waitcnt vmcnt(1)
	v_lshlrev_b32_e32 v25, 16, v2
	s_waitcnt vmcnt(0)
	v_lshlrev_b32_e32 v17, 16, v4
.LBB207_39:                             ;   in Loop: Header=BB207_3 Depth=1
	s_or_b64 exec, exec, s[18:19]
	s_waitcnt vmcnt(0)
	ds_bpermute_b32 v4, v65, v67 offset:4
	ds_bpermute_b32 v5, v65, v67 offset:8
	ds_bpermute_b32 v2, v65, v67
	v_mul_f32_e32 v8, v10, v18
	v_pk_mul_f32 v[10:11], v[10:11], v[18:19]
	v_pk_mul_f32 v[12:13], v[12:13], v[20:21]
	v_mov_b32_e32 v10, v11
	v_mov_b32_e32 v11, v12
	s_waitcnt lgkmcnt(1)
	v_pk_mul_f32 v[4:5], v[10:11], v[4:5]
	ds_bpermute_b32 v10, v65, v67 offset:12
	ds_bpermute_b32 v11, v65, v67 offset:16
	s_waitcnt lgkmcnt(2)
	v_fmac_f32_e32 v66, v8, v2
	v_pk_mul_f32 v[8:9], v[14:15], v[22:23]
	v_add_f32_e32 v2, v66, v4
	v_add_f32_e32 v2, v2, v5
	v_mov_b32_e32 v4, v13
	v_mov_b32_e32 v5, v8
	s_waitcnt lgkmcnt(0)
	v_pk_mul_f32 v[4:5], v[4:5], v[10:11]
	ds_bpermute_b32 v10, v65, v67 offset:20
	ds_bpermute_b32 v11, v65, v67 offset:24
	v_pk_mul_f32 v[6:7], v[16:17], v[24:25]
	v_add_f32_e32 v2, v2, v4
	v_mov_b32_e32 v8, v9
	v_mov_b32_e32 v9, v6
	v_add_f32_e32 v2, v2, v5
	s_waitcnt lgkmcnt(0)
	v_pk_mul_f32 v[6:7], v[8:9], v[10:11]
	ds_bpermute_b32 v4, v65, v67 offset:28
	v_add_f32_e32 v2, v2, v6
	v_add_f32_e32 v2, v2, v7
.LBB207_40:                             ;   in Loop: Header=BB207_3 Depth=1
	v_mul_f32_e32 v5, v25, v17
	s_add_u32 s52, s52, s3
	s_waitcnt lgkmcnt(0)
	v_fmac_f32_e32 v2, v5, v4
	s_addc_u32 s53, s53, 0
	v_mov_b64_e32 v[4:5], s[8:9]
	s_add_u32 s34, s34, s3
	v_cmp_lt_i64_e32 vcc, s[52:53], v[4:5]
	v_lshl_add_u64 v[30:31], v[30:31], 0, s[30:31]
	v_lshl_add_u64 v[32:33], v[32:33], 0, s[30:31]
	;; [unrolled: 1-line block ×14, first 2 shown]
	s_addc_u32 s35, s35, 0
	v_lshl_add_u64 v[58:59], v[58:59], 0, s[30:31]
	v_lshl_add_u64 v[60:61], v[60:61], 0, s[30:31]
	s_cbranch_vccz .LBB207_50
; %bb.41:                               ;   in Loop: Header=BB207_3 Depth=1
	v_mov_b32_e32 v66, v2
	s_branch .LBB207_3
.LBB207_42:                             ;   in Loop: Header=BB207_3 Depth=1
	v_lshl_add_u64 v[4:5], v[58:59], 0, v[28:29]
	global_load_ushort v2, v[4:5], off
	v_lshl_add_u64 v[4:5], v[60:61], 0, v[28:29]
	global_load_ushort v10, v[4:5], off
	v_mov_b32_e32 v8, v3
	v_mov_b32_e32 v9, v3
	;; [unrolled: 1-line block ×13, first 2 shown]
	s_waitcnt vmcnt(1)
	v_lshlrev_b32_e32 v2, 16, v2
	v_mov_b64_e32 v[24:25], v[8:9]
	s_waitcnt vmcnt(0)
	v_lshlrev_b32_e32 v10, 16, v10
	v_mov_b64_e32 v[22:23], v[6:7]
	v_mov_b64_e32 v[20:21], v[4:5]
	;; [unrolled: 1-line block ×3, first 2 shown]
	s_or_b64 exec, exec, s[18:19]
	s_and_saveexec_b64 s[18:19], s[6:7]
	s_cbranch_execz .LBB207_32
.LBB207_43:                             ;   in Loop: Header=BB207_3 Depth=1
	v_lshl_add_u64 v[4:5], v[54:55], 0, v[28:29]
	global_load_ushort v2, v[4:5], off
	v_lshl_add_u64 v[4:5], v[56:57], 0, v[28:29]
	global_load_ushort v4, v[4:5], off
	s_waitcnt vmcnt(1)
	v_lshlrev_b32_e32 v19, 16, v2
	s_waitcnt vmcnt(0)
	v_lshlrev_b32_e32 v11, 16, v4
	s_or_b64 exec, exec, s[18:19]
	s_and_saveexec_b64 s[18:19], s[6:7]
	s_cbranch_execz .LBB207_33
.LBB207_44:                             ;   in Loop: Header=BB207_3 Depth=1
	v_lshl_add_u64 v[4:5], v[50:51], 0, v[28:29]
	global_load_ushort v2, v[4:5], off
	v_lshl_add_u64 v[4:5], v[52:53], 0, v[28:29]
	global_load_ushort v4, v[4:5], off
	s_waitcnt vmcnt(1)
	v_lshlrev_b32_e32 v20, 16, v2
	s_waitcnt vmcnt(0)
	v_lshlrev_b32_e32 v12, 16, v4
	s_or_b64 exec, exec, s[18:19]
	s_and_saveexec_b64 s[18:19], s[6:7]
	s_cbranch_execz .LBB207_34
.LBB207_45:                             ;   in Loop: Header=BB207_3 Depth=1
	v_lshl_add_u64 v[4:5], v[46:47], 0, v[28:29]
	global_load_ushort v2, v[4:5], off
	v_lshl_add_u64 v[4:5], v[48:49], 0, v[28:29]
	global_load_ushort v4, v[4:5], off
	s_waitcnt vmcnt(1)
	v_lshlrev_b32_e32 v21, 16, v2
	s_waitcnt vmcnt(0)
	v_lshlrev_b32_e32 v13, 16, v4
	s_or_b64 exec, exec, s[18:19]
	s_and_saveexec_b64 s[18:19], s[6:7]
	s_cbranch_execz .LBB207_35
.LBB207_46:                             ;   in Loop: Header=BB207_3 Depth=1
	v_lshl_add_u64 v[4:5], v[42:43], 0, v[28:29]
	global_load_ushort v2, v[4:5], off
	v_lshl_add_u64 v[4:5], v[44:45], 0, v[28:29]
	global_load_ushort v4, v[4:5], off
	s_waitcnt vmcnt(1)
	v_lshlrev_b32_e32 v22, 16, v2
	s_waitcnt vmcnt(0)
	v_lshlrev_b32_e32 v14, 16, v4
	s_or_b64 exec, exec, s[18:19]
	s_and_saveexec_b64 s[18:19], s[6:7]
	s_cbranch_execz .LBB207_36
.LBB207_47:                             ;   in Loop: Header=BB207_3 Depth=1
	v_lshl_add_u64 v[4:5], v[38:39], 0, v[28:29]
	global_load_ushort v2, v[4:5], off
	v_lshl_add_u64 v[4:5], v[40:41], 0, v[28:29]
	global_load_ushort v4, v[4:5], off
	s_waitcnt vmcnt(1)
	v_lshlrev_b32_e32 v23, 16, v2
	s_waitcnt vmcnt(0)
	v_lshlrev_b32_e32 v15, 16, v4
	s_or_b64 exec, exec, s[18:19]
	s_and_saveexec_b64 s[18:19], s[6:7]
	s_cbranch_execz .LBB207_37
.LBB207_48:                             ;   in Loop: Header=BB207_3 Depth=1
	v_lshl_add_u64 v[4:5], v[34:35], 0, v[28:29]
	global_load_ushort v2, v[4:5], off
	v_lshl_add_u64 v[4:5], v[36:37], 0, v[28:29]
	global_load_ushort v4, v[4:5], off
	s_waitcnt vmcnt(1)
	v_lshlrev_b32_e32 v24, 16, v2
	s_waitcnt vmcnt(0)
	v_lshlrev_b32_e32 v16, 16, v4
	s_or_b64 exec, exec, s[18:19]
	s_and_saveexec_b64 s[18:19], s[6:7]
	s_cbranch_execnz .LBB207_38
	s_branch .LBB207_39
.LBB207_49:
                                        ; implicit-def: $vgpr2
	s_branch .LBB207_51
.LBB207_50:
	s_cbranch_execnz .LBB207_83
.LBB207_51:
	s_and_b64 vcc, exec, s[4:5]
	v_mov_b32_e32 v2, 0
	s_cbranch_vccnz .LBB207_83
; %bb.52:
	v_and_b32_e32 v1, 0x3ff, v0
	v_add_u32_e32 v2, s33, v1
	v_mov_b32_e32 v3, 0
	v_bfe_u32 v92, v0, 10, 10
	v_lshlrev_b64 v[28:29], 1, v[2:3]
	v_lshlrev_b32_e32 v2, 4, v92
	v_lshl_add_u64 v[4:5], s[26:27], 1, v[2:3]
	v_lshl_add_u64 v[6:7], v[4:5], 0, 2
	v_mov_b64_e32 v[8:9], s[12:13]
	v_lshl_add_u64 v[10:11], v[4:5], 0, 4
	v_lshl_add_u64 v[12:13], v[4:5], 0, 6
	;; [unrolled: 1-line block ×6, first 2 shown]
	v_mad_u64_u32 v[30:31], s[4:5], s10, v6, v[8:9]
	v_mad_u64_u32 v[32:33], s[4:5], s10, v10, v[8:9]
	;; [unrolled: 1-line block ×7, first 2 shown]
	v_mov_b64_e32 v[8:9], s[14:15]
	v_lshlrev_b32_e32 v26, 3, v92
	v_mov_b32_e32 v27, v3
	v_mul_lo_u32 v2, s10, v7
	v_mul_lo_u32 v7, s11, v6
	v_mad_u64_u32 v[44:45], s[4:5], s10, v6, v[8:9]
	v_add3_u32 v31, v7, v31, v2
	v_mul_lo_u32 v5, s10, v5
	v_mul_lo_u32 v25, s11, v4
	v_add3_u32 v45, v7, v45, v2
	v_lshl_add_u64 v[6:7], v[26:27], 0, s[26:27]
	v_mad_u64_u32 v[56:57], s[4:5], s10, v4, v[8:9]
	v_add3_u32 v43, v25, v43, v5
	v_add3_u32 v57, v25, v57, v5
	v_lshl_add_u64 v[4:5], v[6:7], 0, 7
	v_mad_u64_u32 v[46:47], s[4:5], s10, v10, v[8:9]
	v_mad_u64_u32 v[48:49], s[4:5], s10, v12, v[8:9]
	;; [unrolled: 1-line block ×5, first 2 shown]
	v_mul_lo_u32 v8, s11, v4
	v_mul_lo_u32 v9, s10, v5
	v_mad_u64_u32 v[4:5], s[4:5], s10, v4, 0
	v_mul_lo_u32 v11, s10, v11
	v_mul_lo_u32 v20, s11, v10
	v_add3_u32 v5, v5, v9, v8
	v_lshl_add_u64 v[8:9], v[6:7], 0, 6
	v_add3_u32 v33, v20, v33, v11
	v_add3_u32 v47, v20, v47, v11
	v_mul_lo_u32 v10, s11, v8
	v_mul_lo_u32 v11, s10, v9
	v_mad_u64_u32 v[8:9], s[4:5], s10, v8, 0
	v_mul_lo_u32 v13, s10, v13
	v_mul_lo_u32 v21, s11, v12
	v_add3_u32 v9, v9, v11, v10
	v_lshl_add_u64 v[10:11], v[6:7], 0, 5
	v_add3_u32 v35, v21, v35, v13
	v_add3_u32 v49, v21, v49, v13
	;; [unrolled: 9-line block ×4, first 2 shown]
	v_mul_lo_u32 v16, s11, v14
	v_mul_lo_u32 v17, s10, v15
	v_mad_u64_u32 v[14:15], s[4:5], s10, v14, 0
	v_mul_lo_u32 v19, s10, v19
	v_mul_lo_u32 v24, s11, v18
	v_add3_u32 v15, v15, v17, v16
	v_lshl_add_u64 v[16:17], v[6:7], 0, 2
	s_load_dword s3, s[0:1], 0x44
	v_lshlrev_b64 v[4:5], 1, v[4:5]
	v_add3_u32 v41, v24, v41, v19
	v_add3_u32 v55, v24, v55, v19
	v_mul_lo_u32 v18, s11, v16
	v_mul_lo_u32 v19, s10, v17
	v_mad_u64_u32 v[16:17], s[4:5], s10, v16, 0
	v_lshl_add_u64 v[62:63], s[12:13], 0, v[4:5]
	v_lshl_add_u64 v[64:65], s[14:15], 0, v[4:5]
	v_lshlrev_b64 v[4:5], 1, v[8:9]
	v_add3_u32 v17, v17, v19, v18
	v_mov_b64_e32 v[18:19], s[10:11]
	v_lshl_add_u64 v[66:67], s[12:13], 0, v[4:5]
	v_lshl_add_u64 v[68:69], s[14:15], 0, v[4:5]
	v_lshlrev_b64 v[4:5], 1, v[10:11]
	v_mul_lo_u32 v2, s11, v6
	v_mad_u64_u32 v[18:19], s[4:5], s10, v6, v[18:19]
	v_mul_lo_u32 v20, s10, v7
	v_mad_u64_u32 v[6:7], s[4:5], s10, v6, 0
	v_lshl_add_u64 v[70:71], s[12:13], 0, v[4:5]
	v_lshl_add_u64 v[72:73], s[14:15], 0, v[4:5]
	v_lshlrev_b64 v[4:5], 1, v[12:13]
	s_add_u32 s4, s0, 64
	v_lshl_add_u64 v[74:75], s[12:13], 0, v[4:5]
	v_lshl_add_u64 v[76:77], s[14:15], 0, v[4:5]
	v_lshlrev_b64 v[4:5], 1, v[14:15]
	v_add3_u32 v7, v7, v20, v2
	v_add3_u32 v19, v2, v19, v20
	s_addc_u32 s5, s1, 0
	s_waitcnt lgkmcnt(0)
	s_lshl_b32 s3, s3, 8
	v_lshl_add_u64 v[78:79], s[12:13], 0, v[4:5]
	v_lshl_add_u64 v[80:81], s[14:15], 0, v[4:5]
	v_lshlrev_b64 v[4:5], 1, v[16:17]
	v_mbcnt_lo_u32_b32 v2, -1, 0
	s_add_u32 s6, s26, 0xff
	s_mul_i32 s17, s11, s3
	s_mul_hi_u32 s18, s10, s3
	v_lshlrev_b64 v[6:7], 1, v[6:7]
	v_lshl_add_u64 v[82:83], s[12:13], 0, v[4:5]
	v_lshl_add_u64 v[84:85], s[14:15], 0, v[4:5]
	v_lshlrev_b64 v[4:5], 1, v[18:19]
	v_mbcnt_hi_u32_b32 v2, -1, v2
	s_addc_u32 s7, 0, 0
	s_add_i32 s19, s18, s17
	s_mul_i32 s18, s10, s3
	v_lshl_add_u64 v[58:59], s[12:13], 0, v[6:7]
	v_lshl_add_u64 v[60:61], s[14:15], 0, v[6:7]
	;; [unrolled: 1-line block ×4, first 2 shown]
	s_movk_i32 s12, 0xff01
	s_movk_i32 s14, 0xff02
	;; [unrolled: 1-line block ×8, first 2 shown]
	v_lshlrev_b32_e32 v2, 2, v2
	s_mov_b32 s16, 0
	s_lshl_b64 s[28:29], s[18:19], 1
	s_mov_b32 s13, -1
	s_mov_b32 s15, -1
	;; [unrolled: 1-line block ×8, first 2 shown]
	v_and_b32_e32 v93, 0x100, v2
	v_mov_b32_e32 v94, 0
.LBB207_53:                             ; =>This Inner Loop Header: Depth=1
	v_mov_b64_e32 v[4:5], s[8:9]
	v_cmp_ge_i64_e32 vcc, s[6:7], v[4:5]
	v_lshl_add_u64 v[90:91], v[26:27], 0, s[6:7]
	s_cbranch_vccz .LBB207_75
; %bb.54:                               ;   in Loop: Header=BB207_53 Depth=1
	s_load_dword s17, s[4:5], 0xc
	v_mov_b32_e32 v95, 0
	s_waitcnt lgkmcnt(0)
	s_and_b32 s17, s17, 0xffff
	v_mad_u32_u24 v2, v92, s17, v1
	v_and_b32_e32 v2, 63, v2
	v_cmp_gt_u32_e32 vcc, 8, v2
	s_and_saveexec_b64 s[18:19], vcc
	s_cbranch_execz .LBB207_58
; %bb.55:                               ;   in Loop: Header=BB207_53 Depth=1
	v_lshl_add_u64 v[4:5], v[90:91], 0, v[2:3]
	v_lshl_add_u64 v[4:5], v[4:5], 0, s[12:13]
	v_cmp_gt_i64_e32 vcc, s[8:9], v[4:5]
	v_mov_b32_e32 v95, 0
	s_and_saveexec_b64 s[20:21], vcc
	s_cbranch_execz .LBB207_57
; %bb.56:                               ;   in Loop: Header=BB207_53 Depth=1
	v_lshl_add_u64 v[4:5], v[4:5], 2, s[24:25]
	global_load_dword v95, v[4:5], off
.LBB207_57:                             ;   in Loop: Header=BB207_53 Depth=1
	s_or_b64 exec, exec, s[20:21]
.LBB207_58:                             ;   in Loop: Header=BB207_53 Depth=1
	s_or_b64 exec, exec, s[18:19]
	s_mov_b32 s17, s16
	s_mov_b32 s18, s16
	;; [unrolled: 1-line block ×7, first 2 shown]
	v_mov_b64_e32 v[10:11], s[16:17]
	v_mov_b64_e32 v[16:17], s[22:23]
	v_lshl_add_u64 v[4:5], v[90:91], 0, s[12:13]
	v_mov_b64_e32 v[12:13], s[18:19]
	v_mov_b64_e32 v[14:15], s[20:21]
	;; [unrolled: 1-line block ×3, first 2 shown]
	v_cmp_gt_i64_e32 vcc, s[8:9], v[4:5]
	v_mov_b64_e32 v[22:23], v[14:15]
	v_mov_b64_e32 v[20:21], v[12:13]
	;; [unrolled: 1-line block ×3, first 2 shown]
	s_and_saveexec_b64 s[18:19], vcc
	s_cbranch_execz .LBB207_60
; %bb.59:                               ;   in Loop: Header=BB207_53 Depth=1
	v_lshl_add_u64 v[4:5], v[58:59], 0, v[28:29]
	global_load_ushort v2, v[4:5], off
	v_lshl_add_u64 v[4:5], v[60:61], 0, v[28:29]
	global_load_ushort v10, v[4:5], off
	v_mov_b32_e32 v8, v3
	v_mov_b32_e32 v9, v3
	;; [unrolled: 1-line block ×13, first 2 shown]
	s_waitcnt vmcnt(1)
	v_lshlrev_b32_e32 v2, 16, v2
	v_mov_b64_e32 v[24:25], v[8:9]
	s_waitcnt vmcnt(0)
	v_lshlrev_b32_e32 v10, 16, v10
	v_mov_b64_e32 v[22:23], v[6:7]
	v_mov_b64_e32 v[20:21], v[4:5]
	v_mov_b64_e32 v[18:19], v[2:3]
.LBB207_60:                             ;   in Loop: Header=BB207_53 Depth=1
	s_or_b64 exec, exec, s[18:19]
	v_lshl_add_u64 v[4:5], v[90:91], 0, s[14:15]
	v_cmp_gt_i64_e32 vcc, s[8:9], v[4:5]
	s_and_saveexec_b64 s[18:19], vcc
	s_cbranch_execz .LBB207_62
; %bb.61:                               ;   in Loop: Header=BB207_53 Depth=1
	v_lshl_add_u64 v[4:5], v[86:87], 0, v[28:29]
	global_load_ushort v2, v[4:5], off
	v_lshl_add_u64 v[4:5], v[88:89], 0, v[28:29]
	global_load_ushort v4, v[4:5], off
	s_waitcnt vmcnt(1)
	v_lshlrev_b32_e32 v19, 16, v2
	s_waitcnt vmcnt(0)
	v_lshlrev_b32_e32 v11, 16, v4
.LBB207_62:                             ;   in Loop: Header=BB207_53 Depth=1
	s_or_b64 exec, exec, s[18:19]
	v_lshl_add_u64 v[4:5], v[90:91], 0, s[30:31]
	v_cmp_gt_i64_e32 vcc, s[8:9], v[4:5]
	s_and_saveexec_b64 s[18:19], vcc
	s_cbranch_execz .LBB207_64
; %bb.63:                               ;   in Loop: Header=BB207_53 Depth=1
	v_lshl_add_u64 v[4:5], v[82:83], 0, v[28:29]
	global_load_ushort v2, v[4:5], off
	v_lshl_add_u64 v[4:5], v[84:85], 0, v[28:29]
	global_load_ushort v4, v[4:5], off
	s_waitcnt vmcnt(1)
	v_lshlrev_b32_e32 v20, 16, v2
	s_waitcnt vmcnt(0)
	v_lshlrev_b32_e32 v12, 16, v4
.LBB207_64:                             ;   in Loop: Header=BB207_53 Depth=1
	s_or_b64 exec, exec, s[18:19]
	v_lshl_add_u64 v[4:5], v[90:91], 0, s[34:35]
	v_cmp_gt_i64_e32 vcc, s[8:9], v[4:5]
	s_and_saveexec_b64 s[18:19], vcc
	s_cbranch_execz .LBB207_66
; %bb.65:                               ;   in Loop: Header=BB207_53 Depth=1
	v_lshl_add_u64 v[4:5], v[78:79], 0, v[28:29]
	global_load_ushort v2, v[4:5], off
	v_lshl_add_u64 v[4:5], v[80:81], 0, v[28:29]
	global_load_ushort v4, v[4:5], off
	s_waitcnt vmcnt(1)
	v_lshlrev_b32_e32 v21, 16, v2
	s_waitcnt vmcnt(0)
	v_lshlrev_b32_e32 v13, 16, v4
.LBB207_66:                             ;   in Loop: Header=BB207_53 Depth=1
	s_or_b64 exec, exec, s[18:19]
	v_lshl_add_u64 v[4:5], v[90:91], 0, s[36:37]
	v_cmp_gt_i64_e32 vcc, s[8:9], v[4:5]
	s_and_saveexec_b64 s[18:19], vcc
	s_cbranch_execz .LBB207_68
; %bb.67:                               ;   in Loop: Header=BB207_53 Depth=1
	v_lshl_add_u64 v[4:5], v[74:75], 0, v[28:29]
	global_load_ushort v2, v[4:5], off
	v_lshl_add_u64 v[4:5], v[76:77], 0, v[28:29]
	global_load_ushort v4, v[4:5], off
	s_waitcnt vmcnt(1)
	v_lshlrev_b32_e32 v22, 16, v2
	s_waitcnt vmcnt(0)
	v_lshlrev_b32_e32 v14, 16, v4
.LBB207_68:                             ;   in Loop: Header=BB207_53 Depth=1
	s_or_b64 exec, exec, s[18:19]
	v_lshl_add_u64 v[4:5], v[90:91], 0, s[38:39]
	v_cmp_gt_i64_e32 vcc, s[8:9], v[4:5]
	s_and_saveexec_b64 s[18:19], vcc
	s_cbranch_execz .LBB207_70
; %bb.69:                               ;   in Loop: Header=BB207_53 Depth=1
	v_lshl_add_u64 v[4:5], v[70:71], 0, v[28:29]
	global_load_ushort v2, v[4:5], off
	v_lshl_add_u64 v[4:5], v[72:73], 0, v[28:29]
	global_load_ushort v4, v[4:5], off
	s_waitcnt vmcnt(1)
	v_lshlrev_b32_e32 v23, 16, v2
	s_waitcnt vmcnt(0)
	v_lshlrev_b32_e32 v15, 16, v4
.LBB207_70:                             ;   in Loop: Header=BB207_53 Depth=1
	s_or_b64 exec, exec, s[18:19]
	v_lshl_add_u64 v[4:5], v[90:91], 0, s[40:41]
	v_cmp_gt_i64_e32 vcc, s[8:9], v[4:5]
	s_and_saveexec_b64 s[18:19], vcc
	s_cbranch_execz .LBB207_72
; %bb.71:                               ;   in Loop: Header=BB207_53 Depth=1
	v_lshl_add_u64 v[4:5], v[66:67], 0, v[28:29]
	global_load_ushort v2, v[4:5], off
	v_lshl_add_u64 v[4:5], v[68:69], 0, v[28:29]
	global_load_ushort v4, v[4:5], off
	s_waitcnt vmcnt(1)
	v_lshlrev_b32_e32 v24, 16, v2
	s_waitcnt vmcnt(0)
	v_lshlrev_b32_e32 v16, 16, v4
.LBB207_72:                             ;   in Loop: Header=BB207_53 Depth=1
	s_or_b64 exec, exec, s[18:19]
	v_lshl_add_u64 v[4:5], v[90:91], 0, s[42:43]
	v_cmp_gt_i64_e32 vcc, s[8:9], v[4:5]
	s_and_saveexec_b64 s[18:19], vcc
	s_cbranch_execz .LBB207_74
; %bb.73:                               ;   in Loop: Header=BB207_53 Depth=1
	v_lshl_add_u64 v[4:5], v[62:63], 0, v[28:29]
	global_load_ushort v2, v[4:5], off
	v_lshl_add_u64 v[4:5], v[64:65], 0, v[28:29]
	global_load_ushort v4, v[4:5], off
	s_waitcnt vmcnt(1)
	v_lshlrev_b32_e32 v25, 16, v2
	s_waitcnt vmcnt(0)
	v_lshlrev_b32_e32 v17, 16, v4
.LBB207_74:                             ;   in Loop: Header=BB207_53 Depth=1
	s_or_b64 exec, exec, s[18:19]
	s_waitcnt vmcnt(0)
	ds_bpermute_b32 v4, v93, v95
	ds_bpermute_b32 v5, v93, v95 offset:4
	v_pk_mul_f32 v[8:9], v[14:15], v[22:23]
	ds_bpermute_b32 v14, v93, v95 offset:8
	ds_bpermute_b32 v15, v93, v95 offset:12
	v_pk_mul_f32 v[10:11], v[10:11], v[18:19]
	v_pk_mul_f32 v[12:13], v[12:13], v[20:21]
	s_waitcnt lgkmcnt(2)
	v_pk_mul_f32 v[4:5], v[10:11], v[4:5]
	ds_bpermute_b32 v10, v93, v95 offset:16
	ds_bpermute_b32 v11, v93, v95 offset:20
	v_add_f32_e32 v2, v94, v4
	v_add_f32_e32 v2, v2, v5
	s_waitcnt lgkmcnt(2)
	v_pk_mul_f32 v[4:5], v[12:13], v[14:15]
	ds_bpermute_b32 v12, v93, v95 offset:24
	ds_bpermute_b32 v13, v93, v95 offset:28
	v_add_f32_e32 v2, v2, v4
	v_add_f32_e32 v2, v2, v5
	s_waitcnt lgkmcnt(2)
	v_pk_mul_f32 v[4:5], v[8:9], v[10:11]
	v_pk_mul_f32 v[6:7], v[16:17], v[24:25]
	v_add_f32_e32 v2, v2, v4
	v_add_f32_e32 v2, v2, v5
	s_waitcnt lgkmcnt(0)
	v_pk_mul_f32 v[4:5], v[6:7], v[12:13]
	s_nop 0
	v_add_f32_e32 v2, v2, v4
	v_add_f32_e32 v2, v2, v5
	s_branch .LBB207_81
.LBB207_75:                             ;   in Loop: Header=BB207_53 Depth=1
                                        ; implicit-def: $vgpr2
	s_cbranch_execz .LBB207_81
; %bb.76:                               ;   in Loop: Header=BB207_53 Depth=1
	s_load_dword s17, s[4:5], 0x0
	v_mov_b32_e32 v6, 0
	s_waitcnt lgkmcnt(0)
	s_cmp_lt_u32 s2, s17
	s_cselect_b32 s17, 12, 18
	s_add_u32 s18, s4, s17
	s_addc_u32 s19, s5, 0
	global_load_ushort v2, v3, s[18:19]
	s_waitcnt vmcnt(0)
	v_mad_u32_u24 v2, v92, v2, v1
	v_and_b32_e32 v2, 63, v2
	v_cmp_gt_u32_e32 vcc, 8, v2
	s_and_saveexec_b64 s[18:19], vcc
	s_cbranch_execz .LBB207_80
; %bb.77:                               ;   in Loop: Header=BB207_53 Depth=1
	v_lshl_add_u64 v[4:5], v[90:91], 0, v[2:3]
	v_lshl_add_u64 v[4:5], v[4:5], 0, s[12:13]
	v_cmp_gt_i64_e32 vcc, s[8:9], v[4:5]
	v_mov_b32_e32 v6, 0
	s_and_saveexec_b64 s[20:21], vcc
	s_cbranch_execz .LBB207_79
; %bb.78:                               ;   in Loop: Header=BB207_53 Depth=1
	v_lshl_add_u64 v[4:5], v[4:5], 2, s[24:25]
	global_load_dword v6, v[4:5], off
.LBB207_79:                             ;   in Loop: Header=BB207_53 Depth=1
	s_or_b64 exec, exec, s[20:21]
.LBB207_80:                             ;   in Loop: Header=BB207_53 Depth=1
	s_or_b64 exec, exec, s[18:19]
	v_lshl_add_u64 v[10:11], v[30:31], 0, v[28:29]
	v_lshl_add_u64 v[18:19], v[34:35], 0, v[28:29]
	;; [unrolled: 1-line block ×16, first 2 shown]
	global_load_ushort v2, v[10:11], off
	global_load_ushort v95, v[4:5], off
	;; [unrolled: 1-line block ×4, first 2 shown]
	s_nop 0
	global_load_ushort v18, v[18:19], off
	s_nop 0
	global_load_ushort v19, v[14:15], off
	s_nop 0
	global_load_ushort v20, v[20:21], off
	s_nop 0
	global_load_ushort v21, v[16:17], off
	s_nop 0
	global_load_ushort v90, v[90:91], off
	s_nop 0
	global_load_ushort v22, v[22:23], off
	s_nop 0
	global_load_ushort v23, v[96:97], off
	s_nop 0
	global_load_ushort v24, v[24:25], off
	s_nop 0
	global_load_ushort v25, v[102:103], off
	global_load_ushort v91, v[98:99], off
	global_load_ushort v96, v[104:105], off
	;; [unrolled: 1-line block ×3, first 2 shown]
	s_waitcnt vmcnt(16)
	ds_bpermute_b32 v4, v93, v6
	ds_bpermute_b32 v5, v93, v6 offset:4
	ds_bpermute_b32 v8, v93, v6 offset:8
	;; [unrolled: 1-line block ×7, first 2 shown]
	s_waitcnt vmcnt(15)
	v_lshlrev_b32_e32 v7, 16, v2
	s_waitcnt vmcnt(14)
	v_lshlrev_b32_e32 v6, 16, v95
	;; [unrolled: 2-line block ×4, first 2 shown]
	v_pk_mul_f32 v[6:7], v[6:7], v[14:15]
	s_waitcnt vmcnt(11)
	v_lshlrev_b32_e32 v17, 16, v18
	s_waitcnt vmcnt(10)
	v_lshlrev_b32_e32 v16, 16, v19
	;; [unrolled: 2-line block ×4, first 2 shown]
	s_waitcnt lgkmcnt(6)
	v_pk_mul_f32 v[4:5], v[6:7], v[4:5]
	v_pk_mul_f32 v[14:15], v[16:17], v[18:19]
	v_add_f32_e32 v2, v94, v4
	s_waitcnt vmcnt(7)
	v_lshlrev_b32_e32 v21, 16, v90
	s_waitcnt vmcnt(6)
	v_lshlrev_b32_e32 v20, 16, v22
	;; [unrolled: 2-line block ×4, first 2 shown]
	s_waitcnt lgkmcnt(4)
	v_pk_mul_f32 v[6:7], v[14:15], v[8:9]
	v_add_f32_e32 v2, v2, v5
	v_pk_mul_f32 v[16:17], v[20:21], v[22:23]
	v_add_f32_e32 v2, v2, v6
	s_waitcnt vmcnt(3)
	v_lshlrev_b32_e32 v25, 16, v25
	s_waitcnt vmcnt(2)
	v_lshlrev_b32_e32 v24, 16, v91
	;; [unrolled: 2-line block ×4, first 2 shown]
	s_waitcnt lgkmcnt(2)
	v_pk_mul_f32 v[8:9], v[16:17], v[10:11]
	v_add_f32_e32 v2, v2, v7
	v_pk_mul_f32 v[18:19], v[24:25], v[90:91]
	v_add_f32_e32 v2, v2, v8
	v_add_f32_e32 v2, v2, v9
	s_waitcnt lgkmcnt(0)
	v_pk_mul_f32 v[4:5], v[18:19], v[12:13]
	s_nop 0
	v_add_f32_e32 v2, v2, v4
	v_add_f32_e32 v2, v2, v5
.LBB207_81:                             ;   in Loop: Header=BB207_53 Depth=1
	s_add_u32 s26, s26, s3
	s_addc_u32 s27, s27, 0
	v_mov_b64_e32 v[4:5], s[8:9]
	s_add_u32 s6, s6, s3
	v_cmp_ge_i64_e32 vcc, s[26:27], v[4:5]
	s_addc_u32 s7, s7, 0
	v_lshl_add_u64 v[30:31], v[30:31], 0, s[28:29]
	v_lshl_add_u64 v[32:33], v[32:33], 0, s[28:29]
	;; [unrolled: 1-line block ×30, first 2 shown]
	s_cbranch_vccnz .LBB207_83
; %bb.82:                               ;   in Loop: Header=BB207_53 Depth=1
	v_mov_b32_e32 v94, v2
	s_branch .LBB207_53
.LBB207_83:
	v_and_b32_e32 v3, 0x3ff, v0
	v_bfe_u32 v0, v0, 10, 10
	v_mad_u32_u24 v4, v0, 33, v3
	v_lshl_add_u32 v5, v4, 2, 0
	ds_write_b32 v5, v2
	v_sub_u32_e32 v2, v4, v0
	s_movk_i32 s4, 0x800
	s_mov_b32 s3, 0
	v_mov_b32_e32 v1, 0
	v_cmp_gt_u32_e32 vcc, s4, v2
	ds_write_b32 v5, v1 offset:4224
	s_waitcnt lgkmcnt(0)
	s_barrier
	s_and_saveexec_b64 s[4:5], vcc
	s_cbranch_execz .LBB207_90
; %bb.84:
	v_mbcnt_lo_u32_b32 v4, -1, 0
	v_mbcnt_hi_u32_b32 v8, -1, v4
	v_and_b32_e32 v4, 64, v8
	s_load_dwordx2 s[14:15], s[0:1], 0x30
	v_add_u32_e32 v9, 64, v4
	v_cmp_ne_u32_e64 s[0:1], 0, v3
	v_xor_b32_e32 v3, 16, v8
	v_cmp_lt_i32_e64 s[4:5], v3, v9
	s_lshl_b64 s[6:7], s[2:3], 5
	s_waitcnt lgkmcnt(0)
	s_cmp_eq_u64 s[14:15], 0
	v_cndmask_b32_e64 v3, v8, v3, s[4:5]
	v_lshlrev_b32_e32 v4, 2, v3
	v_xor_b32_e32 v3, 8, v8
	v_cmp_lt_i32_e64 s[4:5], v3, v9
	v_lshrrev_b32_e32 v0, 6, v2
	v_and_b32_e32 v2, 63, v2
	v_cndmask_b32_e64 v3, v8, v3, s[4:5]
	v_lshlrev_b32_e32 v5, 2, v3
	v_xor_b32_e32 v3, 4, v8
	v_cmp_lt_i32_e64 s[4:5], v3, v9
	s_cselect_b64 s[12:13], -1, 0
	s_lshl_b64 s[2:3], s[2:3], 6
	v_cndmask_b32_e64 v3, v8, v3, s[4:5]
	v_lshlrev_b32_e32 v6, 2, v3
	v_xor_b32_e32 v3, 2, v8
	v_cmp_lt_i32_e64 s[4:5], v3, v9
	v_cmp_gt_u32_e32 vcc, 32, v2
	v_mul_u32_u24_e32 v2, 0x84, v2
	v_cndmask_b32_e64 v3, v8, v3, s[4:5]
	v_lshlrev_b32_e32 v7, 2, v3
	v_xor_b32_e32 v3, 1, v8
	v_cmp_lt_i32_e64 s[4:5], v3, v9
	s_add_u32 s2, s14, s2
	s_addc_u32 s3, s15, s3
	v_cndmask_b32_e64 v3, v8, v3, s[4:5]
	v_lshlrev_b32_e32 v8, 2, v3
	v_lshlrev_b32_e32 v3, 2, v0
	v_add3_u32 v9, v2, v3, 0
	v_lshlrev_b32_e32 v2, 1, v0
	v_mov_b32_e32 v3, v1
	s_mov_b64 s[8:9], 0
	v_lshl_add_u64 v[2:3], s[2:3], 0, v[2:3]
	s_movk_i32 s14, 0x7fff
	v_mov_b32_e32 v10, 0x7fc0
                                        ; implicit-def: $vgpr11
	s_branch .LBB207_86
.LBB207_85:                             ;   in Loop: Header=BB207_86 Depth=1
	s_or_b64 exec, exec, s[4:5]
	v_lshl_add_u64 v[0:1], v[0:1], 0, 16
	v_add_u32_e32 v12, -16, v0
	v_cmp_lt_u32_e64 s[2:3], 15, v12
	v_add_u32_e32 v9, 64, v9
	s_or_b64 s[8:9], s[2:3], s[8:9]
	v_lshl_add_u64 v[2:3], v[2:3], 0, 32
	s_andn2_b64 exec, exec, s[8:9]
	s_cbranch_execz .LBB207_90
.LBB207_86:                             ; =>This Inner Loop Header: Depth=1
	s_and_saveexec_b64 s[2:3], vcc
	s_cbranch_execz .LBB207_88
; %bb.87:                               ;   in Loop: Header=BB207_86 Depth=1
	ds_read_b32 v11, v9
.LBB207_88:                             ;   in Loop: Header=BB207_86 Depth=1
	s_or_b64 exec, exec, s[2:3]
	s_waitcnt lgkmcnt(0)
	ds_bpermute_b32 v12, v4, v11
	s_waitcnt lgkmcnt(0)
	v_add_f32_e32 v11, v11, v12
	ds_bpermute_b32 v12, v5, v11
	s_waitcnt lgkmcnt(0)
	v_add_f32_e32 v11, v11, v12
	;; [unrolled: 3-line block ×4, first 2 shown]
	ds_bpermute_b32 v14, v8, v11
	v_lshl_add_u64 v[12:13], s[6:7], 0, v[0:1]
	v_cmp_le_i64_e64 s[2:3], s[10:11], v[12:13]
	s_or_b64 s[2:3], s[0:1], s[2:3]
	s_or_b64 s[2:3], s[12:13], s[2:3]
	s_waitcnt lgkmcnt(0)
	v_add_f32_e32 v11, v11, v14
	s_xor_b64 s[2:3], s[2:3], -1
	s_and_saveexec_b64 s[4:5], s[2:3]
	s_cbranch_execz .LBB207_85
; %bb.89:                               ;   in Loop: Header=BB207_86 Depth=1
	v_bfe_u32 v12, v11, 16, 1
	v_add3_u32 v12, v11, v12, s14
	v_lshrrev_b32_e32 v12, 16, v12
	v_cmp_o_f32_e64 s[2:3], v11, v11
	s_nop 1
	v_cndmask_b32_e64 v12, v10, v12, s[2:3]
	global_store_short v[2:3], v12, off
	s_branch .LBB207_85
.LBB207_90:
	s_endpgm
	.section	.rodata,"a",@progbits
	.p2align	6, 0x0
	.amdhsa_kernel _ZN2at6native12_GLOBAL__N_135GammaBetaBackwardCUDAKernelTemplateIN3c108BFloat16EfLj32ELj32ELj256ELb0ELb0ELb1EEEvllPKT_S7_PKT0_SA_PS5_SB_
		.amdhsa_group_segment_fixed_size 0
		.amdhsa_private_segment_fixed_size 0
		.amdhsa_kernarg_size 320
		.amdhsa_user_sgpr_count 2
		.amdhsa_user_sgpr_dispatch_ptr 0
		.amdhsa_user_sgpr_queue_ptr 0
		.amdhsa_user_sgpr_kernarg_segment_ptr 1
		.amdhsa_user_sgpr_dispatch_id 0
		.amdhsa_user_sgpr_kernarg_preload_length 0
		.amdhsa_user_sgpr_kernarg_preload_offset 0
		.amdhsa_user_sgpr_private_segment_size 0
		.amdhsa_uses_dynamic_stack 0
		.amdhsa_enable_private_segment 0
		.amdhsa_system_sgpr_workgroup_id_x 1
		.amdhsa_system_sgpr_workgroup_id_y 1
		.amdhsa_system_sgpr_workgroup_id_z 0
		.amdhsa_system_sgpr_workgroup_info 0
		.amdhsa_system_vgpr_workitem_id 1
		.amdhsa_next_free_vgpr 108
		.amdhsa_next_free_sgpr 56
		.amdhsa_accum_offset 108
		.amdhsa_reserve_vcc 1
		.amdhsa_float_round_mode_32 0
		.amdhsa_float_round_mode_16_64 0
		.amdhsa_float_denorm_mode_32 3
		.amdhsa_float_denorm_mode_16_64 3
		.amdhsa_dx10_clamp 1
		.amdhsa_ieee_mode 1
		.amdhsa_fp16_overflow 0
		.amdhsa_tg_split 0
		.amdhsa_exception_fp_ieee_invalid_op 0
		.amdhsa_exception_fp_denorm_src 0
		.amdhsa_exception_fp_ieee_div_zero 0
		.amdhsa_exception_fp_ieee_overflow 0
		.amdhsa_exception_fp_ieee_underflow 0
		.amdhsa_exception_fp_ieee_inexact 0
		.amdhsa_exception_int_div_zero 0
	.end_amdhsa_kernel
	.section	.text._ZN2at6native12_GLOBAL__N_135GammaBetaBackwardCUDAKernelTemplateIN3c108BFloat16EfLj32ELj32ELj256ELb0ELb0ELb1EEEvllPKT_S7_PKT0_SA_PS5_SB_,"axG",@progbits,_ZN2at6native12_GLOBAL__N_135GammaBetaBackwardCUDAKernelTemplateIN3c108BFloat16EfLj32ELj32ELj256ELb0ELb0ELb1EEEvllPKT_S7_PKT0_SA_PS5_SB_,comdat
.Lfunc_end207:
	.size	_ZN2at6native12_GLOBAL__N_135GammaBetaBackwardCUDAKernelTemplateIN3c108BFloat16EfLj32ELj32ELj256ELb0ELb0ELb1EEEvllPKT_S7_PKT0_SA_PS5_SB_, .Lfunc_end207-_ZN2at6native12_GLOBAL__N_135GammaBetaBackwardCUDAKernelTemplateIN3c108BFloat16EfLj32ELj32ELj256ELb0ELb0ELb1EEEvllPKT_S7_PKT0_SA_PS5_SB_
                                        ; -- End function
	.section	.AMDGPU.csdata,"",@progbits
; Kernel info:
; codeLenInByte = 6784
; NumSgprs: 62
; NumVgprs: 108
; NumAgprs: 0
; TotalNumVgprs: 108
; ScratchSize: 0
; MemoryBound: 0
; FloatMode: 240
; IeeeMode: 1
; LDSByteSize: 0 bytes/workgroup (compile time only)
; SGPRBlocks: 7
; VGPRBlocks: 13
; NumSGPRsForWavesPerEU: 62
; NumVGPRsForWavesPerEU: 108
; AccumOffset: 108
; Occupancy: 4
; WaveLimiterHint : 0
; COMPUTE_PGM_RSRC2:SCRATCH_EN: 0
; COMPUTE_PGM_RSRC2:USER_SGPR: 2
; COMPUTE_PGM_RSRC2:TRAP_HANDLER: 0
; COMPUTE_PGM_RSRC2:TGID_X_EN: 1
; COMPUTE_PGM_RSRC2:TGID_Y_EN: 1
; COMPUTE_PGM_RSRC2:TGID_Z_EN: 0
; COMPUTE_PGM_RSRC2:TIDIG_COMP_CNT: 1
; COMPUTE_PGM_RSRC3_GFX90A:ACCUM_OFFSET: 26
; COMPUTE_PGM_RSRC3_GFX90A:TG_SPLIT: 0
	.text
	.p2alignl 6, 3212836864
	.fill 256, 4, 3212836864
	.type	__hip_cuid_a0c7ac8db0a2f2da,@object ; @__hip_cuid_a0c7ac8db0a2f2da
	.section	.bss,"aw",@nobits
	.globl	__hip_cuid_a0c7ac8db0a2f2da
__hip_cuid_a0c7ac8db0a2f2da:
	.byte	0                               ; 0x0
	.size	__hip_cuid_a0c7ac8db0a2f2da, 1

	.ident	"AMD clang version 19.0.0git (https://github.com/RadeonOpenCompute/llvm-project roc-6.4.0 25133 c7fe45cf4b819c5991fe208aaa96edf142730f1d)"
	.section	".note.GNU-stack","",@progbits
	.addrsig
	.addrsig_sym __hip_cuid_a0c7ac8db0a2f2da
	.amdgpu_metadata
---
amdhsa.kernels:
  - .agpr_count:     0
    .args:
      - .offset:         0
        .size:           4
        .value_kind:     by_value
      - .offset:         8
        .size:           8
        .value_kind:     by_value
      - .actual_access:  read_only
        .address_space:  global
        .offset:         16
        .size:           8
        .value_kind:     global_buffer
      - .address_space:  global
        .offset:         24
        .size:           8
        .value_kind:     global_buffer
      - .address_space:  global
        .offset:         32
        .size:           8
        .value_kind:     global_buffer
      - .address_space:  global
        .offset:         40
        .size:           8
        .value_kind:     global_buffer
      - .address_space:  global
        .offset:         48
        .size:           8
        .value_kind:     global_buffer
      - .address_space:  global
        .offset:         56
        .size:           8
        .value_kind:     global_buffer
    .group_segment_fixed_size: 0
    .kernarg_segment_align: 8
    .kernarg_segment_size: 64
    .language:       OpenCL C
    .language_version:
      - 2
      - 0
    .max_flat_workgroup_size: 1024
    .name:           _ZN2at6native12_GLOBAL__N_128vectorized_layer_norm_kernelIddLb0EEEviT0_PKT_S6_S6_PS3_S7_PS4_
    .private_segment_fixed_size: 0
    .sgpr_count:     6
    .sgpr_spill_count: 0
    .symbol:         _ZN2at6native12_GLOBAL__N_128vectorized_layer_norm_kernelIddLb0EEEviT0_PKT_S6_S6_PS3_S7_PS4_.kd
    .uniform_work_group_size: 1
    .uses_dynamic_stack: false
    .vgpr_count:     0
    .vgpr_spill_count: 0
    .wavefront_size: 64
  - .agpr_count:     0
    .args:
      - .offset:         0
        .size:           8
        .value_kind:     by_value
      - .offset:         8
        .size:           8
        .value_kind:     by_value
      - .address_space:  global
        .offset:         16
        .size:           8
        .value_kind:     global_buffer
      - .address_space:  global
        .offset:         24
        .size:           8
        .value_kind:     global_buffer
      - .address_space:  global
        .offset:         32
        .size:           8
        .value_kind:     global_buffer
      - .offset:         40
        .size:           4
        .value_kind:     hidden_block_count_x
      - .offset:         44
        .size:           4
        .value_kind:     hidden_block_count_y
      - .offset:         48
        .size:           4
        .value_kind:     hidden_block_count_z
      - .offset:         52
        .size:           2
        .value_kind:     hidden_group_size_x
      - .offset:         54
        .size:           2
        .value_kind:     hidden_group_size_y
      - .offset:         56
        .size:           2
        .value_kind:     hidden_group_size_z
      - .offset:         58
        .size:           2
        .value_kind:     hidden_remainder_x
      - .offset:         60
        .size:           2
        .value_kind:     hidden_remainder_y
      - .offset:         62
        .size:           2
        .value_kind:     hidden_remainder_z
      - .offset:         80
        .size:           8
        .value_kind:     hidden_global_offset_x
      - .offset:         88
        .size:           8
        .value_kind:     hidden_global_offset_y
      - .offset:         96
        .size:           8
        .value_kind:     hidden_global_offset_z
      - .offset:         104
        .size:           2
        .value_kind:     hidden_grid_dims
    .group_segment_fixed_size: 2048
    .kernarg_segment_align: 8
    .kernarg_segment_size: 296
    .language:       OpenCL C
    .language_version:
      - 2
      - 0
    .max_flat_workgroup_size: 1024
    .name:           _ZN2at6native12_GLOBAL__N_124RowwiseMomentsCUDAKernelIddLb0EEEvlT0_PKT_PS3_S7_
    .private_segment_fixed_size: 0
    .sgpr_count:     30
    .sgpr_spill_count: 0
    .symbol:         _ZN2at6native12_GLOBAL__N_124RowwiseMomentsCUDAKernelIddLb0EEEvlT0_PKT_PS3_S7_.kd
    .uniform_work_group_size: 1
    .uses_dynamic_stack: false
    .vgpr_count:     30
    .vgpr_spill_count: 0
    .wavefront_size: 64
  - .agpr_count:     0
    .args:
      - .offset:         0
        .size:           8
        .value_kind:     by_value
      - .address_space:  global
        .offset:         8
        .size:           8
        .value_kind:     global_buffer
      - .address_space:  global
        .offset:         16
        .size:           8
        .value_kind:     global_buffer
      - .address_space:  global
        .offset:         24
        .size:           8
        .value_kind:     global_buffer
      - .address_space:  global
        .offset:         32
        .size:           8
        .value_kind:     global_buffer
      - .address_space:  global
        .offset:         40
        .size:           8
        .value_kind:     global_buffer
      - .address_space:  global
        .offset:         48
        .size:           8
        .value_kind:     global_buffer
      - .offset:         56
        .size:           4
        .value_kind:     hidden_block_count_x
      - .offset:         60
        .size:           4
        .value_kind:     hidden_block_count_y
      - .offset:         64
        .size:           4
        .value_kind:     hidden_block_count_z
      - .offset:         68
        .size:           2
        .value_kind:     hidden_group_size_x
      - .offset:         70
        .size:           2
        .value_kind:     hidden_group_size_y
      - .offset:         72
        .size:           2
        .value_kind:     hidden_group_size_z
      - .offset:         74
        .size:           2
        .value_kind:     hidden_remainder_x
      - .offset:         76
        .size:           2
        .value_kind:     hidden_remainder_y
      - .offset:         78
        .size:           2
        .value_kind:     hidden_remainder_z
      - .offset:         96
        .size:           8
        .value_kind:     hidden_global_offset_x
      - .offset:         104
        .size:           8
        .value_kind:     hidden_global_offset_y
      - .offset:         112
        .size:           8
        .value_kind:     hidden_global_offset_z
      - .offset:         120
        .size:           2
        .value_kind:     hidden_grid_dims
    .group_segment_fixed_size: 0
    .kernarg_segment_align: 8
    .kernarg_segment_size: 312
    .language:       OpenCL C
    .language_version:
      - 2
      - 0
    .max_flat_workgroup_size: 1024
    .name:           _ZN2at6native12_GLOBAL__N_126LayerNormForwardCUDAKernelIddLb0EEEvlPKT_PKT0_S8_S5_S5_PS3_
    .private_segment_fixed_size: 0
    .sgpr_count:     32
    .sgpr_spill_count: 0
    .symbol:         _ZN2at6native12_GLOBAL__N_126LayerNormForwardCUDAKernelIddLb0EEEvlPKT_PKT0_S8_S5_S5_PS3_.kd
    .uniform_work_group_size: 1
    .uses_dynamic_stack: false
    .vgpr_count:     18
    .vgpr_spill_count: 0
    .wavefront_size: 64
  - .agpr_count:     0
    .args:
      - .offset:         0
        .size:           4
        .value_kind:     by_value
      - .offset:         4
        .size:           4
        .value_kind:     by_value
      - .actual_access:  read_only
        .address_space:  global
        .offset:         8
        .size:           8
        .value_kind:     global_buffer
      - .address_space:  global
        .offset:         16
        .size:           8
        .value_kind:     global_buffer
      - .address_space:  global
        .offset:         24
        .size:           8
        .value_kind:     global_buffer
      - .address_space:  global
        .offset:         32
        .size:           8
        .value_kind:     global_buffer
      - .address_space:  global
        .offset:         40
        .size:           8
        .value_kind:     global_buffer
      - .address_space:  global
        .offset:         48
        .size:           8
        .value_kind:     global_buffer
      - .offset:         56
        .size:           4
        .value_kind:     hidden_block_count_x
      - .offset:         60
        .size:           4
        .value_kind:     hidden_block_count_y
      - .offset:         64
        .size:           4
        .value_kind:     hidden_block_count_z
      - .offset:         68
        .size:           2
        .value_kind:     hidden_group_size_x
      - .offset:         70
        .size:           2
        .value_kind:     hidden_group_size_y
      - .offset:         72
        .size:           2
        .value_kind:     hidden_group_size_z
      - .offset:         74
        .size:           2
        .value_kind:     hidden_remainder_x
      - .offset:         76
        .size:           2
        .value_kind:     hidden_remainder_y
      - .offset:         78
        .size:           2
        .value_kind:     hidden_remainder_z
      - .offset:         96
        .size:           8
        .value_kind:     hidden_global_offset_x
      - .offset:         104
        .size:           8
        .value_kind:     hidden_global_offset_y
      - .offset:         112
        .size:           8
        .value_kind:     hidden_global_offset_z
      - .offset:         120
        .size:           2
        .value_kind:     hidden_grid_dims
      - .offset:         176
        .size:           4
        .value_kind:     hidden_dynamic_lds_size
    .group_segment_fixed_size: 0
    .kernarg_segment_align: 8
    .kernarg_segment_size: 312
    .language:       OpenCL C
    .language_version:
      - 2
      - 0
    .max_flat_workgroup_size: 1024
    .name:           _ZN2at6native12_GLOBAL__N_128vectorized_layer_norm_kernelIffLb0EEEviT0_PKT_S6_S6_PS3_S7_PS4_
    .private_segment_fixed_size: 0
    .sgpr_count:     37
    .sgpr_spill_count: 0
    .symbol:         _ZN2at6native12_GLOBAL__N_128vectorized_layer_norm_kernelIffLb0EEEviT0_PKT_S6_S6_PS3_S7_PS4_.kd
    .uniform_work_group_size: 1
    .uses_dynamic_stack: false
    .vgpr_count:     34
    .vgpr_spill_count: 0
    .wavefront_size: 64
  - .agpr_count:     0
    .args:
      - .offset:         0
        .size:           8
        .value_kind:     by_value
      - .offset:         8
        .size:           4
        .value_kind:     by_value
      - .address_space:  global
        .offset:         16
        .size:           8
        .value_kind:     global_buffer
      - .address_space:  global
        .offset:         24
        .size:           8
        .value_kind:     global_buffer
      - .address_space:  global
        .offset:         32
        .size:           8
        .value_kind:     global_buffer
      - .offset:         40
        .size:           4
        .value_kind:     hidden_block_count_x
      - .offset:         44
        .size:           4
        .value_kind:     hidden_block_count_y
      - .offset:         48
        .size:           4
        .value_kind:     hidden_block_count_z
      - .offset:         52
        .size:           2
        .value_kind:     hidden_group_size_x
      - .offset:         54
        .size:           2
        .value_kind:     hidden_group_size_y
      - .offset:         56
        .size:           2
        .value_kind:     hidden_group_size_z
      - .offset:         58
        .size:           2
        .value_kind:     hidden_remainder_x
      - .offset:         60
        .size:           2
        .value_kind:     hidden_remainder_y
      - .offset:         62
        .size:           2
        .value_kind:     hidden_remainder_z
      - .offset:         80
        .size:           8
        .value_kind:     hidden_global_offset_x
      - .offset:         88
        .size:           8
        .value_kind:     hidden_global_offset_y
      - .offset:         96
        .size:           8
        .value_kind:     hidden_global_offset_z
      - .offset:         104
        .size:           2
        .value_kind:     hidden_grid_dims
    .group_segment_fixed_size: 1536
    .kernarg_segment_align: 8
    .kernarg_segment_size: 296
    .language:       OpenCL C
    .language_version:
      - 2
      - 0
    .max_flat_workgroup_size: 1024
    .name:           _ZN2at6native12_GLOBAL__N_124RowwiseMomentsCUDAKernelIffLb0EEEvlT0_PKT_PS3_S7_
    .private_segment_fixed_size: 0
    .sgpr_count:     29
    .sgpr_spill_count: 0
    .symbol:         _ZN2at6native12_GLOBAL__N_124RowwiseMomentsCUDAKernelIffLb0EEEvlT0_PKT_PS3_S7_.kd
    .uniform_work_group_size: 1
    .uses_dynamic_stack: false
    .vgpr_count:     21
    .vgpr_spill_count: 0
    .wavefront_size: 64
  - .agpr_count:     0
    .args:
      - .offset:         0
        .size:           8
        .value_kind:     by_value
      - .address_space:  global
        .offset:         8
        .size:           8
        .value_kind:     global_buffer
      - .address_space:  global
        .offset:         16
        .size:           8
        .value_kind:     global_buffer
      - .address_space:  global
        .offset:         24
        .size:           8
        .value_kind:     global_buffer
      - .address_space:  global
        .offset:         32
        .size:           8
        .value_kind:     global_buffer
      - .address_space:  global
        .offset:         40
        .size:           8
        .value_kind:     global_buffer
      - .address_space:  global
        .offset:         48
        .size:           8
        .value_kind:     global_buffer
      - .offset:         56
        .size:           4
        .value_kind:     hidden_block_count_x
      - .offset:         60
        .size:           4
        .value_kind:     hidden_block_count_y
      - .offset:         64
        .size:           4
        .value_kind:     hidden_block_count_z
      - .offset:         68
        .size:           2
        .value_kind:     hidden_group_size_x
      - .offset:         70
        .size:           2
        .value_kind:     hidden_group_size_y
      - .offset:         72
        .size:           2
        .value_kind:     hidden_group_size_z
      - .offset:         74
        .size:           2
        .value_kind:     hidden_remainder_x
      - .offset:         76
        .size:           2
        .value_kind:     hidden_remainder_y
      - .offset:         78
        .size:           2
        .value_kind:     hidden_remainder_z
      - .offset:         96
        .size:           8
        .value_kind:     hidden_global_offset_x
      - .offset:         104
        .size:           8
        .value_kind:     hidden_global_offset_y
      - .offset:         112
        .size:           8
        .value_kind:     hidden_global_offset_z
      - .offset:         120
        .size:           2
        .value_kind:     hidden_grid_dims
    .group_segment_fixed_size: 0
    .kernarg_segment_align: 8
    .kernarg_segment_size: 312
    .language:       OpenCL C
    .language_version:
      - 2
      - 0
    .max_flat_workgroup_size: 1024
    .name:           _ZN2at6native12_GLOBAL__N_126LayerNormForwardCUDAKernelIffLb0EEEvlPKT_PKT0_S8_S5_S5_PS3_
    .private_segment_fixed_size: 0
    .sgpr_count:     32
    .sgpr_spill_count: 0
    .symbol:         _ZN2at6native12_GLOBAL__N_126LayerNormForwardCUDAKernelIffLb0EEEvlPKT_PKT0_S8_S5_S5_PS3_.kd
    .uniform_work_group_size: 1
    .uses_dynamic_stack: false
    .vgpr_count:     12
    .vgpr_spill_count: 0
    .wavefront_size: 64
  - .agpr_count:     0
    .args:
      - .offset:         0
        .size:           4
        .value_kind:     by_value
      - .offset:         4
        .size:           4
        .value_kind:     by_value
      - .actual_access:  read_only
        .address_space:  global
        .offset:         8
        .size:           8
        .value_kind:     global_buffer
      - .address_space:  global
        .offset:         16
        .size:           8
        .value_kind:     global_buffer
      - .address_space:  global
        .offset:         24
        .size:           8
        .value_kind:     global_buffer
      - .address_space:  global
        .offset:         32
        .size:           8
        .value_kind:     global_buffer
      - .address_space:  global
        .offset:         40
        .size:           8
        .value_kind:     global_buffer
      - .address_space:  global
        .offset:         48
        .size:           8
        .value_kind:     global_buffer
      - .offset:         56
        .size:           4
        .value_kind:     hidden_block_count_x
      - .offset:         60
        .size:           4
        .value_kind:     hidden_block_count_y
      - .offset:         64
        .size:           4
        .value_kind:     hidden_block_count_z
      - .offset:         68
        .size:           2
        .value_kind:     hidden_group_size_x
      - .offset:         70
        .size:           2
        .value_kind:     hidden_group_size_y
      - .offset:         72
        .size:           2
        .value_kind:     hidden_group_size_z
      - .offset:         74
        .size:           2
        .value_kind:     hidden_remainder_x
      - .offset:         76
        .size:           2
        .value_kind:     hidden_remainder_y
      - .offset:         78
        .size:           2
        .value_kind:     hidden_remainder_z
      - .offset:         96
        .size:           8
        .value_kind:     hidden_global_offset_x
      - .offset:         104
        .size:           8
        .value_kind:     hidden_global_offset_y
      - .offset:         112
        .size:           8
        .value_kind:     hidden_global_offset_z
      - .offset:         120
        .size:           2
        .value_kind:     hidden_grid_dims
      - .offset:         176
        .size:           4
        .value_kind:     hidden_dynamic_lds_size
    .group_segment_fixed_size: 0
    .kernarg_segment_align: 8
    .kernarg_segment_size: 312
    .language:       OpenCL C
    .language_version:
      - 2
      - 0
    .max_flat_workgroup_size: 1024
    .name:           _ZN2at6native12_GLOBAL__N_128vectorized_layer_norm_kernelIN3c104HalfEfLb0EEEviT0_PKT_S8_S8_PS5_S9_PS6_
    .private_segment_fixed_size: 0
    .sgpr_count:     37
    .sgpr_spill_count: 0
    .symbol:         _ZN2at6native12_GLOBAL__N_128vectorized_layer_norm_kernelIN3c104HalfEfLb0EEEviT0_PKT_S8_S8_PS5_S9_PS6_.kd
    .uniform_work_group_size: 1
    .uses_dynamic_stack: false
    .vgpr_count:     32
    .vgpr_spill_count: 0
    .wavefront_size: 64
  - .agpr_count:     0
    .args:
      - .offset:         0
        .size:           8
        .value_kind:     by_value
      - .offset:         8
        .size:           4
        .value_kind:     by_value
      - .address_space:  global
        .offset:         16
        .size:           8
        .value_kind:     global_buffer
      - .address_space:  global
        .offset:         24
        .size:           8
        .value_kind:     global_buffer
      - .address_space:  global
        .offset:         32
        .size:           8
        .value_kind:     global_buffer
      - .offset:         40
        .size:           4
        .value_kind:     hidden_block_count_x
      - .offset:         44
        .size:           4
        .value_kind:     hidden_block_count_y
      - .offset:         48
        .size:           4
        .value_kind:     hidden_block_count_z
      - .offset:         52
        .size:           2
        .value_kind:     hidden_group_size_x
      - .offset:         54
        .size:           2
        .value_kind:     hidden_group_size_y
      - .offset:         56
        .size:           2
        .value_kind:     hidden_group_size_z
      - .offset:         58
        .size:           2
        .value_kind:     hidden_remainder_x
      - .offset:         60
        .size:           2
        .value_kind:     hidden_remainder_y
      - .offset:         62
        .size:           2
        .value_kind:     hidden_remainder_z
      - .offset:         80
        .size:           8
        .value_kind:     hidden_global_offset_x
      - .offset:         88
        .size:           8
        .value_kind:     hidden_global_offset_y
      - .offset:         96
        .size:           8
        .value_kind:     hidden_global_offset_z
      - .offset:         104
        .size:           2
        .value_kind:     hidden_grid_dims
    .group_segment_fixed_size: 1536
    .kernarg_segment_align: 8
    .kernarg_segment_size: 296
    .language:       OpenCL C
    .language_version:
      - 2
      - 0
    .max_flat_workgroup_size: 1024
    .name:           _ZN2at6native12_GLOBAL__N_124RowwiseMomentsCUDAKernelIN3c104HalfEfLb0EEEvlT0_PKT_PS5_S9_
    .private_segment_fixed_size: 0
    .sgpr_count:     29
    .sgpr_spill_count: 0
    .symbol:         _ZN2at6native12_GLOBAL__N_124RowwiseMomentsCUDAKernelIN3c104HalfEfLb0EEEvlT0_PKT_PS5_S9_.kd
    .uniform_work_group_size: 1
    .uses_dynamic_stack: false
    .vgpr_count:     21
    .vgpr_spill_count: 0
    .wavefront_size: 64
  - .agpr_count:     0
    .args:
      - .offset:         0
        .size:           8
        .value_kind:     by_value
      - .address_space:  global
        .offset:         8
        .size:           8
        .value_kind:     global_buffer
      - .address_space:  global
        .offset:         16
        .size:           8
        .value_kind:     global_buffer
      - .address_space:  global
        .offset:         24
        .size:           8
        .value_kind:     global_buffer
      - .address_space:  global
        .offset:         32
        .size:           8
        .value_kind:     global_buffer
      - .address_space:  global
        .offset:         40
        .size:           8
        .value_kind:     global_buffer
      - .address_space:  global
        .offset:         48
        .size:           8
        .value_kind:     global_buffer
      - .offset:         56
        .size:           4
        .value_kind:     hidden_block_count_x
      - .offset:         60
        .size:           4
        .value_kind:     hidden_block_count_y
      - .offset:         64
        .size:           4
        .value_kind:     hidden_block_count_z
      - .offset:         68
        .size:           2
        .value_kind:     hidden_group_size_x
      - .offset:         70
        .size:           2
        .value_kind:     hidden_group_size_y
      - .offset:         72
        .size:           2
        .value_kind:     hidden_group_size_z
      - .offset:         74
        .size:           2
        .value_kind:     hidden_remainder_x
      - .offset:         76
        .size:           2
        .value_kind:     hidden_remainder_y
      - .offset:         78
        .size:           2
        .value_kind:     hidden_remainder_z
      - .offset:         96
        .size:           8
        .value_kind:     hidden_global_offset_x
      - .offset:         104
        .size:           8
        .value_kind:     hidden_global_offset_y
      - .offset:         112
        .size:           8
        .value_kind:     hidden_global_offset_z
      - .offset:         120
        .size:           2
        .value_kind:     hidden_grid_dims
    .group_segment_fixed_size: 0
    .kernarg_segment_align: 8
    .kernarg_segment_size: 312
    .language:       OpenCL C
    .language_version:
      - 2
      - 0
    .max_flat_workgroup_size: 1024
    .name:           _ZN2at6native12_GLOBAL__N_126LayerNormForwardCUDAKernelIN3c104HalfEfLb0EEEvlPKT_PKT0_SA_S7_S7_PS5_
    .private_segment_fixed_size: 0
    .sgpr_count:     35
    .sgpr_spill_count: 0
    .symbol:         _ZN2at6native12_GLOBAL__N_126LayerNormForwardCUDAKernelIN3c104HalfEfLb0EEEvlPKT_PKT0_SA_S7_S7_PS5_.kd
    .uniform_work_group_size: 1
    .uses_dynamic_stack: false
    .vgpr_count:     9
    .vgpr_spill_count: 0
    .wavefront_size: 64
  - .agpr_count:     0
    .args:
      - .offset:         0
        .size:           4
        .value_kind:     by_value
      - .offset:         4
        .size:           4
        .value_kind:     by_value
      - .actual_access:  read_only
        .address_space:  global
        .offset:         8
        .size:           8
        .value_kind:     global_buffer
      - .address_space:  global
        .offset:         16
        .size:           8
        .value_kind:     global_buffer
      - .address_space:  global
        .offset:         24
        .size:           8
        .value_kind:     global_buffer
      - .address_space:  global
        .offset:         32
        .size:           8
        .value_kind:     global_buffer
      - .address_space:  global
        .offset:         40
        .size:           8
        .value_kind:     global_buffer
      - .address_space:  global
        .offset:         48
        .size:           8
        .value_kind:     global_buffer
      - .offset:         56
        .size:           4
        .value_kind:     hidden_block_count_x
      - .offset:         60
        .size:           4
        .value_kind:     hidden_block_count_y
      - .offset:         64
        .size:           4
        .value_kind:     hidden_block_count_z
      - .offset:         68
        .size:           2
        .value_kind:     hidden_group_size_x
      - .offset:         70
        .size:           2
        .value_kind:     hidden_group_size_y
      - .offset:         72
        .size:           2
        .value_kind:     hidden_group_size_z
      - .offset:         74
        .size:           2
        .value_kind:     hidden_remainder_x
      - .offset:         76
        .size:           2
        .value_kind:     hidden_remainder_y
      - .offset:         78
        .size:           2
        .value_kind:     hidden_remainder_z
      - .offset:         96
        .size:           8
        .value_kind:     hidden_global_offset_x
      - .offset:         104
        .size:           8
        .value_kind:     hidden_global_offset_y
      - .offset:         112
        .size:           8
        .value_kind:     hidden_global_offset_z
      - .offset:         120
        .size:           2
        .value_kind:     hidden_grid_dims
      - .offset:         176
        .size:           4
        .value_kind:     hidden_dynamic_lds_size
    .group_segment_fixed_size: 0
    .kernarg_segment_align: 8
    .kernarg_segment_size: 312
    .language:       OpenCL C
    .language_version:
      - 2
      - 0
    .max_flat_workgroup_size: 1024
    .name:           _ZN2at6native12_GLOBAL__N_128vectorized_layer_norm_kernelIN3c108BFloat16EfLb0EEEviT0_PKT_S8_S8_PS5_S9_PS6_
    .private_segment_fixed_size: 0
    .sgpr_count:     37
    .sgpr_spill_count: 0
    .symbol:         _ZN2at6native12_GLOBAL__N_128vectorized_layer_norm_kernelIN3c108BFloat16EfLb0EEEviT0_PKT_S8_S8_PS5_S9_PS6_.kd
    .uniform_work_group_size: 1
    .uses_dynamic_stack: false
    .vgpr_count:     32
    .vgpr_spill_count: 0
    .wavefront_size: 64
  - .agpr_count:     0
    .args:
      - .offset:         0
        .size:           8
        .value_kind:     by_value
      - .offset:         8
        .size:           4
        .value_kind:     by_value
      - .address_space:  global
        .offset:         16
        .size:           8
        .value_kind:     global_buffer
      - .address_space:  global
        .offset:         24
        .size:           8
        .value_kind:     global_buffer
      - .address_space:  global
        .offset:         32
        .size:           8
        .value_kind:     global_buffer
      - .offset:         40
        .size:           4
        .value_kind:     hidden_block_count_x
      - .offset:         44
        .size:           4
        .value_kind:     hidden_block_count_y
      - .offset:         48
        .size:           4
        .value_kind:     hidden_block_count_z
      - .offset:         52
        .size:           2
        .value_kind:     hidden_group_size_x
      - .offset:         54
        .size:           2
        .value_kind:     hidden_group_size_y
      - .offset:         56
        .size:           2
        .value_kind:     hidden_group_size_z
      - .offset:         58
        .size:           2
        .value_kind:     hidden_remainder_x
      - .offset:         60
        .size:           2
        .value_kind:     hidden_remainder_y
      - .offset:         62
        .size:           2
        .value_kind:     hidden_remainder_z
      - .offset:         80
        .size:           8
        .value_kind:     hidden_global_offset_x
      - .offset:         88
        .size:           8
        .value_kind:     hidden_global_offset_y
      - .offset:         96
        .size:           8
        .value_kind:     hidden_global_offset_z
      - .offset:         104
        .size:           2
        .value_kind:     hidden_grid_dims
    .group_segment_fixed_size: 1536
    .kernarg_segment_align: 8
    .kernarg_segment_size: 296
    .language:       OpenCL C
    .language_version:
      - 2
      - 0
    .max_flat_workgroup_size: 1024
    .name:           _ZN2at6native12_GLOBAL__N_124RowwiseMomentsCUDAKernelIN3c108BFloat16EfLb0EEEvlT0_PKT_PS5_S9_
    .private_segment_fixed_size: 0
    .sgpr_count:     29
    .sgpr_spill_count: 0
    .symbol:         _ZN2at6native12_GLOBAL__N_124RowwiseMomentsCUDAKernelIN3c108BFloat16EfLb0EEEvlT0_PKT_PS5_S9_.kd
    .uniform_work_group_size: 1
    .uses_dynamic_stack: false
    .vgpr_count:     21
    .vgpr_spill_count: 0
    .wavefront_size: 64
  - .agpr_count:     0
    .args:
      - .offset:         0
        .size:           8
        .value_kind:     by_value
      - .address_space:  global
        .offset:         8
        .size:           8
        .value_kind:     global_buffer
      - .address_space:  global
        .offset:         16
        .size:           8
        .value_kind:     global_buffer
      - .address_space:  global
        .offset:         24
        .size:           8
        .value_kind:     global_buffer
      - .address_space:  global
        .offset:         32
        .size:           8
        .value_kind:     global_buffer
      - .address_space:  global
        .offset:         40
        .size:           8
        .value_kind:     global_buffer
      - .address_space:  global
        .offset:         48
        .size:           8
        .value_kind:     global_buffer
      - .offset:         56
        .size:           4
        .value_kind:     hidden_block_count_x
      - .offset:         60
        .size:           4
        .value_kind:     hidden_block_count_y
      - .offset:         64
        .size:           4
        .value_kind:     hidden_block_count_z
      - .offset:         68
        .size:           2
        .value_kind:     hidden_group_size_x
      - .offset:         70
        .size:           2
        .value_kind:     hidden_group_size_y
      - .offset:         72
        .size:           2
        .value_kind:     hidden_group_size_z
      - .offset:         74
        .size:           2
        .value_kind:     hidden_remainder_x
      - .offset:         76
        .size:           2
        .value_kind:     hidden_remainder_y
      - .offset:         78
        .size:           2
        .value_kind:     hidden_remainder_z
      - .offset:         96
        .size:           8
        .value_kind:     hidden_global_offset_x
      - .offset:         104
        .size:           8
        .value_kind:     hidden_global_offset_y
      - .offset:         112
        .size:           8
        .value_kind:     hidden_global_offset_z
      - .offset:         120
        .size:           2
        .value_kind:     hidden_grid_dims
    .group_segment_fixed_size: 0
    .kernarg_segment_align: 8
    .kernarg_segment_size: 312
    .language:       OpenCL C
    .language_version:
      - 2
      - 0
    .max_flat_workgroup_size: 1024
    .name:           _ZN2at6native12_GLOBAL__N_126LayerNormForwardCUDAKernelIN3c108BFloat16EfLb0EEEvlPKT_PKT0_SA_S7_S7_PS5_
    .private_segment_fixed_size: 0
    .sgpr_count:     35
    .sgpr_spill_count: 0
    .symbol:         _ZN2at6native12_GLOBAL__N_126LayerNormForwardCUDAKernelIN3c108BFloat16EfLb0EEEvlPKT_PKT0_SA_S7_S7_PS5_.kd
    .uniform_work_group_size: 1
    .uses_dynamic_stack: false
    .vgpr_count:     10
    .vgpr_spill_count: 0
    .wavefront_size: 64
  - .agpr_count:     0
    .args:
      - .offset:         0
        .size:           4
        .value_kind:     by_value
      - .offset:         8
        .size:           8
        .value_kind:     by_value
      - .actual_access:  read_only
        .address_space:  global
        .offset:         16
        .size:           8
        .value_kind:     global_buffer
      - .address_space:  global
        .offset:         24
        .size:           8
        .value_kind:     global_buffer
      - .address_space:  global
        .offset:         32
        .size:           8
        .value_kind:     global_buffer
      - .address_space:  global
        .offset:         40
        .size:           8
        .value_kind:     global_buffer
      - .address_space:  global
        .offset:         48
        .size:           8
        .value_kind:     global_buffer
      - .address_space:  global
        .offset:         56
        .size:           8
        .value_kind:     global_buffer
    .group_segment_fixed_size: 0
    .kernarg_segment_align: 8
    .kernarg_segment_size: 64
    .language:       OpenCL C
    .language_version:
      - 2
      - 0
    .max_flat_workgroup_size: 1024
    .name:           _ZN2at6native12_GLOBAL__N_128vectorized_layer_norm_kernelIddLb1EEEviT0_PKT_S6_S6_PS3_S7_PS4_
    .private_segment_fixed_size: 0
    .sgpr_count:     6
    .sgpr_spill_count: 0
    .symbol:         _ZN2at6native12_GLOBAL__N_128vectorized_layer_norm_kernelIddLb1EEEviT0_PKT_S6_S6_PS3_S7_PS4_.kd
    .uniform_work_group_size: 1
    .uses_dynamic_stack: false
    .vgpr_count:     0
    .vgpr_spill_count: 0
    .wavefront_size: 64
  - .agpr_count:     0
    .args:
      - .offset:         0
        .size:           8
        .value_kind:     by_value
      - .offset:         8
        .size:           8
        .value_kind:     by_value
      - .address_space:  global
        .offset:         16
        .size:           8
        .value_kind:     global_buffer
      - .address_space:  global
        .offset:         24
        .size:           8
        .value_kind:     global_buffer
      - .address_space:  global
        .offset:         32
        .size:           8
        .value_kind:     global_buffer
      - .offset:         40
        .size:           4
        .value_kind:     hidden_block_count_x
      - .offset:         44
        .size:           4
        .value_kind:     hidden_block_count_y
      - .offset:         48
        .size:           4
        .value_kind:     hidden_block_count_z
      - .offset:         52
        .size:           2
        .value_kind:     hidden_group_size_x
      - .offset:         54
        .size:           2
        .value_kind:     hidden_group_size_y
      - .offset:         56
        .size:           2
        .value_kind:     hidden_group_size_z
      - .offset:         58
        .size:           2
        .value_kind:     hidden_remainder_x
      - .offset:         60
        .size:           2
        .value_kind:     hidden_remainder_y
      - .offset:         62
        .size:           2
        .value_kind:     hidden_remainder_z
      - .offset:         80
        .size:           8
        .value_kind:     hidden_global_offset_x
      - .offset:         88
        .size:           8
        .value_kind:     hidden_global_offset_y
      - .offset:         96
        .size:           8
        .value_kind:     hidden_global_offset_z
      - .offset:         104
        .size:           2
        .value_kind:     hidden_grid_dims
    .group_segment_fixed_size: 2048
    .kernarg_segment_align: 8
    .kernarg_segment_size: 296
    .language:       OpenCL C
    .language_version:
      - 2
      - 0
    .max_flat_workgroup_size: 1024
    .name:           _ZN2at6native12_GLOBAL__N_124RowwiseMomentsCUDAKernelIddLb1EEEvlT0_PKT_PS3_S7_
    .private_segment_fixed_size: 0
    .sgpr_count:     26
    .sgpr_spill_count: 0
    .symbol:         _ZN2at6native12_GLOBAL__N_124RowwiseMomentsCUDAKernelIddLb1EEEvlT0_PKT_PS3_S7_.kd
    .uniform_work_group_size: 1
    .uses_dynamic_stack: false
    .vgpr_count:     30
    .vgpr_spill_count: 0
    .wavefront_size: 64
  - .agpr_count:     0
    .args:
      - .offset:         0
        .size:           8
        .value_kind:     by_value
      - .address_space:  global
        .offset:         8
        .size:           8
        .value_kind:     global_buffer
      - .address_space:  global
        .offset:         16
        .size:           8
        .value_kind:     global_buffer
      - .address_space:  global
        .offset:         24
        .size:           8
        .value_kind:     global_buffer
      - .address_space:  global
        .offset:         32
        .size:           8
        .value_kind:     global_buffer
      - .address_space:  global
        .offset:         40
        .size:           8
        .value_kind:     global_buffer
      - .address_space:  global
        .offset:         48
        .size:           8
        .value_kind:     global_buffer
      - .offset:         56
        .size:           4
        .value_kind:     hidden_block_count_x
      - .offset:         60
        .size:           4
        .value_kind:     hidden_block_count_y
      - .offset:         64
        .size:           4
        .value_kind:     hidden_block_count_z
      - .offset:         68
        .size:           2
        .value_kind:     hidden_group_size_x
      - .offset:         70
        .size:           2
        .value_kind:     hidden_group_size_y
      - .offset:         72
        .size:           2
        .value_kind:     hidden_group_size_z
      - .offset:         74
        .size:           2
        .value_kind:     hidden_remainder_x
      - .offset:         76
        .size:           2
        .value_kind:     hidden_remainder_y
      - .offset:         78
        .size:           2
        .value_kind:     hidden_remainder_z
      - .offset:         96
        .size:           8
        .value_kind:     hidden_global_offset_x
      - .offset:         104
        .size:           8
        .value_kind:     hidden_global_offset_y
      - .offset:         112
        .size:           8
        .value_kind:     hidden_global_offset_z
      - .offset:         120
        .size:           2
        .value_kind:     hidden_grid_dims
    .group_segment_fixed_size: 0
    .kernarg_segment_align: 8
    .kernarg_segment_size: 312
    .language:       OpenCL C
    .language_version:
      - 2
      - 0
    .max_flat_workgroup_size: 1024
    .name:           _ZN2at6native12_GLOBAL__N_126LayerNormForwardCUDAKernelIddLb1EEEvlPKT_PKT0_S8_S5_S5_PS3_
    .private_segment_fixed_size: 0
    .sgpr_count:     26
    .sgpr_spill_count: 0
    .symbol:         _ZN2at6native12_GLOBAL__N_126LayerNormForwardCUDAKernelIddLb1EEEvlPKT_PKT0_S8_S5_S5_PS3_.kd
    .uniform_work_group_size: 1
    .uses_dynamic_stack: false
    .vgpr_count:     14
    .vgpr_spill_count: 0
    .wavefront_size: 64
  - .agpr_count:     0
    .args:
      - .offset:         0
        .size:           4
        .value_kind:     by_value
      - .offset:         4
        .size:           4
        .value_kind:     by_value
      - .actual_access:  read_only
        .address_space:  global
        .offset:         8
        .size:           8
        .value_kind:     global_buffer
      - .address_space:  global
        .offset:         16
        .size:           8
        .value_kind:     global_buffer
      - .address_space:  global
        .offset:         24
        .size:           8
        .value_kind:     global_buffer
      - .address_space:  global
        .offset:         32
        .size:           8
        .value_kind:     global_buffer
      - .address_space:  global
        .offset:         40
        .size:           8
        .value_kind:     global_buffer
      - .address_space:  global
        .offset:         48
        .size:           8
        .value_kind:     global_buffer
      - .offset:         56
        .size:           4
        .value_kind:     hidden_block_count_x
      - .offset:         60
        .size:           4
        .value_kind:     hidden_block_count_y
      - .offset:         64
        .size:           4
        .value_kind:     hidden_block_count_z
      - .offset:         68
        .size:           2
        .value_kind:     hidden_group_size_x
      - .offset:         70
        .size:           2
        .value_kind:     hidden_group_size_y
      - .offset:         72
        .size:           2
        .value_kind:     hidden_group_size_z
      - .offset:         74
        .size:           2
        .value_kind:     hidden_remainder_x
      - .offset:         76
        .size:           2
        .value_kind:     hidden_remainder_y
      - .offset:         78
        .size:           2
        .value_kind:     hidden_remainder_z
      - .offset:         96
        .size:           8
        .value_kind:     hidden_global_offset_x
      - .offset:         104
        .size:           8
        .value_kind:     hidden_global_offset_y
      - .offset:         112
        .size:           8
        .value_kind:     hidden_global_offset_z
      - .offset:         120
        .size:           2
        .value_kind:     hidden_grid_dims
      - .offset:         176
        .size:           4
        .value_kind:     hidden_dynamic_lds_size
    .group_segment_fixed_size: 0
    .kernarg_segment_align: 8
    .kernarg_segment_size: 312
    .language:       OpenCL C
    .language_version:
      - 2
      - 0
    .max_flat_workgroup_size: 1024
    .name:           _ZN2at6native12_GLOBAL__N_128vectorized_layer_norm_kernelIffLb1EEEviT0_PKT_S6_S6_PS3_S7_PS4_
    .private_segment_fixed_size: 0
    .sgpr_count:     35
    .sgpr_spill_count: 0
    .symbol:         _ZN2at6native12_GLOBAL__N_128vectorized_layer_norm_kernelIffLb1EEEviT0_PKT_S6_S6_PS3_S7_PS4_.kd
    .uniform_work_group_size: 1
    .uses_dynamic_stack: false
    .vgpr_count:     20
    .vgpr_spill_count: 0
    .wavefront_size: 64
  - .agpr_count:     0
    .args:
      - .offset:         0
        .size:           8
        .value_kind:     by_value
      - .offset:         8
        .size:           4
        .value_kind:     by_value
      - .address_space:  global
        .offset:         16
        .size:           8
        .value_kind:     global_buffer
      - .address_space:  global
        .offset:         24
        .size:           8
        .value_kind:     global_buffer
      - .address_space:  global
        .offset:         32
        .size:           8
        .value_kind:     global_buffer
      - .offset:         40
        .size:           4
        .value_kind:     hidden_block_count_x
      - .offset:         44
        .size:           4
        .value_kind:     hidden_block_count_y
      - .offset:         48
        .size:           4
        .value_kind:     hidden_block_count_z
      - .offset:         52
        .size:           2
        .value_kind:     hidden_group_size_x
      - .offset:         54
        .size:           2
        .value_kind:     hidden_group_size_y
      - .offset:         56
        .size:           2
        .value_kind:     hidden_group_size_z
      - .offset:         58
        .size:           2
        .value_kind:     hidden_remainder_x
      - .offset:         60
        .size:           2
        .value_kind:     hidden_remainder_y
      - .offset:         62
        .size:           2
        .value_kind:     hidden_remainder_z
      - .offset:         80
        .size:           8
        .value_kind:     hidden_global_offset_x
      - .offset:         88
        .size:           8
        .value_kind:     hidden_global_offset_y
      - .offset:         96
        .size:           8
        .value_kind:     hidden_global_offset_z
      - .offset:         104
        .size:           2
        .value_kind:     hidden_grid_dims
    .group_segment_fixed_size: 1536
    .kernarg_segment_align: 8
    .kernarg_segment_size: 296
    .language:       OpenCL C
    .language_version:
      - 2
      - 0
    .max_flat_workgroup_size: 1024
    .name:           _ZN2at6native12_GLOBAL__N_124RowwiseMomentsCUDAKernelIffLb1EEEvlT0_PKT_PS3_S7_
    .private_segment_fixed_size: 0
    .sgpr_count:     25
    .sgpr_spill_count: 0
    .symbol:         _ZN2at6native12_GLOBAL__N_124RowwiseMomentsCUDAKernelIffLb1EEEvlT0_PKT_PS3_S7_.kd
    .uniform_work_group_size: 1
    .uses_dynamic_stack: false
    .vgpr_count:     21
    .vgpr_spill_count: 0
    .wavefront_size: 64
  - .agpr_count:     0
    .args:
      - .offset:         0
        .size:           8
        .value_kind:     by_value
      - .address_space:  global
        .offset:         8
        .size:           8
        .value_kind:     global_buffer
      - .address_space:  global
        .offset:         16
        .size:           8
        .value_kind:     global_buffer
      - .address_space:  global
        .offset:         24
        .size:           8
        .value_kind:     global_buffer
      - .address_space:  global
        .offset:         32
        .size:           8
        .value_kind:     global_buffer
      - .address_space:  global
        .offset:         40
        .size:           8
        .value_kind:     global_buffer
      - .address_space:  global
        .offset:         48
        .size:           8
        .value_kind:     global_buffer
      - .offset:         56
        .size:           4
        .value_kind:     hidden_block_count_x
      - .offset:         60
        .size:           4
        .value_kind:     hidden_block_count_y
      - .offset:         64
        .size:           4
        .value_kind:     hidden_block_count_z
      - .offset:         68
        .size:           2
        .value_kind:     hidden_group_size_x
      - .offset:         70
        .size:           2
        .value_kind:     hidden_group_size_y
      - .offset:         72
        .size:           2
        .value_kind:     hidden_group_size_z
      - .offset:         74
        .size:           2
        .value_kind:     hidden_remainder_x
      - .offset:         76
        .size:           2
        .value_kind:     hidden_remainder_y
      - .offset:         78
        .size:           2
        .value_kind:     hidden_remainder_z
      - .offset:         96
        .size:           8
        .value_kind:     hidden_global_offset_x
      - .offset:         104
        .size:           8
        .value_kind:     hidden_global_offset_y
      - .offset:         112
        .size:           8
        .value_kind:     hidden_global_offset_z
      - .offset:         120
        .size:           2
        .value_kind:     hidden_grid_dims
    .group_segment_fixed_size: 0
    .kernarg_segment_align: 8
    .kernarg_segment_size: 312
    .language:       OpenCL C
    .language_version:
      - 2
      - 0
    .max_flat_workgroup_size: 1024
    .name:           _ZN2at6native12_GLOBAL__N_126LayerNormForwardCUDAKernelIffLb1EEEvlPKT_PKT0_S8_S5_S5_PS3_
    .private_segment_fixed_size: 0
    .sgpr_count:     26
    .sgpr_spill_count: 0
    .symbol:         _ZN2at6native12_GLOBAL__N_126LayerNormForwardCUDAKernelIffLb1EEEvlPKT_PKT0_S8_S5_S5_PS3_.kd
    .uniform_work_group_size: 1
    .uses_dynamic_stack: false
    .vgpr_count:     10
    .vgpr_spill_count: 0
    .wavefront_size: 64
  - .agpr_count:     0
    .args:
      - .offset:         0
        .size:           4
        .value_kind:     by_value
      - .offset:         4
        .size:           4
        .value_kind:     by_value
      - .actual_access:  read_only
        .address_space:  global
        .offset:         8
        .size:           8
        .value_kind:     global_buffer
      - .address_space:  global
        .offset:         16
        .size:           8
        .value_kind:     global_buffer
      - .address_space:  global
        .offset:         24
        .size:           8
        .value_kind:     global_buffer
      - .address_space:  global
        .offset:         32
        .size:           8
        .value_kind:     global_buffer
      - .address_space:  global
        .offset:         40
        .size:           8
        .value_kind:     global_buffer
      - .address_space:  global
        .offset:         48
        .size:           8
        .value_kind:     global_buffer
      - .offset:         56
        .size:           4
        .value_kind:     hidden_block_count_x
      - .offset:         60
        .size:           4
        .value_kind:     hidden_block_count_y
      - .offset:         64
        .size:           4
        .value_kind:     hidden_block_count_z
      - .offset:         68
        .size:           2
        .value_kind:     hidden_group_size_x
      - .offset:         70
        .size:           2
        .value_kind:     hidden_group_size_y
      - .offset:         72
        .size:           2
        .value_kind:     hidden_group_size_z
      - .offset:         74
        .size:           2
        .value_kind:     hidden_remainder_x
      - .offset:         76
        .size:           2
        .value_kind:     hidden_remainder_y
      - .offset:         78
        .size:           2
        .value_kind:     hidden_remainder_z
      - .offset:         96
        .size:           8
        .value_kind:     hidden_global_offset_x
      - .offset:         104
        .size:           8
        .value_kind:     hidden_global_offset_y
      - .offset:         112
        .size:           8
        .value_kind:     hidden_global_offset_z
      - .offset:         120
        .size:           2
        .value_kind:     hidden_grid_dims
      - .offset:         176
        .size:           4
        .value_kind:     hidden_dynamic_lds_size
    .group_segment_fixed_size: 0
    .kernarg_segment_align: 8
    .kernarg_segment_size: 312
    .language:       OpenCL C
    .language_version:
      - 2
      - 0
    .max_flat_workgroup_size: 1024
    .name:           _ZN2at6native12_GLOBAL__N_128vectorized_layer_norm_kernelIN3c104HalfEfLb1EEEviT0_PKT_S8_S8_PS5_S9_PS6_
    .private_segment_fixed_size: 0
    .sgpr_count:     35
    .sgpr_spill_count: 0
    .symbol:         _ZN2at6native12_GLOBAL__N_128vectorized_layer_norm_kernelIN3c104HalfEfLb1EEEviT0_PKT_S8_S8_PS5_S9_PS6_.kd
    .uniform_work_group_size: 1
    .uses_dynamic_stack: false
    .vgpr_count:     24
    .vgpr_spill_count: 0
    .wavefront_size: 64
  - .agpr_count:     0
    .args:
      - .offset:         0
        .size:           8
        .value_kind:     by_value
      - .offset:         8
        .size:           4
        .value_kind:     by_value
      - .address_space:  global
        .offset:         16
        .size:           8
        .value_kind:     global_buffer
      - .address_space:  global
        .offset:         24
        .size:           8
        .value_kind:     global_buffer
      - .address_space:  global
        .offset:         32
        .size:           8
        .value_kind:     global_buffer
      - .offset:         40
        .size:           4
        .value_kind:     hidden_block_count_x
      - .offset:         44
        .size:           4
        .value_kind:     hidden_block_count_y
      - .offset:         48
        .size:           4
        .value_kind:     hidden_block_count_z
      - .offset:         52
        .size:           2
        .value_kind:     hidden_group_size_x
      - .offset:         54
        .size:           2
        .value_kind:     hidden_group_size_y
      - .offset:         56
        .size:           2
        .value_kind:     hidden_group_size_z
      - .offset:         58
        .size:           2
        .value_kind:     hidden_remainder_x
      - .offset:         60
        .size:           2
        .value_kind:     hidden_remainder_y
      - .offset:         62
        .size:           2
        .value_kind:     hidden_remainder_z
      - .offset:         80
        .size:           8
        .value_kind:     hidden_global_offset_x
      - .offset:         88
        .size:           8
        .value_kind:     hidden_global_offset_y
      - .offset:         96
        .size:           8
        .value_kind:     hidden_global_offset_z
      - .offset:         104
        .size:           2
        .value_kind:     hidden_grid_dims
    .group_segment_fixed_size: 1536
    .kernarg_segment_align: 8
    .kernarg_segment_size: 296
    .language:       OpenCL C
    .language_version:
      - 2
      - 0
    .max_flat_workgroup_size: 1024
    .name:           _ZN2at6native12_GLOBAL__N_124RowwiseMomentsCUDAKernelIN3c104HalfEfLb1EEEvlT0_PKT_PS5_S9_
    .private_segment_fixed_size: 0
    .sgpr_count:     25
    .sgpr_spill_count: 0
    .symbol:         _ZN2at6native12_GLOBAL__N_124RowwiseMomentsCUDAKernelIN3c104HalfEfLb1EEEvlT0_PKT_PS5_S9_.kd
    .uniform_work_group_size: 1
    .uses_dynamic_stack: false
    .vgpr_count:     21
    .vgpr_spill_count: 0
    .wavefront_size: 64
  - .agpr_count:     0
    .args:
      - .offset:         0
        .size:           8
        .value_kind:     by_value
      - .address_space:  global
        .offset:         8
        .size:           8
        .value_kind:     global_buffer
      - .address_space:  global
        .offset:         16
        .size:           8
        .value_kind:     global_buffer
      - .address_space:  global
        .offset:         24
        .size:           8
        .value_kind:     global_buffer
      - .address_space:  global
        .offset:         32
        .size:           8
        .value_kind:     global_buffer
      - .address_space:  global
        .offset:         40
        .size:           8
        .value_kind:     global_buffer
      - .address_space:  global
        .offset:         48
        .size:           8
        .value_kind:     global_buffer
      - .offset:         56
        .size:           4
        .value_kind:     hidden_block_count_x
      - .offset:         60
        .size:           4
        .value_kind:     hidden_block_count_y
      - .offset:         64
        .size:           4
        .value_kind:     hidden_block_count_z
      - .offset:         68
        .size:           2
        .value_kind:     hidden_group_size_x
      - .offset:         70
        .size:           2
        .value_kind:     hidden_group_size_y
      - .offset:         72
        .size:           2
        .value_kind:     hidden_group_size_z
      - .offset:         74
        .size:           2
        .value_kind:     hidden_remainder_x
      - .offset:         76
        .size:           2
        .value_kind:     hidden_remainder_y
      - .offset:         78
        .size:           2
        .value_kind:     hidden_remainder_z
      - .offset:         96
        .size:           8
        .value_kind:     hidden_global_offset_x
      - .offset:         104
        .size:           8
        .value_kind:     hidden_global_offset_y
      - .offset:         112
        .size:           8
        .value_kind:     hidden_global_offset_z
      - .offset:         120
        .size:           2
        .value_kind:     hidden_grid_dims
    .group_segment_fixed_size: 0
    .kernarg_segment_align: 8
    .kernarg_segment_size: 312
    .language:       OpenCL C
    .language_version:
      - 2
      - 0
    .max_flat_workgroup_size: 1024
    .name:           _ZN2at6native12_GLOBAL__N_126LayerNormForwardCUDAKernelIN3c104HalfEfLb1EEEvlPKT_PKT0_SA_S7_S7_PS5_
    .private_segment_fixed_size: 0
    .sgpr_count:     26
    .sgpr_spill_count: 0
    .symbol:         _ZN2at6native12_GLOBAL__N_126LayerNormForwardCUDAKernelIN3c104HalfEfLb1EEEvlPKT_PKT0_SA_S7_S7_PS5_.kd
    .uniform_work_group_size: 1
    .uses_dynamic_stack: false
    .vgpr_count:     8
    .vgpr_spill_count: 0
    .wavefront_size: 64
  - .agpr_count:     0
    .args:
      - .offset:         0
        .size:           4
        .value_kind:     by_value
      - .offset:         4
        .size:           4
        .value_kind:     by_value
      - .actual_access:  read_only
        .address_space:  global
        .offset:         8
        .size:           8
        .value_kind:     global_buffer
      - .address_space:  global
        .offset:         16
        .size:           8
        .value_kind:     global_buffer
      - .address_space:  global
        .offset:         24
        .size:           8
        .value_kind:     global_buffer
      - .address_space:  global
        .offset:         32
        .size:           8
        .value_kind:     global_buffer
      - .address_space:  global
        .offset:         40
        .size:           8
        .value_kind:     global_buffer
      - .address_space:  global
        .offset:         48
        .size:           8
        .value_kind:     global_buffer
      - .offset:         56
        .size:           4
        .value_kind:     hidden_block_count_x
      - .offset:         60
        .size:           4
        .value_kind:     hidden_block_count_y
      - .offset:         64
        .size:           4
        .value_kind:     hidden_block_count_z
      - .offset:         68
        .size:           2
        .value_kind:     hidden_group_size_x
      - .offset:         70
        .size:           2
        .value_kind:     hidden_group_size_y
      - .offset:         72
        .size:           2
        .value_kind:     hidden_group_size_z
      - .offset:         74
        .size:           2
        .value_kind:     hidden_remainder_x
      - .offset:         76
        .size:           2
        .value_kind:     hidden_remainder_y
      - .offset:         78
        .size:           2
        .value_kind:     hidden_remainder_z
      - .offset:         96
        .size:           8
        .value_kind:     hidden_global_offset_x
      - .offset:         104
        .size:           8
        .value_kind:     hidden_global_offset_y
      - .offset:         112
        .size:           8
        .value_kind:     hidden_global_offset_z
      - .offset:         120
        .size:           2
        .value_kind:     hidden_grid_dims
      - .offset:         176
        .size:           4
        .value_kind:     hidden_dynamic_lds_size
    .group_segment_fixed_size: 0
    .kernarg_segment_align: 8
    .kernarg_segment_size: 312
    .language:       OpenCL C
    .language_version:
      - 2
      - 0
    .max_flat_workgroup_size: 1024
    .name:           _ZN2at6native12_GLOBAL__N_128vectorized_layer_norm_kernelIN3c108BFloat16EfLb1EEEviT0_PKT_S8_S8_PS5_S9_PS6_
    .private_segment_fixed_size: 0
    .sgpr_count:     35
    .sgpr_spill_count: 0
    .symbol:         _ZN2at6native12_GLOBAL__N_128vectorized_layer_norm_kernelIN3c108BFloat16EfLb1EEEviT0_PKT_S8_S8_PS5_S9_PS6_.kd
    .uniform_work_group_size: 1
    .uses_dynamic_stack: false
    .vgpr_count:     24
    .vgpr_spill_count: 0
    .wavefront_size: 64
  - .agpr_count:     0
    .args:
      - .offset:         0
        .size:           8
        .value_kind:     by_value
      - .offset:         8
        .size:           4
        .value_kind:     by_value
      - .address_space:  global
        .offset:         16
        .size:           8
        .value_kind:     global_buffer
      - .address_space:  global
        .offset:         24
        .size:           8
        .value_kind:     global_buffer
      - .address_space:  global
        .offset:         32
        .size:           8
        .value_kind:     global_buffer
      - .offset:         40
        .size:           4
        .value_kind:     hidden_block_count_x
      - .offset:         44
        .size:           4
        .value_kind:     hidden_block_count_y
      - .offset:         48
        .size:           4
        .value_kind:     hidden_block_count_z
      - .offset:         52
        .size:           2
        .value_kind:     hidden_group_size_x
      - .offset:         54
        .size:           2
        .value_kind:     hidden_group_size_y
      - .offset:         56
        .size:           2
        .value_kind:     hidden_group_size_z
      - .offset:         58
        .size:           2
        .value_kind:     hidden_remainder_x
      - .offset:         60
        .size:           2
        .value_kind:     hidden_remainder_y
      - .offset:         62
        .size:           2
        .value_kind:     hidden_remainder_z
      - .offset:         80
        .size:           8
        .value_kind:     hidden_global_offset_x
      - .offset:         88
        .size:           8
        .value_kind:     hidden_global_offset_y
      - .offset:         96
        .size:           8
        .value_kind:     hidden_global_offset_z
      - .offset:         104
        .size:           2
        .value_kind:     hidden_grid_dims
    .group_segment_fixed_size: 1536
    .kernarg_segment_align: 8
    .kernarg_segment_size: 296
    .language:       OpenCL C
    .language_version:
      - 2
      - 0
    .max_flat_workgroup_size: 1024
    .name:           _ZN2at6native12_GLOBAL__N_124RowwiseMomentsCUDAKernelIN3c108BFloat16EfLb1EEEvlT0_PKT_PS5_S9_
    .private_segment_fixed_size: 0
    .sgpr_count:     25
    .sgpr_spill_count: 0
    .symbol:         _ZN2at6native12_GLOBAL__N_124RowwiseMomentsCUDAKernelIN3c108BFloat16EfLb1EEEvlT0_PKT_PS5_S9_.kd
    .uniform_work_group_size: 1
    .uses_dynamic_stack: false
    .vgpr_count:     21
    .vgpr_spill_count: 0
    .wavefront_size: 64
  - .agpr_count:     0
    .args:
      - .offset:         0
        .size:           8
        .value_kind:     by_value
      - .address_space:  global
        .offset:         8
        .size:           8
        .value_kind:     global_buffer
      - .address_space:  global
        .offset:         16
        .size:           8
        .value_kind:     global_buffer
      - .address_space:  global
        .offset:         24
        .size:           8
        .value_kind:     global_buffer
      - .address_space:  global
        .offset:         32
        .size:           8
        .value_kind:     global_buffer
      - .address_space:  global
        .offset:         40
        .size:           8
        .value_kind:     global_buffer
      - .address_space:  global
        .offset:         48
        .size:           8
        .value_kind:     global_buffer
      - .offset:         56
        .size:           4
        .value_kind:     hidden_block_count_x
      - .offset:         60
        .size:           4
        .value_kind:     hidden_block_count_y
      - .offset:         64
        .size:           4
        .value_kind:     hidden_block_count_z
      - .offset:         68
        .size:           2
        .value_kind:     hidden_group_size_x
      - .offset:         70
        .size:           2
        .value_kind:     hidden_group_size_y
      - .offset:         72
        .size:           2
        .value_kind:     hidden_group_size_z
      - .offset:         74
        .size:           2
        .value_kind:     hidden_remainder_x
      - .offset:         76
        .size:           2
        .value_kind:     hidden_remainder_y
      - .offset:         78
        .size:           2
        .value_kind:     hidden_remainder_z
      - .offset:         96
        .size:           8
        .value_kind:     hidden_global_offset_x
      - .offset:         104
        .size:           8
        .value_kind:     hidden_global_offset_y
      - .offset:         112
        .size:           8
        .value_kind:     hidden_global_offset_z
      - .offset:         120
        .size:           2
        .value_kind:     hidden_grid_dims
    .group_segment_fixed_size: 0
    .kernarg_segment_align: 8
    .kernarg_segment_size: 312
    .language:       OpenCL C
    .language_version:
      - 2
      - 0
    .max_flat_workgroup_size: 1024
    .name:           _ZN2at6native12_GLOBAL__N_126LayerNormForwardCUDAKernelIN3c108BFloat16EfLb1EEEvlPKT_PKT0_SA_S7_S7_PS5_
    .private_segment_fixed_size: 0
    .sgpr_count:     26
    .sgpr_spill_count: 0
    .symbol:         _ZN2at6native12_GLOBAL__N_126LayerNormForwardCUDAKernelIN3c108BFloat16EfLb1EEEvlPKT_PKT0_SA_S7_S7_PS5_.kd
    .uniform_work_group_size: 1
    .uses_dynamic_stack: false
    .vgpr_count:     9
    .vgpr_spill_count: 0
    .wavefront_size: 64
  - .agpr_count:     0
    .args:
      - .actual_access:  read_only
        .address_space:  global
        .offset:         0
        .size:           8
        .value_kind:     global_buffer
      - .actual_access:  read_only
        .address_space:  global
        .offset:         8
        .size:           8
        .value_kind:     global_buffer
      - .offset:         16
        .size:           8
        .value_kind:     by_value
      - .offset:         24
        .size:           8
        .value_kind:     by_value
      - .actual_access:  read_only
        .address_space:  global
        .offset:         32
        .size:           8
        .value_kind:     global_buffer
      - .actual_access:  read_only
        .address_space:  global
        .offset:         40
        .size:           8
        .value_kind:     global_buffer
      - .address_space:  global
        .offset:         48
        .size:           8
        .value_kind:     global_buffer
      - .address_space:  global
        .offset:         56
        .size:           8
        .value_kind:     global_buffer
      - .offset:         64
        .size:           4
        .value_kind:     hidden_block_count_x
      - .offset:         68
        .size:           4
        .value_kind:     hidden_block_count_y
      - .offset:         72
        .size:           4
        .value_kind:     hidden_block_count_z
      - .offset:         76
        .size:           2
        .value_kind:     hidden_group_size_x
      - .offset:         78
        .size:           2
        .value_kind:     hidden_group_size_y
      - .offset:         80
        .size:           2
        .value_kind:     hidden_group_size_z
      - .offset:         82
        .size:           2
        .value_kind:     hidden_remainder_x
      - .offset:         84
        .size:           2
        .value_kind:     hidden_remainder_y
      - .offset:         86
        .size:           2
        .value_kind:     hidden_remainder_z
      - .offset:         104
        .size:           8
        .value_kind:     hidden_global_offset_x
      - .offset:         112
        .size:           8
        .value_kind:     hidden_global_offset_y
      - .offset:         120
        .size:           8
        .value_kind:     hidden_global_offset_z
      - .offset:         128
        .size:           2
        .value_kind:     hidden_grid_dims
      - .offset:         184
        .size:           4
        .value_kind:     hidden_dynamic_lds_size
    .group_segment_fixed_size: 0
    .kernarg_segment_align: 8
    .kernarg_segment_size: 320
    .language:       OpenCL C
    .language_version:
      - 2
      - 0
    .max_flat_workgroup_size: 1024
    .name:           _ZN2at6native12_GLOBAL__N_118cuComputeGradInputIddLb0EEEvPKT_S5_llPKT0_S8_S5_PS3_
    .private_segment_fixed_size: 0
    .sgpr_count:     60
    .sgpr_spill_count: 0
    .symbol:         _ZN2at6native12_GLOBAL__N_118cuComputeGradInputIddLb0EEEvPKT_S5_llPKT0_S8_S5_PS3_.kd
    .uniform_work_group_size: 1
    .uses_dynamic_stack: false
    .vgpr_count:     38
    .vgpr_spill_count: 0
    .wavefront_size: 64
  - .agpr_count:     0
    .args:
      - .actual_access:  read_only
        .address_space:  global
        .offset:         0
        .size:           8
        .value_kind:     global_buffer
      - .actual_access:  read_only
        .address_space:  global
        .offset:         8
        .size:           8
        .value_kind:     global_buffer
      - .actual_access:  read_only
        .address_space:  global
        .offset:         16
        .size:           8
        .value_kind:     global_buffer
      - .actual_access:  read_only
        .address_space:  global
        .offset:         24
        .size:           8
        .value_kind:     global_buffer
      - .actual_access:  read_only
        .address_space:  global
        .offset:         32
        .size:           8
        .value_kind:     global_buffer
      - .address_space:  global
        .offset:         40
        .size:           8
        .value_kind:     global_buffer
      - .offset:         48
        .size:           4
        .value_kind:     by_value
      - .offset:         56
        .size:           4
        .value_kind:     hidden_block_count_x
      - .offset:         60
        .size:           4
        .value_kind:     hidden_block_count_y
      - .offset:         64
        .size:           4
        .value_kind:     hidden_block_count_z
      - .offset:         68
        .size:           2
        .value_kind:     hidden_group_size_x
      - .offset:         70
        .size:           2
        .value_kind:     hidden_group_size_y
      - .offset:         72
        .size:           2
        .value_kind:     hidden_group_size_z
      - .offset:         74
        .size:           2
        .value_kind:     hidden_remainder_x
      - .offset:         76
        .size:           2
        .value_kind:     hidden_remainder_y
      - .offset:         78
        .size:           2
        .value_kind:     hidden_remainder_z
      - .offset:         96
        .size:           8
        .value_kind:     hidden_global_offset_x
      - .offset:         104
        .size:           8
        .value_kind:     hidden_global_offset_y
      - .offset:         112
        .size:           8
        .value_kind:     hidden_global_offset_z
      - .offset:         120
        .size:           2
        .value_kind:     hidden_grid_dims
      - .offset:         176
        .size:           4
        .value_kind:     hidden_dynamic_lds_size
    .group_segment_fixed_size: 0
    .kernarg_segment_align: 8
    .kernarg_segment_size: 312
    .language:       OpenCL C
    .language_version:
      - 2
      - 0
    .max_flat_workgroup_size: 1024
    .name:           _ZN2at6native12_GLOBAL__N_128layer_norm_grad_input_kernelIddLb0EEEvPKT_S5_PKT0_S8_S5_PS3_i
    .private_segment_fixed_size: 0
    .sgpr_count:     43
    .sgpr_spill_count: 0
    .symbol:         _ZN2at6native12_GLOBAL__N_128layer_norm_grad_input_kernelIddLb0EEEvPKT_S5_PKT0_S8_S5_PS3_i.kd
    .uniform_work_group_size: 1
    .uses_dynamic_stack: false
    .vgpr_count:     36
    .vgpr_spill_count: 0
    .wavefront_size: 64
  - .agpr_count:     0
    .args:
      - .offset:         0
        .size:           8
        .value_kind:     by_value
      - .offset:         8
        .size:           8
        .value_kind:     by_value
      - .address_space:  global
        .offset:         16
        .size:           8
        .value_kind:     global_buffer
      - .address_space:  global
        .offset:         24
        .size:           8
        .value_kind:     global_buffer
      - .address_space:  global
        .offset:         32
        .size:           8
        .value_kind:     global_buffer
      - .address_space:  global
        .offset:         40
        .size:           8
        .value_kind:     global_buffer
      - .address_space:  global
        .offset:         48
        .size:           8
        .value_kind:     global_buffer
      - .address_space:  global
        .offset:         56
        .size:           8
        .value_kind:     global_buffer
      - .offset:         64
        .size:           4
        .value_kind:     hidden_block_count_x
      - .offset:         68
        .size:           4
        .value_kind:     hidden_block_count_y
      - .offset:         72
        .size:           4
        .value_kind:     hidden_block_count_z
      - .offset:         76
        .size:           2
        .value_kind:     hidden_group_size_x
      - .offset:         78
        .size:           2
        .value_kind:     hidden_group_size_y
      - .offset:         80
        .size:           2
        .value_kind:     hidden_group_size_z
      - .offset:         82
        .size:           2
        .value_kind:     hidden_remainder_x
      - .offset:         84
        .size:           2
        .value_kind:     hidden_remainder_y
      - .offset:         86
        .size:           2
        .value_kind:     hidden_remainder_z
      - .offset:         104
        .size:           8
        .value_kind:     hidden_global_offset_x
      - .offset:         112
        .size:           8
        .value_kind:     hidden_global_offset_y
      - .offset:         120
        .size:           8
        .value_kind:     hidden_global_offset_z
      - .offset:         128
        .size:           2
        .value_kind:     hidden_grid_dims
    .group_segment_fixed_size: 0
    .kernarg_segment_align: 8
    .kernarg_segment_size: 320
    .language:       OpenCL C
    .language_version:
      - 2
      - 0
    .max_flat_workgroup_size: 1024
    .name:           _ZN2at6native12_GLOBAL__N_133GammaBetaBackwardSimpleCUDAKernelIddLb0EEEvllPKT_S5_PKT0_S8_PS3_S9_
    .private_segment_fixed_size: 0
    .sgpr_count:     30
    .sgpr_spill_count: 0
    .symbol:         _ZN2at6native12_GLOBAL__N_133GammaBetaBackwardSimpleCUDAKernelIddLb0EEEvllPKT_S5_PKT0_S8_PS3_S9_.kd
    .uniform_work_group_size: 1
    .uses_dynamic_stack: false
    .vgpr_count:     18
    .vgpr_spill_count: 0
    .wavefront_size: 64
  - .agpr_count:     0
    .args:
      - .offset:         0
        .size:           8
        .value_kind:     by_value
      - .offset:         8
        .size:           8
        .value_kind:     by_value
      - .actual_access:  read_only
        .address_space:  global
        .offset:         16
        .size:           8
        .value_kind:     global_buffer
      - .actual_access:  read_only
        .address_space:  global
        .offset:         24
        .size:           8
        .value_kind:     global_buffer
      - .actual_access:  read_only
        .address_space:  global
        .offset:         32
        .size:           8
        .value_kind:     global_buffer
      - .actual_access:  read_only
        .address_space:  global
        .offset:         40
        .size:           8
        .value_kind:     global_buffer
      - .actual_access:  write_only
        .address_space:  global
        .offset:         48
        .size:           8
        .value_kind:     global_buffer
      - .actual_access:  write_only
        .address_space:  global
        .offset:         56
        .size:           8
        .value_kind:     global_buffer
      - .offset:         64
        .size:           4
        .value_kind:     hidden_block_count_x
      - .offset:         68
        .size:           4
        .value_kind:     hidden_block_count_y
      - .offset:         72
        .size:           4
        .value_kind:     hidden_block_count_z
      - .offset:         76
        .size:           2
        .value_kind:     hidden_group_size_x
      - .offset:         78
        .size:           2
        .value_kind:     hidden_group_size_y
      - .offset:         80
        .size:           2
        .value_kind:     hidden_group_size_z
      - .offset:         82
        .size:           2
        .value_kind:     hidden_remainder_x
      - .offset:         84
        .size:           2
        .value_kind:     hidden_remainder_y
      - .offset:         86
        .size:           2
        .value_kind:     hidden_remainder_z
      - .offset:         104
        .size:           8
        .value_kind:     hidden_global_offset_x
      - .offset:         112
        .size:           8
        .value_kind:     hidden_global_offset_y
      - .offset:         120
        .size:           8
        .value_kind:     hidden_global_offset_z
      - .offset:         128
        .size:           2
        .value_kind:     hidden_grid_dims
    .group_segment_fixed_size: 0
    .kernarg_segment_align: 8
    .kernarg_segment_size: 320
    .language:       OpenCL C
    .language_version:
      - 2
      - 0
    .max_flat_workgroup_size: 64
    .name:           _ZN2at6native12_GLOBAL__N_135GammaBetaBackwardCUDAKernelTemplateIddLj64ELj1ELj32ELb1ELb1ELb0EEEvllPKT_S5_PKT0_S8_PS3_S9_
    .private_segment_fixed_size: 0
    .sgpr_count:     46
    .sgpr_spill_count: 0
    .symbol:         _ZN2at6native12_GLOBAL__N_135GammaBetaBackwardCUDAKernelTemplateIddLj64ELj1ELj32ELb1ELb1ELb0EEEvllPKT_S5_PKT0_S8_PS3_S9_.kd
    .uniform_work_group_size: 1
    .uses_dynamic_stack: false
    .vgpr_count:     118
    .vgpr_spill_count: 0
    .wavefront_size: 64
  - .agpr_count:     148
    .args:
      - .offset:         0
        .size:           8
        .value_kind:     by_value
      - .offset:         8
        .size:           8
        .value_kind:     by_value
      - .actual_access:  read_only
        .address_space:  global
        .offset:         16
        .size:           8
        .value_kind:     global_buffer
      - .actual_access:  read_only
        .address_space:  global
        .offset:         24
        .size:           8
        .value_kind:     global_buffer
      - .actual_access:  read_only
        .address_space:  global
        .offset:         32
        .size:           8
        .value_kind:     global_buffer
      - .actual_access:  read_only
        .address_space:  global
        .offset:         40
        .size:           8
        .value_kind:     global_buffer
      - .actual_access:  write_only
        .address_space:  global
        .offset:         48
        .size:           8
        .value_kind:     global_buffer
      - .actual_access:  write_only
        .address_space:  global
        .offset:         56
        .size:           8
        .value_kind:     global_buffer
      - .offset:         64
        .size:           4
        .value_kind:     hidden_block_count_x
      - .offset:         68
        .size:           4
        .value_kind:     hidden_block_count_y
      - .offset:         72
        .size:           4
        .value_kind:     hidden_block_count_z
      - .offset:         76
        .size:           2
        .value_kind:     hidden_group_size_x
      - .offset:         78
        .size:           2
        .value_kind:     hidden_group_size_y
      - .offset:         80
        .size:           2
        .value_kind:     hidden_group_size_z
      - .offset:         82
        .size:           2
        .value_kind:     hidden_remainder_x
      - .offset:         84
        .size:           2
        .value_kind:     hidden_remainder_y
      - .offset:         86
        .size:           2
        .value_kind:     hidden_remainder_z
      - .offset:         104
        .size:           8
        .value_kind:     hidden_global_offset_x
      - .offset:         112
        .size:           8
        .value_kind:     hidden_global_offset_y
      - .offset:         120
        .size:           8
        .value_kind:     hidden_global_offset_z
      - .offset:         128
        .size:           2
        .value_kind:     hidden_grid_dims
    .group_segment_fixed_size: 0
    .kernarg_segment_align: 8
    .kernarg_segment_size: 320
    .language:       OpenCL C
    .language_version:
      - 2
      - 0
    .max_flat_workgroup_size: 64
    .name:           _ZN2at6native12_GLOBAL__N_135GammaBetaBackwardCUDAKernelTemplateIddLj64ELj1ELj32ELb1ELb0ELb0EEEvllPKT_S5_PKT0_S8_PS3_S9_
    .private_segment_fixed_size: 0
    .sgpr_count:     50
    .sgpr_spill_count: 0
    .symbol:         _ZN2at6native12_GLOBAL__N_135GammaBetaBackwardCUDAKernelTemplateIddLj64ELj1ELj32ELb1ELb0ELb0EEEvllPKT_S5_PKT0_S8_PS3_S9_.kd
    .uniform_work_group_size: 1
    .uses_dynamic_stack: false
    .vgpr_count:     404
    .vgpr_spill_count: 0
    .wavefront_size: 64
  - .agpr_count:     0
    .args:
      - .offset:         0
        .size:           8
        .value_kind:     by_value
      - .offset:         8
        .size:           8
        .value_kind:     by_value
      - .actual_access:  read_only
        .address_space:  global
        .offset:         16
        .size:           8
        .value_kind:     global_buffer
      - .actual_access:  read_only
        .address_space:  global
        .offset:         24
        .size:           8
        .value_kind:     global_buffer
      - .actual_access:  read_only
        .address_space:  global
        .offset:         32
        .size:           8
        .value_kind:     global_buffer
      - .actual_access:  read_only
        .address_space:  global
        .offset:         40
        .size:           8
        .value_kind:     global_buffer
      - .actual_access:  write_only
        .address_space:  global
        .offset:         48
        .size:           8
        .value_kind:     global_buffer
      - .actual_access:  write_only
        .address_space:  global
        .offset:         56
        .size:           8
        .value_kind:     global_buffer
      - .offset:         64
        .size:           4
        .value_kind:     hidden_block_count_x
      - .offset:         68
        .size:           4
        .value_kind:     hidden_block_count_y
      - .offset:         72
        .size:           4
        .value_kind:     hidden_block_count_z
      - .offset:         76
        .size:           2
        .value_kind:     hidden_group_size_x
      - .offset:         78
        .size:           2
        .value_kind:     hidden_group_size_y
      - .offset:         80
        .size:           2
        .value_kind:     hidden_group_size_z
      - .offset:         82
        .size:           2
        .value_kind:     hidden_remainder_x
      - .offset:         84
        .size:           2
        .value_kind:     hidden_remainder_y
      - .offset:         86
        .size:           2
        .value_kind:     hidden_remainder_z
      - .offset:         104
        .size:           8
        .value_kind:     hidden_global_offset_x
      - .offset:         112
        .size:           8
        .value_kind:     hidden_global_offset_y
      - .offset:         120
        .size:           8
        .value_kind:     hidden_global_offset_z
      - .offset:         128
        .size:           2
        .value_kind:     hidden_grid_dims
    .group_segment_fixed_size: 0
    .kernarg_segment_align: 8
    .kernarg_segment_size: 320
    .language:       OpenCL C
    .language_version:
      - 2
      - 0
    .max_flat_workgroup_size: 64
    .name:           _ZN2at6native12_GLOBAL__N_135GammaBetaBackwardCUDAKernelTemplateIddLj64ELj1ELj8ELb1ELb1ELb0EEEvllPKT_S5_PKT0_S8_PS3_S9_
    .private_segment_fixed_size: 0
    .sgpr_count:     46
    .sgpr_spill_count: 0
    .symbol:         _ZN2at6native12_GLOBAL__N_135GammaBetaBackwardCUDAKernelTemplateIddLj64ELj1ELj8ELb1ELb1ELb0EEEvllPKT_S5_PKT0_S8_PS3_S9_.kd
    .uniform_work_group_size: 1
    .uses_dynamic_stack: false
    .vgpr_count:     64
    .vgpr_spill_count: 0
    .wavefront_size: 64
  - .agpr_count:     0
    .args:
      - .offset:         0
        .size:           8
        .value_kind:     by_value
      - .offset:         8
        .size:           8
        .value_kind:     by_value
      - .actual_access:  read_only
        .address_space:  global
        .offset:         16
        .size:           8
        .value_kind:     global_buffer
      - .actual_access:  read_only
        .address_space:  global
        .offset:         24
        .size:           8
        .value_kind:     global_buffer
      - .actual_access:  read_only
        .address_space:  global
        .offset:         32
        .size:           8
        .value_kind:     global_buffer
      - .actual_access:  read_only
        .address_space:  global
        .offset:         40
        .size:           8
        .value_kind:     global_buffer
      - .actual_access:  write_only
        .address_space:  global
        .offset:         48
        .size:           8
        .value_kind:     global_buffer
      - .actual_access:  write_only
        .address_space:  global
        .offset:         56
        .size:           8
        .value_kind:     global_buffer
      - .offset:         64
        .size:           4
        .value_kind:     hidden_block_count_x
      - .offset:         68
        .size:           4
        .value_kind:     hidden_block_count_y
      - .offset:         72
        .size:           4
        .value_kind:     hidden_block_count_z
      - .offset:         76
        .size:           2
        .value_kind:     hidden_group_size_x
      - .offset:         78
        .size:           2
        .value_kind:     hidden_group_size_y
      - .offset:         80
        .size:           2
        .value_kind:     hidden_group_size_z
      - .offset:         82
        .size:           2
        .value_kind:     hidden_remainder_x
      - .offset:         84
        .size:           2
        .value_kind:     hidden_remainder_y
      - .offset:         86
        .size:           2
        .value_kind:     hidden_remainder_z
      - .offset:         104
        .size:           8
        .value_kind:     hidden_global_offset_x
      - .offset:         112
        .size:           8
        .value_kind:     hidden_global_offset_y
      - .offset:         120
        .size:           8
        .value_kind:     hidden_global_offset_z
      - .offset:         128
        .size:           2
        .value_kind:     hidden_grid_dims
    .group_segment_fixed_size: 0
    .kernarg_segment_align: 8
    .kernarg_segment_size: 320
    .language:       OpenCL C
    .language_version:
      - 2
      - 0
    .max_flat_workgroup_size: 64
    .name:           _ZN2at6native12_GLOBAL__N_135GammaBetaBackwardCUDAKernelTemplateIddLj64ELj1ELj8ELb1ELb0ELb0EEEvllPKT_S5_PKT0_S8_PS3_S9_
    .private_segment_fixed_size: 0
    .sgpr_count:     62
    .sgpr_spill_count: 0
    .symbol:         _ZN2at6native12_GLOBAL__N_135GammaBetaBackwardCUDAKernelTemplateIddLj64ELj1ELj8ELb1ELb0ELb0EEEvllPKT_S5_PKT0_S8_PS3_S9_.kd
    .uniform_work_group_size: 1
    .uses_dynamic_stack: false
    .vgpr_count:     126
    .vgpr_spill_count: 0
    .wavefront_size: 64
  - .agpr_count:     0
    .args:
      - .offset:         0
        .size:           8
        .value_kind:     by_value
      - .offset:         8
        .size:           8
        .value_kind:     by_value
      - .actual_access:  read_only
        .address_space:  global
        .offset:         16
        .size:           8
        .value_kind:     global_buffer
      - .actual_access:  read_only
        .address_space:  global
        .offset:         24
        .size:           8
        .value_kind:     global_buffer
      - .actual_access:  read_only
        .address_space:  global
        .offset:         32
        .size:           8
        .value_kind:     global_buffer
      - .actual_access:  read_only
        .address_space:  global
        .offset:         40
        .size:           8
        .value_kind:     global_buffer
      - .actual_access:  write_only
        .address_space:  global
        .offset:         48
        .size:           8
        .value_kind:     global_buffer
      - .actual_access:  write_only
        .address_space:  global
        .offset:         56
        .size:           8
        .value_kind:     global_buffer
      - .offset:         64
        .size:           4
        .value_kind:     hidden_block_count_x
      - .offset:         68
        .size:           4
        .value_kind:     hidden_block_count_y
      - .offset:         72
        .size:           4
        .value_kind:     hidden_block_count_z
      - .offset:         76
        .size:           2
        .value_kind:     hidden_group_size_x
      - .offset:         78
        .size:           2
        .value_kind:     hidden_group_size_y
      - .offset:         80
        .size:           2
        .value_kind:     hidden_group_size_z
      - .offset:         82
        .size:           2
        .value_kind:     hidden_remainder_x
      - .offset:         84
        .size:           2
        .value_kind:     hidden_remainder_y
      - .offset:         86
        .size:           2
        .value_kind:     hidden_remainder_z
      - .offset:         104
        .size:           8
        .value_kind:     hidden_global_offset_x
      - .offset:         112
        .size:           8
        .value_kind:     hidden_global_offset_y
      - .offset:         120
        .size:           8
        .value_kind:     hidden_global_offset_z
      - .offset:         128
        .size:           2
        .value_kind:     hidden_grid_dims
      - .offset:         184
        .size:           4
        .value_kind:     hidden_dynamic_lds_size
    .group_segment_fixed_size: 0
    .kernarg_segment_align: 8
    .kernarg_segment_size: 320
    .language:       OpenCL C
    .language_version:
      - 2
      - 0
    .max_flat_workgroup_size: 512
    .name:           _ZN2at6native12_GLOBAL__N_135GammaBetaBackwardCUDAKernelTemplateIddLj64ELj8ELj64ELb0ELb1ELb0EEEvllPKT_S5_PKT0_S8_PS3_S9_
    .private_segment_fixed_size: 0
    .sgpr_count:     36
    .sgpr_spill_count: 0
    .symbol:         _ZN2at6native12_GLOBAL__N_135GammaBetaBackwardCUDAKernelTemplateIddLj64ELj8ELj64ELb0ELb1ELb0EEEvllPKT_S5_PKT0_S8_PS3_S9_.kd
    .uniform_work_group_size: 1
    .uses_dynamic_stack: false
    .vgpr_count:     66
    .vgpr_spill_count: 0
    .wavefront_size: 64
  - .agpr_count:     0
    .args:
      - .offset:         0
        .size:           8
        .value_kind:     by_value
      - .offset:         8
        .size:           8
        .value_kind:     by_value
      - .actual_access:  read_only
        .address_space:  global
        .offset:         16
        .size:           8
        .value_kind:     global_buffer
      - .actual_access:  read_only
        .address_space:  global
        .offset:         24
        .size:           8
        .value_kind:     global_buffer
      - .actual_access:  read_only
        .address_space:  global
        .offset:         32
        .size:           8
        .value_kind:     global_buffer
      - .actual_access:  read_only
        .address_space:  global
        .offset:         40
        .size:           8
        .value_kind:     global_buffer
      - .actual_access:  write_only
        .address_space:  global
        .offset:         48
        .size:           8
        .value_kind:     global_buffer
      - .actual_access:  write_only
        .address_space:  global
        .offset:         56
        .size:           8
        .value_kind:     global_buffer
      - .offset:         64
        .size:           4
        .value_kind:     hidden_block_count_x
      - .offset:         68
        .size:           4
        .value_kind:     hidden_block_count_y
      - .offset:         72
        .size:           4
        .value_kind:     hidden_block_count_z
      - .offset:         76
        .size:           2
        .value_kind:     hidden_group_size_x
      - .offset:         78
        .size:           2
        .value_kind:     hidden_group_size_y
      - .offset:         80
        .size:           2
        .value_kind:     hidden_group_size_z
      - .offset:         82
        .size:           2
        .value_kind:     hidden_remainder_x
      - .offset:         84
        .size:           2
        .value_kind:     hidden_remainder_y
      - .offset:         86
        .size:           2
        .value_kind:     hidden_remainder_z
      - .offset:         104
        .size:           8
        .value_kind:     hidden_global_offset_x
      - .offset:         112
        .size:           8
        .value_kind:     hidden_global_offset_y
      - .offset:         120
        .size:           8
        .value_kind:     hidden_global_offset_z
      - .offset:         128
        .size:           2
        .value_kind:     hidden_grid_dims
      - .offset:         184
        .size:           4
        .value_kind:     hidden_dynamic_lds_size
    .group_segment_fixed_size: 0
    .kernarg_segment_align: 8
    .kernarg_segment_size: 320
    .language:       OpenCL C
    .language_version:
      - 2
      - 0
    .max_flat_workgroup_size: 512
    .name:           _ZN2at6native12_GLOBAL__N_135GammaBetaBackwardCUDAKernelTemplateIddLj64ELj8ELj64ELb0ELb0ELb0EEEvllPKT_S5_PKT0_S8_PS3_S9_
    .private_segment_fixed_size: 0
    .sgpr_count:     74
    .sgpr_spill_count: 0
    .symbol:         _ZN2at6native12_GLOBAL__N_135GammaBetaBackwardCUDAKernelTemplateIddLj64ELj8ELj64ELb0ELb0ELb0EEEvllPKT_S5_PKT0_S8_PS3_S9_.kd
    .uniform_work_group_size: 1
    .uses_dynamic_stack: false
    .vgpr_count:     126
    .vgpr_spill_count: 0
    .wavefront_size: 64
  - .agpr_count:     0
    .args:
      - .offset:         0
        .size:           8
        .value_kind:     by_value
      - .offset:         8
        .size:           8
        .value_kind:     by_value
      - .actual_access:  read_only
        .address_space:  global
        .offset:         16
        .size:           8
        .value_kind:     global_buffer
      - .actual_access:  read_only
        .address_space:  global
        .offset:         24
        .size:           8
        .value_kind:     global_buffer
      - .actual_access:  read_only
        .address_space:  global
        .offset:         32
        .size:           8
        .value_kind:     global_buffer
      - .actual_access:  read_only
        .address_space:  global
        .offset:         40
        .size:           8
        .value_kind:     global_buffer
      - .actual_access:  write_only
        .address_space:  global
        .offset:         48
        .size:           8
        .value_kind:     global_buffer
      - .actual_access:  write_only
        .address_space:  global
        .offset:         56
        .size:           8
        .value_kind:     global_buffer
      - .offset:         64
        .size:           4
        .value_kind:     hidden_block_count_x
      - .offset:         68
        .size:           4
        .value_kind:     hidden_block_count_y
      - .offset:         72
        .size:           4
        .value_kind:     hidden_block_count_z
      - .offset:         76
        .size:           2
        .value_kind:     hidden_group_size_x
      - .offset:         78
        .size:           2
        .value_kind:     hidden_group_size_y
      - .offset:         80
        .size:           2
        .value_kind:     hidden_group_size_z
      - .offset:         82
        .size:           2
        .value_kind:     hidden_remainder_x
      - .offset:         84
        .size:           2
        .value_kind:     hidden_remainder_y
      - .offset:         86
        .size:           2
        .value_kind:     hidden_remainder_z
      - .offset:         104
        .size:           8
        .value_kind:     hidden_global_offset_x
      - .offset:         112
        .size:           8
        .value_kind:     hidden_global_offset_y
      - .offset:         120
        .size:           8
        .value_kind:     hidden_global_offset_z
      - .offset:         128
        .size:           2
        .value_kind:     hidden_grid_dims
      - .offset:         184
        .size:           4
        .value_kind:     hidden_dynamic_lds_size
    .group_segment_fixed_size: 0
    .kernarg_segment_align: 8
    .kernarg_segment_size: 320
    .language:       OpenCL C
    .language_version:
      - 2
      - 0
    .max_flat_workgroup_size: 1024
    .name:           _ZN2at6native12_GLOBAL__N_135GammaBetaBackwardCUDAKernelTemplateIddLj64ELj16ELj128ELb0ELb1ELb0EEEvllPKT_S5_PKT0_S8_PS3_S9_
    .private_segment_fixed_size: 0
    .sgpr_count:     36
    .sgpr_spill_count: 0
    .symbol:         _ZN2at6native12_GLOBAL__N_135GammaBetaBackwardCUDAKernelTemplateIddLj64ELj16ELj128ELb0ELb1ELb0EEEvllPKT_S5_PKT0_S8_PS3_S9_.kd
    .uniform_work_group_size: 1
    .uses_dynamic_stack: false
    .vgpr_count:     66
    .vgpr_spill_count: 0
    .wavefront_size: 64
  - .agpr_count:     0
    .args:
      - .offset:         0
        .size:           8
        .value_kind:     by_value
      - .offset:         8
        .size:           8
        .value_kind:     by_value
      - .actual_access:  read_only
        .address_space:  global
        .offset:         16
        .size:           8
        .value_kind:     global_buffer
      - .actual_access:  read_only
        .address_space:  global
        .offset:         24
        .size:           8
        .value_kind:     global_buffer
      - .actual_access:  read_only
        .address_space:  global
        .offset:         32
        .size:           8
        .value_kind:     global_buffer
      - .actual_access:  read_only
        .address_space:  global
        .offset:         40
        .size:           8
        .value_kind:     global_buffer
      - .actual_access:  write_only
        .address_space:  global
        .offset:         48
        .size:           8
        .value_kind:     global_buffer
      - .actual_access:  write_only
        .address_space:  global
        .offset:         56
        .size:           8
        .value_kind:     global_buffer
      - .offset:         64
        .size:           4
        .value_kind:     hidden_block_count_x
      - .offset:         68
        .size:           4
        .value_kind:     hidden_block_count_y
      - .offset:         72
        .size:           4
        .value_kind:     hidden_block_count_z
      - .offset:         76
        .size:           2
        .value_kind:     hidden_group_size_x
      - .offset:         78
        .size:           2
        .value_kind:     hidden_group_size_y
      - .offset:         80
        .size:           2
        .value_kind:     hidden_group_size_z
      - .offset:         82
        .size:           2
        .value_kind:     hidden_remainder_x
      - .offset:         84
        .size:           2
        .value_kind:     hidden_remainder_y
      - .offset:         86
        .size:           2
        .value_kind:     hidden_remainder_z
      - .offset:         104
        .size:           8
        .value_kind:     hidden_global_offset_x
      - .offset:         112
        .size:           8
        .value_kind:     hidden_global_offset_y
      - .offset:         120
        .size:           8
        .value_kind:     hidden_global_offset_z
      - .offset:         128
        .size:           2
        .value_kind:     hidden_grid_dims
      - .offset:         184
        .size:           4
        .value_kind:     hidden_dynamic_lds_size
    .group_segment_fixed_size: 0
    .kernarg_segment_align: 8
    .kernarg_segment_size: 320
    .language:       OpenCL C
    .language_version:
      - 2
      - 0
    .max_flat_workgroup_size: 1024
    .name:           _ZN2at6native12_GLOBAL__N_135GammaBetaBackwardCUDAKernelTemplateIddLj64ELj16ELj128ELb0ELb0ELb0EEEvllPKT_S5_PKT0_S8_PS3_S9_
    .private_segment_fixed_size: 0
    .sgpr_count:     74
    .sgpr_spill_count: 0
    .symbol:         _ZN2at6native12_GLOBAL__N_135GammaBetaBackwardCUDAKernelTemplateIddLj64ELj16ELj128ELb0ELb0ELb0EEEvllPKT_S5_PKT0_S8_PS3_S9_.kd
    .uniform_work_group_size: 1
    .uses_dynamic_stack: false
    .vgpr_count:     120
    .vgpr_spill_count: 0
    .wavefront_size: 64
  - .agpr_count:     0
    .args:
      - .offset:         0
        .size:           8
        .value_kind:     by_value
      - .offset:         8
        .size:           8
        .value_kind:     by_value
      - .actual_access:  read_only
        .address_space:  global
        .offset:         16
        .size:           8
        .value_kind:     global_buffer
      - .actual_access:  read_only
        .address_space:  global
        .offset:         24
        .size:           8
        .value_kind:     global_buffer
      - .actual_access:  read_only
        .address_space:  global
        .offset:         32
        .size:           8
        .value_kind:     global_buffer
      - .actual_access:  read_only
        .address_space:  global
        .offset:         40
        .size:           8
        .value_kind:     global_buffer
      - .actual_access:  write_only
        .address_space:  global
        .offset:         48
        .size:           8
        .value_kind:     global_buffer
      - .actual_access:  write_only
        .address_space:  global
        .offset:         56
        .size:           8
        .value_kind:     global_buffer
      - .offset:         64
        .size:           4
        .value_kind:     hidden_block_count_x
      - .offset:         68
        .size:           4
        .value_kind:     hidden_block_count_y
      - .offset:         72
        .size:           4
        .value_kind:     hidden_block_count_z
      - .offset:         76
        .size:           2
        .value_kind:     hidden_group_size_x
      - .offset:         78
        .size:           2
        .value_kind:     hidden_group_size_y
      - .offset:         80
        .size:           2
        .value_kind:     hidden_group_size_z
      - .offset:         82
        .size:           2
        .value_kind:     hidden_remainder_x
      - .offset:         84
        .size:           2
        .value_kind:     hidden_remainder_y
      - .offset:         86
        .size:           2
        .value_kind:     hidden_remainder_z
      - .offset:         104
        .size:           8
        .value_kind:     hidden_global_offset_x
      - .offset:         112
        .size:           8
        .value_kind:     hidden_global_offset_y
      - .offset:         120
        .size:           8
        .value_kind:     hidden_global_offset_z
      - .offset:         128
        .size:           2
        .value_kind:     hidden_grid_dims
      - .offset:         184
        .size:           4
        .value_kind:     hidden_dynamic_lds_size
    .group_segment_fixed_size: 0
    .kernarg_segment_align: 8
    .kernarg_segment_size: 320
    .language:       OpenCL C
    .language_version:
      - 2
      - 0
    .max_flat_workgroup_size: 1024
    .name:           _ZN2at6native12_GLOBAL__N_135GammaBetaBackwardCUDAKernelTemplateIddLj64ELj16ELj256ELb0ELb1ELb0EEEvllPKT_S5_PKT0_S8_PS3_S9_
    .private_segment_fixed_size: 0
    .sgpr_count:     36
    .sgpr_spill_count: 0
    .symbol:         _ZN2at6native12_GLOBAL__N_135GammaBetaBackwardCUDAKernelTemplateIddLj64ELj16ELj256ELb0ELb1ELb0EEEvllPKT_S5_PKT0_S8_PS3_S9_.kd
    .uniform_work_group_size: 1
    .uses_dynamic_stack: false
    .vgpr_count:     70
    .vgpr_spill_count: 0
    .wavefront_size: 64
  - .agpr_count:     0
    .args:
      - .offset:         0
        .size:           8
        .value_kind:     by_value
      - .offset:         8
        .size:           8
        .value_kind:     by_value
      - .actual_access:  read_only
        .address_space:  global
        .offset:         16
        .size:           8
        .value_kind:     global_buffer
      - .actual_access:  read_only
        .address_space:  global
        .offset:         24
        .size:           8
        .value_kind:     global_buffer
      - .actual_access:  read_only
        .address_space:  global
        .offset:         32
        .size:           8
        .value_kind:     global_buffer
      - .actual_access:  read_only
        .address_space:  global
        .offset:         40
        .size:           8
        .value_kind:     global_buffer
      - .actual_access:  write_only
        .address_space:  global
        .offset:         48
        .size:           8
        .value_kind:     global_buffer
      - .actual_access:  write_only
        .address_space:  global
        .offset:         56
        .size:           8
        .value_kind:     global_buffer
      - .offset:         64
        .size:           4
        .value_kind:     hidden_block_count_x
      - .offset:         68
        .size:           4
        .value_kind:     hidden_block_count_y
      - .offset:         72
        .size:           4
        .value_kind:     hidden_block_count_z
      - .offset:         76
        .size:           2
        .value_kind:     hidden_group_size_x
      - .offset:         78
        .size:           2
        .value_kind:     hidden_group_size_y
      - .offset:         80
        .size:           2
        .value_kind:     hidden_group_size_z
      - .offset:         82
        .size:           2
        .value_kind:     hidden_remainder_x
      - .offset:         84
        .size:           2
        .value_kind:     hidden_remainder_y
      - .offset:         86
        .size:           2
        .value_kind:     hidden_remainder_z
      - .offset:         104
        .size:           8
        .value_kind:     hidden_global_offset_x
      - .offset:         112
        .size:           8
        .value_kind:     hidden_global_offset_y
      - .offset:         120
        .size:           8
        .value_kind:     hidden_global_offset_z
      - .offset:         128
        .size:           2
        .value_kind:     hidden_grid_dims
      - .offset:         184
        .size:           4
        .value_kind:     hidden_dynamic_lds_size
    .group_segment_fixed_size: 0
    .kernarg_segment_align: 8
    .kernarg_segment_size: 320
    .language:       OpenCL C
    .language_version:
      - 2
      - 0
    .max_flat_workgroup_size: 1024
    .name:           _ZN2at6native12_GLOBAL__N_135GammaBetaBackwardCUDAKernelTemplateIddLj64ELj16ELj256ELb0ELb0ELb0EEEvllPKT_S5_PKT0_S8_PS3_S9_
    .private_segment_fixed_size: 356
    .sgpr_count:     106
    .sgpr_spill_count: 0
    .symbol:         _ZN2at6native12_GLOBAL__N_135GammaBetaBackwardCUDAKernelTemplateIddLj64ELj16ELj256ELb0ELb0ELb0EEEvllPKT_S5_PKT0_S8_PS3_S9_.kd
    .uniform_work_group_size: 1
    .uses_dynamic_stack: false
    .vgpr_count:     128
    .vgpr_spill_count: 216
    .wavefront_size: 64
  - .agpr_count:     0
    .args:
      - .offset:         0
        .size:           8
        .value_kind:     by_value
      - .offset:         8
        .size:           8
        .value_kind:     by_value
      - .actual_access:  read_only
        .address_space:  global
        .offset:         16
        .size:           8
        .value_kind:     global_buffer
      - .actual_access:  read_only
        .address_space:  global
        .offset:         24
        .size:           8
        .value_kind:     global_buffer
      - .actual_access:  read_only
        .address_space:  global
        .offset:         32
        .size:           8
        .value_kind:     global_buffer
      - .actual_access:  read_only
        .address_space:  global
        .offset:         40
        .size:           8
        .value_kind:     global_buffer
      - .actual_access:  write_only
        .address_space:  global
        .offset:         48
        .size:           8
        .value_kind:     global_buffer
      - .actual_access:  write_only
        .address_space:  global
        .offset:         56
        .size:           8
        .value_kind:     global_buffer
      - .offset:         64
        .size:           4
        .value_kind:     hidden_block_count_x
      - .offset:         68
        .size:           4
        .value_kind:     hidden_block_count_y
      - .offset:         72
        .size:           4
        .value_kind:     hidden_block_count_z
      - .offset:         76
        .size:           2
        .value_kind:     hidden_group_size_x
      - .offset:         78
        .size:           2
        .value_kind:     hidden_group_size_y
      - .offset:         80
        .size:           2
        .value_kind:     hidden_group_size_z
      - .offset:         82
        .size:           2
        .value_kind:     hidden_remainder_x
      - .offset:         84
        .size:           2
        .value_kind:     hidden_remainder_y
      - .offset:         86
        .size:           2
        .value_kind:     hidden_remainder_z
      - .offset:         104
        .size:           8
        .value_kind:     hidden_global_offset_x
      - .offset:         112
        .size:           8
        .value_kind:     hidden_global_offset_y
      - .offset:         120
        .size:           8
        .value_kind:     hidden_global_offset_z
      - .offset:         128
        .size:           2
        .value_kind:     hidden_grid_dims
    .group_segment_fixed_size: 0
    .kernarg_segment_align: 8
    .kernarg_segment_size: 320
    .language:       OpenCL C
    .language_version:
      - 2
      - 0
    .max_flat_workgroup_size: 32
    .name:           _ZN2at6native12_GLOBAL__N_135GammaBetaBackwardCUDAKernelTemplateIddLj32ELj1ELj32ELb1ELb1ELb0EEEvllPKT_S5_PKT0_S8_PS3_S9_
    .private_segment_fixed_size: 0
    .sgpr_count:     46
    .sgpr_spill_count: 0
    .symbol:         _ZN2at6native12_GLOBAL__N_135GammaBetaBackwardCUDAKernelTemplateIddLj32ELj1ELj32ELb1ELb1ELb0EEEvllPKT_S5_PKT0_S8_PS3_S9_.kd
    .uniform_work_group_size: 1
    .uses_dynamic_stack: false
    .vgpr_count:     118
    .vgpr_spill_count: 0
    .wavefront_size: 64
  - .agpr_count:     148
    .args:
      - .offset:         0
        .size:           8
        .value_kind:     by_value
      - .offset:         8
        .size:           8
        .value_kind:     by_value
      - .actual_access:  read_only
        .address_space:  global
        .offset:         16
        .size:           8
        .value_kind:     global_buffer
      - .actual_access:  read_only
        .address_space:  global
        .offset:         24
        .size:           8
        .value_kind:     global_buffer
      - .actual_access:  read_only
        .address_space:  global
        .offset:         32
        .size:           8
        .value_kind:     global_buffer
      - .actual_access:  read_only
        .address_space:  global
        .offset:         40
        .size:           8
        .value_kind:     global_buffer
      - .actual_access:  write_only
        .address_space:  global
        .offset:         48
        .size:           8
        .value_kind:     global_buffer
      - .actual_access:  write_only
        .address_space:  global
        .offset:         56
        .size:           8
        .value_kind:     global_buffer
      - .offset:         64
        .size:           4
        .value_kind:     hidden_block_count_x
      - .offset:         68
        .size:           4
        .value_kind:     hidden_block_count_y
      - .offset:         72
        .size:           4
        .value_kind:     hidden_block_count_z
      - .offset:         76
        .size:           2
        .value_kind:     hidden_group_size_x
      - .offset:         78
        .size:           2
        .value_kind:     hidden_group_size_y
      - .offset:         80
        .size:           2
        .value_kind:     hidden_group_size_z
      - .offset:         82
        .size:           2
        .value_kind:     hidden_remainder_x
      - .offset:         84
        .size:           2
        .value_kind:     hidden_remainder_y
      - .offset:         86
        .size:           2
        .value_kind:     hidden_remainder_z
      - .offset:         104
        .size:           8
        .value_kind:     hidden_global_offset_x
      - .offset:         112
        .size:           8
        .value_kind:     hidden_global_offset_y
      - .offset:         120
        .size:           8
        .value_kind:     hidden_global_offset_z
      - .offset:         128
        .size:           2
        .value_kind:     hidden_grid_dims
    .group_segment_fixed_size: 0
    .kernarg_segment_align: 8
    .kernarg_segment_size: 320
    .language:       OpenCL C
    .language_version:
      - 2
      - 0
    .max_flat_workgroup_size: 32
    .name:           _ZN2at6native12_GLOBAL__N_135GammaBetaBackwardCUDAKernelTemplateIddLj32ELj1ELj32ELb1ELb0ELb0EEEvllPKT_S5_PKT0_S8_PS3_S9_
    .private_segment_fixed_size: 0
    .sgpr_count:     50
    .sgpr_spill_count: 0
    .symbol:         _ZN2at6native12_GLOBAL__N_135GammaBetaBackwardCUDAKernelTemplateIddLj32ELj1ELj32ELb1ELb0ELb0EEEvllPKT_S5_PKT0_S8_PS3_S9_.kd
    .uniform_work_group_size: 1
    .uses_dynamic_stack: false
    .vgpr_count:     404
    .vgpr_spill_count: 0
    .wavefront_size: 64
  - .agpr_count:     0
    .args:
      - .offset:         0
        .size:           8
        .value_kind:     by_value
      - .offset:         8
        .size:           8
        .value_kind:     by_value
      - .actual_access:  read_only
        .address_space:  global
        .offset:         16
        .size:           8
        .value_kind:     global_buffer
      - .actual_access:  read_only
        .address_space:  global
        .offset:         24
        .size:           8
        .value_kind:     global_buffer
      - .actual_access:  read_only
        .address_space:  global
        .offset:         32
        .size:           8
        .value_kind:     global_buffer
      - .actual_access:  read_only
        .address_space:  global
        .offset:         40
        .size:           8
        .value_kind:     global_buffer
      - .actual_access:  write_only
        .address_space:  global
        .offset:         48
        .size:           8
        .value_kind:     global_buffer
      - .actual_access:  write_only
        .address_space:  global
        .offset:         56
        .size:           8
        .value_kind:     global_buffer
      - .offset:         64
        .size:           4
        .value_kind:     hidden_block_count_x
      - .offset:         68
        .size:           4
        .value_kind:     hidden_block_count_y
      - .offset:         72
        .size:           4
        .value_kind:     hidden_block_count_z
      - .offset:         76
        .size:           2
        .value_kind:     hidden_group_size_x
      - .offset:         78
        .size:           2
        .value_kind:     hidden_group_size_y
      - .offset:         80
        .size:           2
        .value_kind:     hidden_group_size_z
      - .offset:         82
        .size:           2
        .value_kind:     hidden_remainder_x
      - .offset:         84
        .size:           2
        .value_kind:     hidden_remainder_y
      - .offset:         86
        .size:           2
        .value_kind:     hidden_remainder_z
      - .offset:         104
        .size:           8
        .value_kind:     hidden_global_offset_x
      - .offset:         112
        .size:           8
        .value_kind:     hidden_global_offset_y
      - .offset:         120
        .size:           8
        .value_kind:     hidden_global_offset_z
      - .offset:         128
        .size:           2
        .value_kind:     hidden_grid_dims
    .group_segment_fixed_size: 0
    .kernarg_segment_align: 8
    .kernarg_segment_size: 320
    .language:       OpenCL C
    .language_version:
      - 2
      - 0
    .max_flat_workgroup_size: 32
    .name:           _ZN2at6native12_GLOBAL__N_135GammaBetaBackwardCUDAKernelTemplateIddLj32ELj1ELj8ELb1ELb1ELb0EEEvllPKT_S5_PKT0_S8_PS3_S9_
    .private_segment_fixed_size: 0
    .sgpr_count:     46
    .sgpr_spill_count: 0
    .symbol:         _ZN2at6native12_GLOBAL__N_135GammaBetaBackwardCUDAKernelTemplateIddLj32ELj1ELj8ELb1ELb1ELb0EEEvllPKT_S5_PKT0_S8_PS3_S9_.kd
    .uniform_work_group_size: 1
    .uses_dynamic_stack: false
    .vgpr_count:     64
    .vgpr_spill_count: 0
    .wavefront_size: 64
  - .agpr_count:     0
    .args:
      - .offset:         0
        .size:           8
        .value_kind:     by_value
      - .offset:         8
        .size:           8
        .value_kind:     by_value
      - .actual_access:  read_only
        .address_space:  global
        .offset:         16
        .size:           8
        .value_kind:     global_buffer
      - .actual_access:  read_only
        .address_space:  global
        .offset:         24
        .size:           8
        .value_kind:     global_buffer
      - .actual_access:  read_only
        .address_space:  global
        .offset:         32
        .size:           8
        .value_kind:     global_buffer
      - .actual_access:  read_only
        .address_space:  global
        .offset:         40
        .size:           8
        .value_kind:     global_buffer
      - .actual_access:  write_only
        .address_space:  global
        .offset:         48
        .size:           8
        .value_kind:     global_buffer
      - .actual_access:  write_only
        .address_space:  global
        .offset:         56
        .size:           8
        .value_kind:     global_buffer
      - .offset:         64
        .size:           4
        .value_kind:     hidden_block_count_x
      - .offset:         68
        .size:           4
        .value_kind:     hidden_block_count_y
      - .offset:         72
        .size:           4
        .value_kind:     hidden_block_count_z
      - .offset:         76
        .size:           2
        .value_kind:     hidden_group_size_x
      - .offset:         78
        .size:           2
        .value_kind:     hidden_group_size_y
      - .offset:         80
        .size:           2
        .value_kind:     hidden_group_size_z
      - .offset:         82
        .size:           2
        .value_kind:     hidden_remainder_x
      - .offset:         84
        .size:           2
        .value_kind:     hidden_remainder_y
      - .offset:         86
        .size:           2
        .value_kind:     hidden_remainder_z
      - .offset:         104
        .size:           8
        .value_kind:     hidden_global_offset_x
      - .offset:         112
        .size:           8
        .value_kind:     hidden_global_offset_y
      - .offset:         120
        .size:           8
        .value_kind:     hidden_global_offset_z
      - .offset:         128
        .size:           2
        .value_kind:     hidden_grid_dims
    .group_segment_fixed_size: 0
    .kernarg_segment_align: 8
    .kernarg_segment_size: 320
    .language:       OpenCL C
    .language_version:
      - 2
      - 0
    .max_flat_workgroup_size: 32
    .name:           _ZN2at6native12_GLOBAL__N_135GammaBetaBackwardCUDAKernelTemplateIddLj32ELj1ELj8ELb1ELb0ELb0EEEvllPKT_S5_PKT0_S8_PS3_S9_
    .private_segment_fixed_size: 0
    .sgpr_count:     62
    .sgpr_spill_count: 0
    .symbol:         _ZN2at6native12_GLOBAL__N_135GammaBetaBackwardCUDAKernelTemplateIddLj32ELj1ELj8ELb1ELb0ELb0EEEvllPKT_S5_PKT0_S8_PS3_S9_.kd
    .uniform_work_group_size: 1
    .uses_dynamic_stack: false
    .vgpr_count:     126
    .vgpr_spill_count: 0
    .wavefront_size: 64
  - .agpr_count:     0
    .args:
      - .offset:         0
        .size:           8
        .value_kind:     by_value
      - .offset:         8
        .size:           8
        .value_kind:     by_value
      - .actual_access:  read_only
        .address_space:  global
        .offset:         16
        .size:           8
        .value_kind:     global_buffer
      - .actual_access:  read_only
        .address_space:  global
        .offset:         24
        .size:           8
        .value_kind:     global_buffer
      - .actual_access:  read_only
        .address_space:  global
        .offset:         32
        .size:           8
        .value_kind:     global_buffer
      - .actual_access:  read_only
        .address_space:  global
        .offset:         40
        .size:           8
        .value_kind:     global_buffer
      - .actual_access:  write_only
        .address_space:  global
        .offset:         48
        .size:           8
        .value_kind:     global_buffer
      - .actual_access:  write_only
        .address_space:  global
        .offset:         56
        .size:           8
        .value_kind:     global_buffer
      - .offset:         64
        .size:           4
        .value_kind:     hidden_block_count_x
      - .offset:         68
        .size:           4
        .value_kind:     hidden_block_count_y
      - .offset:         72
        .size:           4
        .value_kind:     hidden_block_count_z
      - .offset:         76
        .size:           2
        .value_kind:     hidden_group_size_x
      - .offset:         78
        .size:           2
        .value_kind:     hidden_group_size_y
      - .offset:         80
        .size:           2
        .value_kind:     hidden_group_size_z
      - .offset:         82
        .size:           2
        .value_kind:     hidden_remainder_x
      - .offset:         84
        .size:           2
        .value_kind:     hidden_remainder_y
      - .offset:         86
        .size:           2
        .value_kind:     hidden_remainder_z
      - .offset:         104
        .size:           8
        .value_kind:     hidden_global_offset_x
      - .offset:         112
        .size:           8
        .value_kind:     hidden_global_offset_y
      - .offset:         120
        .size:           8
        .value_kind:     hidden_global_offset_z
      - .offset:         128
        .size:           2
        .value_kind:     hidden_grid_dims
      - .offset:         184
        .size:           4
        .value_kind:     hidden_dynamic_lds_size
    .group_segment_fixed_size: 0
    .kernarg_segment_align: 8
    .kernarg_segment_size: 320
    .language:       OpenCL C
    .language_version:
      - 2
      - 0
    .max_flat_workgroup_size: 256
    .name:           _ZN2at6native12_GLOBAL__N_135GammaBetaBackwardCUDAKernelTemplateIddLj32ELj8ELj64ELb0ELb1ELb0EEEvllPKT_S5_PKT0_S8_PS3_S9_
    .private_segment_fixed_size: 0
    .sgpr_count:     36
    .sgpr_spill_count: 0
    .symbol:         _ZN2at6native12_GLOBAL__N_135GammaBetaBackwardCUDAKernelTemplateIddLj32ELj8ELj64ELb0ELb1ELb0EEEvllPKT_S5_PKT0_S8_PS3_S9_.kd
    .uniform_work_group_size: 1
    .uses_dynamic_stack: false
    .vgpr_count:     66
    .vgpr_spill_count: 0
    .wavefront_size: 64
  - .agpr_count:     0
    .args:
      - .offset:         0
        .size:           8
        .value_kind:     by_value
      - .offset:         8
        .size:           8
        .value_kind:     by_value
      - .actual_access:  read_only
        .address_space:  global
        .offset:         16
        .size:           8
        .value_kind:     global_buffer
      - .actual_access:  read_only
        .address_space:  global
        .offset:         24
        .size:           8
        .value_kind:     global_buffer
      - .actual_access:  read_only
        .address_space:  global
        .offset:         32
        .size:           8
        .value_kind:     global_buffer
      - .actual_access:  read_only
        .address_space:  global
        .offset:         40
        .size:           8
        .value_kind:     global_buffer
      - .actual_access:  write_only
        .address_space:  global
        .offset:         48
        .size:           8
        .value_kind:     global_buffer
      - .actual_access:  write_only
        .address_space:  global
        .offset:         56
        .size:           8
        .value_kind:     global_buffer
      - .offset:         64
        .size:           4
        .value_kind:     hidden_block_count_x
      - .offset:         68
        .size:           4
        .value_kind:     hidden_block_count_y
      - .offset:         72
        .size:           4
        .value_kind:     hidden_block_count_z
      - .offset:         76
        .size:           2
        .value_kind:     hidden_group_size_x
      - .offset:         78
        .size:           2
        .value_kind:     hidden_group_size_y
      - .offset:         80
        .size:           2
        .value_kind:     hidden_group_size_z
      - .offset:         82
        .size:           2
        .value_kind:     hidden_remainder_x
      - .offset:         84
        .size:           2
        .value_kind:     hidden_remainder_y
      - .offset:         86
        .size:           2
        .value_kind:     hidden_remainder_z
      - .offset:         104
        .size:           8
        .value_kind:     hidden_global_offset_x
      - .offset:         112
        .size:           8
        .value_kind:     hidden_global_offset_y
      - .offset:         120
        .size:           8
        .value_kind:     hidden_global_offset_z
      - .offset:         128
        .size:           2
        .value_kind:     hidden_grid_dims
      - .offset:         184
        .size:           4
        .value_kind:     hidden_dynamic_lds_size
    .group_segment_fixed_size: 0
    .kernarg_segment_align: 8
    .kernarg_segment_size: 320
    .language:       OpenCL C
    .language_version:
      - 2
      - 0
    .max_flat_workgroup_size: 256
    .name:           _ZN2at6native12_GLOBAL__N_135GammaBetaBackwardCUDAKernelTemplateIddLj32ELj8ELj64ELb0ELb0ELb0EEEvllPKT_S5_PKT0_S8_PS3_S9_
    .private_segment_fixed_size: 0
    .sgpr_count:     74
    .sgpr_spill_count: 0
    .symbol:         _ZN2at6native12_GLOBAL__N_135GammaBetaBackwardCUDAKernelTemplateIddLj32ELj8ELj64ELb0ELb0ELb0EEEvllPKT_S5_PKT0_S8_PS3_S9_.kd
    .uniform_work_group_size: 1
    .uses_dynamic_stack: false
    .vgpr_count:     126
    .vgpr_spill_count: 0
    .wavefront_size: 64
  - .agpr_count:     0
    .args:
      - .offset:         0
        .size:           8
        .value_kind:     by_value
      - .offset:         8
        .size:           8
        .value_kind:     by_value
      - .actual_access:  read_only
        .address_space:  global
        .offset:         16
        .size:           8
        .value_kind:     global_buffer
      - .actual_access:  read_only
        .address_space:  global
        .offset:         24
        .size:           8
        .value_kind:     global_buffer
      - .actual_access:  read_only
        .address_space:  global
        .offset:         32
        .size:           8
        .value_kind:     global_buffer
      - .actual_access:  read_only
        .address_space:  global
        .offset:         40
        .size:           8
        .value_kind:     global_buffer
      - .actual_access:  write_only
        .address_space:  global
        .offset:         48
        .size:           8
        .value_kind:     global_buffer
      - .actual_access:  write_only
        .address_space:  global
        .offset:         56
        .size:           8
        .value_kind:     global_buffer
      - .offset:         64
        .size:           4
        .value_kind:     hidden_block_count_x
      - .offset:         68
        .size:           4
        .value_kind:     hidden_block_count_y
      - .offset:         72
        .size:           4
        .value_kind:     hidden_block_count_z
      - .offset:         76
        .size:           2
        .value_kind:     hidden_group_size_x
      - .offset:         78
        .size:           2
        .value_kind:     hidden_group_size_y
      - .offset:         80
        .size:           2
        .value_kind:     hidden_group_size_z
      - .offset:         82
        .size:           2
        .value_kind:     hidden_remainder_x
      - .offset:         84
        .size:           2
        .value_kind:     hidden_remainder_y
      - .offset:         86
        .size:           2
        .value_kind:     hidden_remainder_z
      - .offset:         104
        .size:           8
        .value_kind:     hidden_global_offset_x
      - .offset:         112
        .size:           8
        .value_kind:     hidden_global_offset_y
      - .offset:         120
        .size:           8
        .value_kind:     hidden_global_offset_z
      - .offset:         128
        .size:           2
        .value_kind:     hidden_grid_dims
      - .offset:         184
        .size:           4
        .value_kind:     hidden_dynamic_lds_size
    .group_segment_fixed_size: 0
    .kernarg_segment_align: 8
    .kernarg_segment_size: 320
    .language:       OpenCL C
    .language_version:
      - 2
      - 0
    .max_flat_workgroup_size: 512
    .name:           _ZN2at6native12_GLOBAL__N_135GammaBetaBackwardCUDAKernelTemplateIddLj32ELj16ELj128ELb0ELb1ELb0EEEvllPKT_S5_PKT0_S8_PS3_S9_
    .private_segment_fixed_size: 0
    .sgpr_count:     36
    .sgpr_spill_count: 0
    .symbol:         _ZN2at6native12_GLOBAL__N_135GammaBetaBackwardCUDAKernelTemplateIddLj32ELj16ELj128ELb0ELb1ELb0EEEvllPKT_S5_PKT0_S8_PS3_S9_.kd
    .uniform_work_group_size: 1
    .uses_dynamic_stack: false
    .vgpr_count:     66
    .vgpr_spill_count: 0
    .wavefront_size: 64
  - .agpr_count:     0
    .args:
      - .offset:         0
        .size:           8
        .value_kind:     by_value
      - .offset:         8
        .size:           8
        .value_kind:     by_value
      - .actual_access:  read_only
        .address_space:  global
        .offset:         16
        .size:           8
        .value_kind:     global_buffer
      - .actual_access:  read_only
        .address_space:  global
        .offset:         24
        .size:           8
        .value_kind:     global_buffer
      - .actual_access:  read_only
        .address_space:  global
        .offset:         32
        .size:           8
        .value_kind:     global_buffer
      - .actual_access:  read_only
        .address_space:  global
        .offset:         40
        .size:           8
        .value_kind:     global_buffer
      - .actual_access:  write_only
        .address_space:  global
        .offset:         48
        .size:           8
        .value_kind:     global_buffer
      - .actual_access:  write_only
        .address_space:  global
        .offset:         56
        .size:           8
        .value_kind:     global_buffer
      - .offset:         64
        .size:           4
        .value_kind:     hidden_block_count_x
      - .offset:         68
        .size:           4
        .value_kind:     hidden_block_count_y
      - .offset:         72
        .size:           4
        .value_kind:     hidden_block_count_z
      - .offset:         76
        .size:           2
        .value_kind:     hidden_group_size_x
      - .offset:         78
        .size:           2
        .value_kind:     hidden_group_size_y
      - .offset:         80
        .size:           2
        .value_kind:     hidden_group_size_z
      - .offset:         82
        .size:           2
        .value_kind:     hidden_remainder_x
      - .offset:         84
        .size:           2
        .value_kind:     hidden_remainder_y
      - .offset:         86
        .size:           2
        .value_kind:     hidden_remainder_z
      - .offset:         104
        .size:           8
        .value_kind:     hidden_global_offset_x
      - .offset:         112
        .size:           8
        .value_kind:     hidden_global_offset_y
      - .offset:         120
        .size:           8
        .value_kind:     hidden_global_offset_z
      - .offset:         128
        .size:           2
        .value_kind:     hidden_grid_dims
      - .offset:         184
        .size:           4
        .value_kind:     hidden_dynamic_lds_size
    .group_segment_fixed_size: 0
    .kernarg_segment_align: 8
    .kernarg_segment_size: 320
    .language:       OpenCL C
    .language_version:
      - 2
      - 0
    .max_flat_workgroup_size: 512
    .name:           _ZN2at6native12_GLOBAL__N_135GammaBetaBackwardCUDAKernelTemplateIddLj32ELj16ELj128ELb0ELb0ELb0EEEvllPKT_S5_PKT0_S8_PS3_S9_
    .private_segment_fixed_size: 0
    .sgpr_count:     74
    .sgpr_spill_count: 0
    .symbol:         _ZN2at6native12_GLOBAL__N_135GammaBetaBackwardCUDAKernelTemplateIddLj32ELj16ELj128ELb0ELb0ELb0EEEvllPKT_S5_PKT0_S8_PS3_S9_.kd
    .uniform_work_group_size: 1
    .uses_dynamic_stack: false
    .vgpr_count:     126
    .vgpr_spill_count: 0
    .wavefront_size: 64
  - .agpr_count:     0
    .args:
      - .offset:         0
        .size:           8
        .value_kind:     by_value
      - .offset:         8
        .size:           8
        .value_kind:     by_value
      - .actual_access:  read_only
        .address_space:  global
        .offset:         16
        .size:           8
        .value_kind:     global_buffer
      - .actual_access:  read_only
        .address_space:  global
        .offset:         24
        .size:           8
        .value_kind:     global_buffer
      - .actual_access:  read_only
        .address_space:  global
        .offset:         32
        .size:           8
        .value_kind:     global_buffer
      - .actual_access:  read_only
        .address_space:  global
        .offset:         40
        .size:           8
        .value_kind:     global_buffer
      - .actual_access:  write_only
        .address_space:  global
        .offset:         48
        .size:           8
        .value_kind:     global_buffer
      - .actual_access:  write_only
        .address_space:  global
        .offset:         56
        .size:           8
        .value_kind:     global_buffer
      - .offset:         64
        .size:           4
        .value_kind:     hidden_block_count_x
      - .offset:         68
        .size:           4
        .value_kind:     hidden_block_count_y
      - .offset:         72
        .size:           4
        .value_kind:     hidden_block_count_z
      - .offset:         76
        .size:           2
        .value_kind:     hidden_group_size_x
      - .offset:         78
        .size:           2
        .value_kind:     hidden_group_size_y
      - .offset:         80
        .size:           2
        .value_kind:     hidden_group_size_z
      - .offset:         82
        .size:           2
        .value_kind:     hidden_remainder_x
      - .offset:         84
        .size:           2
        .value_kind:     hidden_remainder_y
      - .offset:         86
        .size:           2
        .value_kind:     hidden_remainder_z
      - .offset:         104
        .size:           8
        .value_kind:     hidden_global_offset_x
      - .offset:         112
        .size:           8
        .value_kind:     hidden_global_offset_y
      - .offset:         120
        .size:           8
        .value_kind:     hidden_global_offset_z
      - .offset:         128
        .size:           2
        .value_kind:     hidden_grid_dims
      - .offset:         184
        .size:           4
        .value_kind:     hidden_dynamic_lds_size
    .group_segment_fixed_size: 0
    .kernarg_segment_align: 8
    .kernarg_segment_size: 320
    .language:       OpenCL C
    .language_version:
      - 2
      - 0
    .max_flat_workgroup_size: 1024
    .name:           _ZN2at6native12_GLOBAL__N_135GammaBetaBackwardCUDAKernelTemplateIddLj32ELj32ELj256ELb0ELb1ELb0EEEvllPKT_S5_PKT0_S8_PS3_S9_
    .private_segment_fixed_size: 0
    .sgpr_count:     36
    .sgpr_spill_count: 0
    .symbol:         _ZN2at6native12_GLOBAL__N_135GammaBetaBackwardCUDAKernelTemplateIddLj32ELj32ELj256ELb0ELb1ELb0EEEvllPKT_S5_PKT0_S8_PS3_S9_.kd
    .uniform_work_group_size: 1
    .uses_dynamic_stack: false
    .vgpr_count:     66
    .vgpr_spill_count: 0
    .wavefront_size: 64
  - .agpr_count:     0
    .args:
      - .offset:         0
        .size:           8
        .value_kind:     by_value
      - .offset:         8
        .size:           8
        .value_kind:     by_value
      - .actual_access:  read_only
        .address_space:  global
        .offset:         16
        .size:           8
        .value_kind:     global_buffer
      - .actual_access:  read_only
        .address_space:  global
        .offset:         24
        .size:           8
        .value_kind:     global_buffer
      - .actual_access:  read_only
        .address_space:  global
        .offset:         32
        .size:           8
        .value_kind:     global_buffer
      - .actual_access:  read_only
        .address_space:  global
        .offset:         40
        .size:           8
        .value_kind:     global_buffer
      - .actual_access:  write_only
        .address_space:  global
        .offset:         48
        .size:           8
        .value_kind:     global_buffer
      - .actual_access:  write_only
        .address_space:  global
        .offset:         56
        .size:           8
        .value_kind:     global_buffer
      - .offset:         64
        .size:           4
        .value_kind:     hidden_block_count_x
      - .offset:         68
        .size:           4
        .value_kind:     hidden_block_count_y
      - .offset:         72
        .size:           4
        .value_kind:     hidden_block_count_z
      - .offset:         76
        .size:           2
        .value_kind:     hidden_group_size_x
      - .offset:         78
        .size:           2
        .value_kind:     hidden_group_size_y
      - .offset:         80
        .size:           2
        .value_kind:     hidden_group_size_z
      - .offset:         82
        .size:           2
        .value_kind:     hidden_remainder_x
      - .offset:         84
        .size:           2
        .value_kind:     hidden_remainder_y
      - .offset:         86
        .size:           2
        .value_kind:     hidden_remainder_z
      - .offset:         104
        .size:           8
        .value_kind:     hidden_global_offset_x
      - .offset:         112
        .size:           8
        .value_kind:     hidden_global_offset_y
      - .offset:         120
        .size:           8
        .value_kind:     hidden_global_offset_z
      - .offset:         128
        .size:           2
        .value_kind:     hidden_grid_dims
      - .offset:         184
        .size:           4
        .value_kind:     hidden_dynamic_lds_size
    .group_segment_fixed_size: 0
    .kernarg_segment_align: 8
    .kernarg_segment_size: 320
    .language:       OpenCL C
    .language_version:
      - 2
      - 0
    .max_flat_workgroup_size: 1024
    .name:           _ZN2at6native12_GLOBAL__N_135GammaBetaBackwardCUDAKernelTemplateIddLj32ELj32ELj256ELb0ELb0ELb0EEEvllPKT_S5_PKT0_S8_PS3_S9_
    .private_segment_fixed_size: 0
    .sgpr_count:     74
    .sgpr_spill_count: 0
    .symbol:         _ZN2at6native12_GLOBAL__N_135GammaBetaBackwardCUDAKernelTemplateIddLj32ELj32ELj256ELb0ELb0ELb0EEEvllPKT_S5_PKT0_S8_PS3_S9_.kd
    .uniform_work_group_size: 1
    .uses_dynamic_stack: false
    .vgpr_count:     120
    .vgpr_spill_count: 0
    .wavefront_size: 64
  - .agpr_count:     0
    .args:
      - .actual_access:  read_only
        .address_space:  global
        .offset:         0
        .size:           8
        .value_kind:     global_buffer
      - .actual_access:  read_only
        .address_space:  global
        .offset:         8
        .size:           8
        .value_kind:     global_buffer
      - .offset:         16
        .size:           8
        .value_kind:     by_value
      - .offset:         24
        .size:           8
        .value_kind:     by_value
      - .actual_access:  read_only
        .address_space:  global
        .offset:         32
        .size:           8
        .value_kind:     global_buffer
      - .actual_access:  read_only
        .address_space:  global
        .offset:         40
        .size:           8
        .value_kind:     global_buffer
      - .address_space:  global
        .offset:         48
        .size:           8
        .value_kind:     global_buffer
      - .address_space:  global
        .offset:         56
        .size:           8
        .value_kind:     global_buffer
      - .offset:         64
        .size:           4
        .value_kind:     hidden_block_count_x
      - .offset:         68
        .size:           4
        .value_kind:     hidden_block_count_y
      - .offset:         72
        .size:           4
        .value_kind:     hidden_block_count_z
      - .offset:         76
        .size:           2
        .value_kind:     hidden_group_size_x
      - .offset:         78
        .size:           2
        .value_kind:     hidden_group_size_y
      - .offset:         80
        .size:           2
        .value_kind:     hidden_group_size_z
      - .offset:         82
        .size:           2
        .value_kind:     hidden_remainder_x
      - .offset:         84
        .size:           2
        .value_kind:     hidden_remainder_y
      - .offset:         86
        .size:           2
        .value_kind:     hidden_remainder_z
      - .offset:         104
        .size:           8
        .value_kind:     hidden_global_offset_x
      - .offset:         112
        .size:           8
        .value_kind:     hidden_global_offset_y
      - .offset:         120
        .size:           8
        .value_kind:     hidden_global_offset_z
      - .offset:         128
        .size:           2
        .value_kind:     hidden_grid_dims
      - .offset:         184
        .size:           4
        .value_kind:     hidden_dynamic_lds_size
    .group_segment_fixed_size: 0
    .kernarg_segment_align: 8
    .kernarg_segment_size: 320
    .language:       OpenCL C
    .language_version:
      - 2
      - 0
    .max_flat_workgroup_size: 1024
    .name:           _ZN2at6native12_GLOBAL__N_118cuComputeGradInputIffLb0EEEvPKT_S5_llPKT0_S8_S5_PS3_
    .private_segment_fixed_size: 0
    .sgpr_count:     58
    .sgpr_spill_count: 0
    .symbol:         _ZN2at6native12_GLOBAL__N_118cuComputeGradInputIffLb0EEEvPKT_S5_llPKT0_S8_S5_PS3_.kd
    .uniform_work_group_size: 1
    .uses_dynamic_stack: false
    .vgpr_count:     31
    .vgpr_spill_count: 0
    .wavefront_size: 64
  - .agpr_count:     0
    .args:
      - .actual_access:  read_only
        .address_space:  global
        .offset:         0
        .size:           8
        .value_kind:     global_buffer
      - .actual_access:  read_only
        .address_space:  global
        .offset:         8
        .size:           8
        .value_kind:     global_buffer
      - .actual_access:  read_only
        .address_space:  global
        .offset:         16
        .size:           8
        .value_kind:     global_buffer
      - .actual_access:  read_only
        .address_space:  global
        .offset:         24
        .size:           8
        .value_kind:     global_buffer
      - .actual_access:  read_only
        .address_space:  global
        .offset:         32
        .size:           8
        .value_kind:     global_buffer
      - .address_space:  global
        .offset:         40
        .size:           8
        .value_kind:     global_buffer
      - .offset:         48
        .size:           4
        .value_kind:     by_value
      - .offset:         56
        .size:           4
        .value_kind:     hidden_block_count_x
      - .offset:         60
        .size:           4
        .value_kind:     hidden_block_count_y
      - .offset:         64
        .size:           4
        .value_kind:     hidden_block_count_z
      - .offset:         68
        .size:           2
        .value_kind:     hidden_group_size_x
      - .offset:         70
        .size:           2
        .value_kind:     hidden_group_size_y
      - .offset:         72
        .size:           2
        .value_kind:     hidden_group_size_z
      - .offset:         74
        .size:           2
        .value_kind:     hidden_remainder_x
      - .offset:         76
        .size:           2
        .value_kind:     hidden_remainder_y
      - .offset:         78
        .size:           2
        .value_kind:     hidden_remainder_z
      - .offset:         96
        .size:           8
        .value_kind:     hidden_global_offset_x
      - .offset:         104
        .size:           8
        .value_kind:     hidden_global_offset_y
      - .offset:         112
        .size:           8
        .value_kind:     hidden_global_offset_z
      - .offset:         120
        .size:           2
        .value_kind:     hidden_grid_dims
      - .offset:         176
        .size:           4
        .value_kind:     hidden_dynamic_lds_size
    .group_segment_fixed_size: 0
    .kernarg_segment_align: 8
    .kernarg_segment_size: 312
    .language:       OpenCL C
    .language_version:
      - 2
      - 0
    .max_flat_workgroup_size: 1024
    .name:           _ZN2at6native12_GLOBAL__N_128layer_norm_grad_input_kernelIffLb0EEEvPKT_S5_PKT0_S8_S5_PS3_i
    .private_segment_fixed_size: 0
    .sgpr_count:     41
    .sgpr_spill_count: 0
    .symbol:         _ZN2at6native12_GLOBAL__N_128layer_norm_grad_input_kernelIffLb0EEEvPKT_S5_PKT0_S8_S5_PS3_i.kd
    .uniform_work_group_size: 1
    .uses_dynamic_stack: false
    .vgpr_count:     22
    .vgpr_spill_count: 0
    .wavefront_size: 64
  - .agpr_count:     0
    .args:
      - .offset:         0
        .size:           8
        .value_kind:     by_value
      - .offset:         8
        .size:           8
        .value_kind:     by_value
      - .address_space:  global
        .offset:         16
        .size:           8
        .value_kind:     global_buffer
      - .address_space:  global
        .offset:         24
        .size:           8
        .value_kind:     global_buffer
      - .address_space:  global
        .offset:         32
        .size:           8
        .value_kind:     global_buffer
      - .address_space:  global
        .offset:         40
        .size:           8
        .value_kind:     global_buffer
      - .address_space:  global
        .offset:         48
        .size:           8
        .value_kind:     global_buffer
      - .address_space:  global
        .offset:         56
        .size:           8
        .value_kind:     global_buffer
      - .offset:         64
        .size:           4
        .value_kind:     hidden_block_count_x
      - .offset:         68
        .size:           4
        .value_kind:     hidden_block_count_y
      - .offset:         72
        .size:           4
        .value_kind:     hidden_block_count_z
      - .offset:         76
        .size:           2
        .value_kind:     hidden_group_size_x
      - .offset:         78
        .size:           2
        .value_kind:     hidden_group_size_y
      - .offset:         80
        .size:           2
        .value_kind:     hidden_group_size_z
      - .offset:         82
        .size:           2
        .value_kind:     hidden_remainder_x
      - .offset:         84
        .size:           2
        .value_kind:     hidden_remainder_y
      - .offset:         86
        .size:           2
        .value_kind:     hidden_remainder_z
      - .offset:         104
        .size:           8
        .value_kind:     hidden_global_offset_x
      - .offset:         112
        .size:           8
        .value_kind:     hidden_global_offset_y
      - .offset:         120
        .size:           8
        .value_kind:     hidden_global_offset_z
      - .offset:         128
        .size:           2
        .value_kind:     hidden_grid_dims
    .group_segment_fixed_size: 0
    .kernarg_segment_align: 8
    .kernarg_segment_size: 320
    .language:       OpenCL C
    .language_version:
      - 2
      - 0
    .max_flat_workgroup_size: 1024
    .name:           _ZN2at6native12_GLOBAL__N_133GammaBetaBackwardSimpleCUDAKernelIffLb0EEEvllPKT_S5_PKT0_S8_PS3_S9_
    .private_segment_fixed_size: 0
    .sgpr_count:     28
    .sgpr_spill_count: 0
    .symbol:         _ZN2at6native12_GLOBAL__N_133GammaBetaBackwardSimpleCUDAKernelIffLb0EEEvllPKT_S5_PKT0_S8_PS3_S9_.kd
    .uniform_work_group_size: 1
    .uses_dynamic_stack: false
    .vgpr_count:     12
    .vgpr_spill_count: 0
    .wavefront_size: 64
  - .agpr_count:     0
    .args:
      - .offset:         0
        .size:           8
        .value_kind:     by_value
      - .offset:         8
        .size:           8
        .value_kind:     by_value
      - .actual_access:  read_only
        .address_space:  global
        .offset:         16
        .size:           8
        .value_kind:     global_buffer
      - .actual_access:  read_only
        .address_space:  global
        .offset:         24
        .size:           8
        .value_kind:     global_buffer
      - .actual_access:  read_only
        .address_space:  global
        .offset:         32
        .size:           8
        .value_kind:     global_buffer
      - .actual_access:  read_only
        .address_space:  global
        .offset:         40
        .size:           8
        .value_kind:     global_buffer
      - .actual_access:  write_only
        .address_space:  global
        .offset:         48
        .size:           8
        .value_kind:     global_buffer
      - .actual_access:  write_only
        .address_space:  global
        .offset:         56
        .size:           8
        .value_kind:     global_buffer
      - .offset:         64
        .size:           4
        .value_kind:     hidden_block_count_x
      - .offset:         68
        .size:           4
        .value_kind:     hidden_block_count_y
      - .offset:         72
        .size:           4
        .value_kind:     hidden_block_count_z
      - .offset:         76
        .size:           2
        .value_kind:     hidden_group_size_x
      - .offset:         78
        .size:           2
        .value_kind:     hidden_group_size_y
      - .offset:         80
        .size:           2
        .value_kind:     hidden_group_size_z
      - .offset:         82
        .size:           2
        .value_kind:     hidden_remainder_x
      - .offset:         84
        .size:           2
        .value_kind:     hidden_remainder_y
      - .offset:         86
        .size:           2
        .value_kind:     hidden_remainder_z
      - .offset:         104
        .size:           8
        .value_kind:     hidden_global_offset_x
      - .offset:         112
        .size:           8
        .value_kind:     hidden_global_offset_y
      - .offset:         120
        .size:           8
        .value_kind:     hidden_global_offset_z
      - .offset:         128
        .size:           2
        .value_kind:     hidden_grid_dims
    .group_segment_fixed_size: 0
    .kernarg_segment_align: 8
    .kernarg_segment_size: 320
    .language:       OpenCL C
    .language_version:
      - 2
      - 0
    .max_flat_workgroup_size: 64
    .name:           _ZN2at6native12_GLOBAL__N_135GammaBetaBackwardCUDAKernelTemplateIffLj64ELj1ELj32ELb1ELb1ELb0EEEvllPKT_S5_PKT0_S8_PS3_S9_
    .private_segment_fixed_size: 0
    .sgpr_count:     46
    .sgpr_spill_count: 0
    .symbol:         _ZN2at6native12_GLOBAL__N_135GammaBetaBackwardCUDAKernelTemplateIffLj64ELj1ELj32ELb1ELb1ELb0EEEvllPKT_S5_PKT0_S8_PS3_S9_.kd
    .uniform_work_group_size: 1
    .uses_dynamic_stack: false
    .vgpr_count:     71
    .vgpr_spill_count: 0
    .wavefront_size: 64
  - .agpr_count:     78
    .args:
      - .offset:         0
        .size:           8
        .value_kind:     by_value
      - .offset:         8
        .size:           8
        .value_kind:     by_value
      - .actual_access:  read_only
        .address_space:  global
        .offset:         16
        .size:           8
        .value_kind:     global_buffer
      - .actual_access:  read_only
        .address_space:  global
        .offset:         24
        .size:           8
        .value_kind:     global_buffer
      - .actual_access:  read_only
        .address_space:  global
        .offset:         32
        .size:           8
        .value_kind:     global_buffer
      - .actual_access:  read_only
        .address_space:  global
        .offset:         40
        .size:           8
        .value_kind:     global_buffer
      - .actual_access:  write_only
        .address_space:  global
        .offset:         48
        .size:           8
        .value_kind:     global_buffer
      - .actual_access:  write_only
        .address_space:  global
        .offset:         56
        .size:           8
        .value_kind:     global_buffer
      - .offset:         64
        .size:           4
        .value_kind:     hidden_block_count_x
      - .offset:         68
        .size:           4
        .value_kind:     hidden_block_count_y
      - .offset:         72
        .size:           4
        .value_kind:     hidden_block_count_z
      - .offset:         76
        .size:           2
        .value_kind:     hidden_group_size_x
      - .offset:         78
        .size:           2
        .value_kind:     hidden_group_size_y
      - .offset:         80
        .size:           2
        .value_kind:     hidden_group_size_z
      - .offset:         82
        .size:           2
        .value_kind:     hidden_remainder_x
      - .offset:         84
        .size:           2
        .value_kind:     hidden_remainder_y
      - .offset:         86
        .size:           2
        .value_kind:     hidden_remainder_z
      - .offset:         104
        .size:           8
        .value_kind:     hidden_global_offset_x
      - .offset:         112
        .size:           8
        .value_kind:     hidden_global_offset_y
      - .offset:         120
        .size:           8
        .value_kind:     hidden_global_offset_z
      - .offset:         128
        .size:           2
        .value_kind:     hidden_grid_dims
    .group_segment_fixed_size: 0
    .kernarg_segment_align: 8
    .kernarg_segment_size: 320
    .language:       OpenCL C
    .language_version:
      - 2
      - 0
    .max_flat_workgroup_size: 64
    .name:           _ZN2at6native12_GLOBAL__N_135GammaBetaBackwardCUDAKernelTemplateIffLj64ELj1ELj32ELb1ELb0ELb0EEEvllPKT_S5_PKT0_S8_PS3_S9_
    .private_segment_fixed_size: 0
    .sgpr_count:     46
    .sgpr_spill_count: 0
    .symbol:         _ZN2at6native12_GLOBAL__N_135GammaBetaBackwardCUDAKernelTemplateIffLj64ELj1ELj32ELb1ELb0ELb0EEEvllPKT_S5_PKT0_S8_PS3_S9_.kd
    .uniform_work_group_size: 1
    .uses_dynamic_stack: false
    .vgpr_count:     334
    .vgpr_spill_count: 0
    .wavefront_size: 64
  - .agpr_count:     0
    .args:
      - .offset:         0
        .size:           8
        .value_kind:     by_value
      - .offset:         8
        .size:           8
        .value_kind:     by_value
      - .actual_access:  read_only
        .address_space:  global
        .offset:         16
        .size:           8
        .value_kind:     global_buffer
      - .actual_access:  read_only
        .address_space:  global
        .offset:         24
        .size:           8
        .value_kind:     global_buffer
      - .actual_access:  read_only
        .address_space:  global
        .offset:         32
        .size:           8
        .value_kind:     global_buffer
      - .actual_access:  read_only
        .address_space:  global
        .offset:         40
        .size:           8
        .value_kind:     global_buffer
      - .actual_access:  write_only
        .address_space:  global
        .offset:         48
        .size:           8
        .value_kind:     global_buffer
      - .actual_access:  write_only
        .address_space:  global
        .offset:         56
        .size:           8
        .value_kind:     global_buffer
      - .offset:         64
        .size:           4
        .value_kind:     hidden_block_count_x
      - .offset:         68
        .size:           4
        .value_kind:     hidden_block_count_y
      - .offset:         72
        .size:           4
        .value_kind:     hidden_block_count_z
      - .offset:         76
        .size:           2
        .value_kind:     hidden_group_size_x
      - .offset:         78
        .size:           2
        .value_kind:     hidden_group_size_y
      - .offset:         80
        .size:           2
        .value_kind:     hidden_group_size_z
      - .offset:         82
        .size:           2
        .value_kind:     hidden_remainder_x
      - .offset:         84
        .size:           2
        .value_kind:     hidden_remainder_y
      - .offset:         86
        .size:           2
        .value_kind:     hidden_remainder_z
      - .offset:         104
        .size:           8
        .value_kind:     hidden_global_offset_x
      - .offset:         112
        .size:           8
        .value_kind:     hidden_global_offset_y
      - .offset:         120
        .size:           8
        .value_kind:     hidden_global_offset_z
      - .offset:         128
        .size:           2
        .value_kind:     hidden_grid_dims
    .group_segment_fixed_size: 0
    .kernarg_segment_align: 8
    .kernarg_segment_size: 320
    .language:       OpenCL C
    .language_version:
      - 2
      - 0
    .max_flat_workgroup_size: 64
    .name:           _ZN2at6native12_GLOBAL__N_135GammaBetaBackwardCUDAKernelTemplateIffLj64ELj1ELj8ELb1ELb1ELb0EEEvllPKT_S5_PKT0_S8_PS3_S9_
    .private_segment_fixed_size: 0
    .sgpr_count:     46
    .sgpr_spill_count: 0
    .symbol:         _ZN2at6native12_GLOBAL__N_135GammaBetaBackwardCUDAKernelTemplateIffLj64ELj1ELj8ELb1ELb1ELb0EEEvllPKT_S5_PKT0_S8_PS3_S9_.kd
    .uniform_work_group_size: 1
    .uses_dynamic_stack: false
    .vgpr_count:     52
    .vgpr_spill_count: 0
    .wavefront_size: 64
  - .agpr_count:     0
    .args:
      - .offset:         0
        .size:           8
        .value_kind:     by_value
      - .offset:         8
        .size:           8
        .value_kind:     by_value
      - .actual_access:  read_only
        .address_space:  global
        .offset:         16
        .size:           8
        .value_kind:     global_buffer
      - .actual_access:  read_only
        .address_space:  global
        .offset:         24
        .size:           8
        .value_kind:     global_buffer
      - .actual_access:  read_only
        .address_space:  global
        .offset:         32
        .size:           8
        .value_kind:     global_buffer
      - .actual_access:  read_only
        .address_space:  global
        .offset:         40
        .size:           8
        .value_kind:     global_buffer
      - .actual_access:  write_only
        .address_space:  global
        .offset:         48
        .size:           8
        .value_kind:     global_buffer
      - .actual_access:  write_only
        .address_space:  global
        .offset:         56
        .size:           8
        .value_kind:     global_buffer
      - .offset:         64
        .size:           4
        .value_kind:     hidden_block_count_x
      - .offset:         68
        .size:           4
        .value_kind:     hidden_block_count_y
      - .offset:         72
        .size:           4
        .value_kind:     hidden_block_count_z
      - .offset:         76
        .size:           2
        .value_kind:     hidden_group_size_x
      - .offset:         78
        .size:           2
        .value_kind:     hidden_group_size_y
      - .offset:         80
        .size:           2
        .value_kind:     hidden_group_size_z
      - .offset:         82
        .size:           2
        .value_kind:     hidden_remainder_x
      - .offset:         84
        .size:           2
        .value_kind:     hidden_remainder_y
      - .offset:         86
        .size:           2
        .value_kind:     hidden_remainder_z
      - .offset:         104
        .size:           8
        .value_kind:     hidden_global_offset_x
      - .offset:         112
        .size:           8
        .value_kind:     hidden_global_offset_y
      - .offset:         120
        .size:           8
        .value_kind:     hidden_global_offset_z
      - .offset:         128
        .size:           2
        .value_kind:     hidden_grid_dims
    .group_segment_fixed_size: 0
    .kernarg_segment_align: 8
    .kernarg_segment_size: 320
    .language:       OpenCL C
    .language_version:
      - 2
      - 0
    .max_flat_workgroup_size: 64
    .name:           _ZN2at6native12_GLOBAL__N_135GammaBetaBackwardCUDAKernelTemplateIffLj64ELj1ELj8ELb1ELb0ELb0EEEvllPKT_S5_PKT0_S8_PS3_S9_
    .private_segment_fixed_size: 0
    .sgpr_count:     52
    .sgpr_spill_count: 0
    .symbol:         _ZN2at6native12_GLOBAL__N_135GammaBetaBackwardCUDAKernelTemplateIffLj64ELj1ELj8ELb1ELb0ELb0EEEvllPKT_S5_PKT0_S8_PS3_S9_.kd
    .uniform_work_group_size: 1
    .uses_dynamic_stack: false
    .vgpr_count:     103
    .vgpr_spill_count: 0
    .wavefront_size: 64
  - .agpr_count:     0
    .args:
      - .offset:         0
        .size:           8
        .value_kind:     by_value
      - .offset:         8
        .size:           8
        .value_kind:     by_value
      - .actual_access:  read_only
        .address_space:  global
        .offset:         16
        .size:           8
        .value_kind:     global_buffer
      - .actual_access:  read_only
        .address_space:  global
        .offset:         24
        .size:           8
        .value_kind:     global_buffer
      - .actual_access:  read_only
        .address_space:  global
        .offset:         32
        .size:           8
        .value_kind:     global_buffer
      - .actual_access:  read_only
        .address_space:  global
        .offset:         40
        .size:           8
        .value_kind:     global_buffer
      - .actual_access:  write_only
        .address_space:  global
        .offset:         48
        .size:           8
        .value_kind:     global_buffer
      - .actual_access:  write_only
        .address_space:  global
        .offset:         56
        .size:           8
        .value_kind:     global_buffer
      - .offset:         64
        .size:           4
        .value_kind:     hidden_block_count_x
      - .offset:         68
        .size:           4
        .value_kind:     hidden_block_count_y
      - .offset:         72
        .size:           4
        .value_kind:     hidden_block_count_z
      - .offset:         76
        .size:           2
        .value_kind:     hidden_group_size_x
      - .offset:         78
        .size:           2
        .value_kind:     hidden_group_size_y
      - .offset:         80
        .size:           2
        .value_kind:     hidden_group_size_z
      - .offset:         82
        .size:           2
        .value_kind:     hidden_remainder_x
      - .offset:         84
        .size:           2
        .value_kind:     hidden_remainder_y
      - .offset:         86
        .size:           2
        .value_kind:     hidden_remainder_z
      - .offset:         104
        .size:           8
        .value_kind:     hidden_global_offset_x
      - .offset:         112
        .size:           8
        .value_kind:     hidden_global_offset_y
      - .offset:         120
        .size:           8
        .value_kind:     hidden_global_offset_z
      - .offset:         128
        .size:           2
        .value_kind:     hidden_grid_dims
      - .offset:         184
        .size:           4
        .value_kind:     hidden_dynamic_lds_size
    .group_segment_fixed_size: 0
    .kernarg_segment_align: 8
    .kernarg_segment_size: 320
    .language:       OpenCL C
    .language_version:
      - 2
      - 0
    .max_flat_workgroup_size: 512
    .name:           _ZN2at6native12_GLOBAL__N_135GammaBetaBackwardCUDAKernelTemplateIffLj64ELj8ELj64ELb0ELb1ELb0EEEvllPKT_S5_PKT0_S8_PS3_S9_
    .private_segment_fixed_size: 0
    .sgpr_count:     36
    .sgpr_spill_count: 0
    .symbol:         _ZN2at6native12_GLOBAL__N_135GammaBetaBackwardCUDAKernelTemplateIffLj64ELj8ELj64ELb0ELb1ELb0EEEvllPKT_S5_PKT0_S8_PS3_S9_.kd
    .uniform_work_group_size: 1
    .uses_dynamic_stack: false
    .vgpr_count:     54
    .vgpr_spill_count: 0
    .wavefront_size: 64
  - .agpr_count:     0
    .args:
      - .offset:         0
        .size:           8
        .value_kind:     by_value
      - .offset:         8
        .size:           8
        .value_kind:     by_value
      - .actual_access:  read_only
        .address_space:  global
        .offset:         16
        .size:           8
        .value_kind:     global_buffer
      - .actual_access:  read_only
        .address_space:  global
        .offset:         24
        .size:           8
        .value_kind:     global_buffer
      - .actual_access:  read_only
        .address_space:  global
        .offset:         32
        .size:           8
        .value_kind:     global_buffer
      - .actual_access:  read_only
        .address_space:  global
        .offset:         40
        .size:           8
        .value_kind:     global_buffer
      - .actual_access:  write_only
        .address_space:  global
        .offset:         48
        .size:           8
        .value_kind:     global_buffer
      - .actual_access:  write_only
        .address_space:  global
        .offset:         56
        .size:           8
        .value_kind:     global_buffer
      - .offset:         64
        .size:           4
        .value_kind:     hidden_block_count_x
      - .offset:         68
        .size:           4
        .value_kind:     hidden_block_count_y
      - .offset:         72
        .size:           4
        .value_kind:     hidden_block_count_z
      - .offset:         76
        .size:           2
        .value_kind:     hidden_group_size_x
      - .offset:         78
        .size:           2
        .value_kind:     hidden_group_size_y
      - .offset:         80
        .size:           2
        .value_kind:     hidden_group_size_z
      - .offset:         82
        .size:           2
        .value_kind:     hidden_remainder_x
      - .offset:         84
        .size:           2
        .value_kind:     hidden_remainder_y
      - .offset:         86
        .size:           2
        .value_kind:     hidden_remainder_z
      - .offset:         104
        .size:           8
        .value_kind:     hidden_global_offset_x
      - .offset:         112
        .size:           8
        .value_kind:     hidden_global_offset_y
      - .offset:         120
        .size:           8
        .value_kind:     hidden_global_offset_z
      - .offset:         128
        .size:           2
        .value_kind:     hidden_grid_dims
      - .offset:         184
        .size:           4
        .value_kind:     hidden_dynamic_lds_size
    .group_segment_fixed_size: 0
    .kernarg_segment_align: 8
    .kernarg_segment_size: 320
    .language:       OpenCL C
    .language_version:
      - 2
      - 0
    .max_flat_workgroup_size: 512
    .name:           _ZN2at6native12_GLOBAL__N_135GammaBetaBackwardCUDAKernelTemplateIffLj64ELj8ELj64ELb0ELb0ELb0EEEvllPKT_S5_PKT0_S8_PS3_S9_
    .private_segment_fixed_size: 0
    .sgpr_count:     64
    .sgpr_spill_count: 0
    .symbol:         _ZN2at6native12_GLOBAL__N_135GammaBetaBackwardCUDAKernelTemplateIffLj64ELj8ELj64ELb0ELb0ELb0EEEvllPKT_S5_PKT0_S8_PS3_S9_.kd
    .uniform_work_group_size: 1
    .uses_dynamic_stack: false
    .vgpr_count:     103
    .vgpr_spill_count: 0
    .wavefront_size: 64
  - .agpr_count:     0
    .args:
      - .offset:         0
        .size:           8
        .value_kind:     by_value
      - .offset:         8
        .size:           8
        .value_kind:     by_value
      - .actual_access:  read_only
        .address_space:  global
        .offset:         16
        .size:           8
        .value_kind:     global_buffer
      - .actual_access:  read_only
        .address_space:  global
        .offset:         24
        .size:           8
        .value_kind:     global_buffer
      - .actual_access:  read_only
        .address_space:  global
        .offset:         32
        .size:           8
        .value_kind:     global_buffer
      - .actual_access:  read_only
        .address_space:  global
        .offset:         40
        .size:           8
        .value_kind:     global_buffer
      - .actual_access:  write_only
        .address_space:  global
        .offset:         48
        .size:           8
        .value_kind:     global_buffer
      - .actual_access:  write_only
        .address_space:  global
        .offset:         56
        .size:           8
        .value_kind:     global_buffer
      - .offset:         64
        .size:           4
        .value_kind:     hidden_block_count_x
      - .offset:         68
        .size:           4
        .value_kind:     hidden_block_count_y
      - .offset:         72
        .size:           4
        .value_kind:     hidden_block_count_z
      - .offset:         76
        .size:           2
        .value_kind:     hidden_group_size_x
      - .offset:         78
        .size:           2
        .value_kind:     hidden_group_size_y
      - .offset:         80
        .size:           2
        .value_kind:     hidden_group_size_z
      - .offset:         82
        .size:           2
        .value_kind:     hidden_remainder_x
      - .offset:         84
        .size:           2
        .value_kind:     hidden_remainder_y
      - .offset:         86
        .size:           2
        .value_kind:     hidden_remainder_z
      - .offset:         104
        .size:           8
        .value_kind:     hidden_global_offset_x
      - .offset:         112
        .size:           8
        .value_kind:     hidden_global_offset_y
      - .offset:         120
        .size:           8
        .value_kind:     hidden_global_offset_z
      - .offset:         128
        .size:           2
        .value_kind:     hidden_grid_dims
      - .offset:         184
        .size:           4
        .value_kind:     hidden_dynamic_lds_size
    .group_segment_fixed_size: 0
    .kernarg_segment_align: 8
    .kernarg_segment_size: 320
    .language:       OpenCL C
    .language_version:
      - 2
      - 0
    .max_flat_workgroup_size: 1024
    .name:           _ZN2at6native12_GLOBAL__N_135GammaBetaBackwardCUDAKernelTemplateIffLj64ELj16ELj128ELb0ELb1ELb0EEEvllPKT_S5_PKT0_S8_PS3_S9_
    .private_segment_fixed_size: 0
    .sgpr_count:     36
    .sgpr_spill_count: 0
    .symbol:         _ZN2at6native12_GLOBAL__N_135GammaBetaBackwardCUDAKernelTemplateIffLj64ELj16ELj128ELb0ELb1ELb0EEEvllPKT_S5_PKT0_S8_PS3_S9_.kd
    .uniform_work_group_size: 1
    .uses_dynamic_stack: false
    .vgpr_count:     54
    .vgpr_spill_count: 0
    .wavefront_size: 64
  - .agpr_count:     0
    .args:
      - .offset:         0
        .size:           8
        .value_kind:     by_value
      - .offset:         8
        .size:           8
        .value_kind:     by_value
      - .actual_access:  read_only
        .address_space:  global
        .offset:         16
        .size:           8
        .value_kind:     global_buffer
      - .actual_access:  read_only
        .address_space:  global
        .offset:         24
        .size:           8
        .value_kind:     global_buffer
      - .actual_access:  read_only
        .address_space:  global
        .offset:         32
        .size:           8
        .value_kind:     global_buffer
      - .actual_access:  read_only
        .address_space:  global
        .offset:         40
        .size:           8
        .value_kind:     global_buffer
      - .actual_access:  write_only
        .address_space:  global
        .offset:         48
        .size:           8
        .value_kind:     global_buffer
      - .actual_access:  write_only
        .address_space:  global
        .offset:         56
        .size:           8
        .value_kind:     global_buffer
      - .offset:         64
        .size:           4
        .value_kind:     hidden_block_count_x
      - .offset:         68
        .size:           4
        .value_kind:     hidden_block_count_y
      - .offset:         72
        .size:           4
        .value_kind:     hidden_block_count_z
      - .offset:         76
        .size:           2
        .value_kind:     hidden_group_size_x
      - .offset:         78
        .size:           2
        .value_kind:     hidden_group_size_y
      - .offset:         80
        .size:           2
        .value_kind:     hidden_group_size_z
      - .offset:         82
        .size:           2
        .value_kind:     hidden_remainder_x
      - .offset:         84
        .size:           2
        .value_kind:     hidden_remainder_y
      - .offset:         86
        .size:           2
        .value_kind:     hidden_remainder_z
      - .offset:         104
        .size:           8
        .value_kind:     hidden_global_offset_x
      - .offset:         112
        .size:           8
        .value_kind:     hidden_global_offset_y
      - .offset:         120
        .size:           8
        .value_kind:     hidden_global_offset_z
      - .offset:         128
        .size:           2
        .value_kind:     hidden_grid_dims
      - .offset:         184
        .size:           4
        .value_kind:     hidden_dynamic_lds_size
    .group_segment_fixed_size: 0
    .kernarg_segment_align: 8
    .kernarg_segment_size: 320
    .language:       OpenCL C
    .language_version:
      - 2
      - 0
    .max_flat_workgroup_size: 1024
    .name:           _ZN2at6native12_GLOBAL__N_135GammaBetaBackwardCUDAKernelTemplateIffLj64ELj16ELj128ELb0ELb0ELb0EEEvllPKT_S5_PKT0_S8_PS3_S9_
    .private_segment_fixed_size: 0
    .sgpr_count:     64
    .sgpr_spill_count: 0
    .symbol:         _ZN2at6native12_GLOBAL__N_135GammaBetaBackwardCUDAKernelTemplateIffLj64ELj16ELj128ELb0ELb0ELb0EEEvllPKT_S5_PKT0_S8_PS3_S9_.kd
    .uniform_work_group_size: 1
    .uses_dynamic_stack: false
    .vgpr_count:     104
    .vgpr_spill_count: 0
    .wavefront_size: 64
  - .agpr_count:     0
    .args:
      - .offset:         0
        .size:           8
        .value_kind:     by_value
      - .offset:         8
        .size:           8
        .value_kind:     by_value
      - .actual_access:  read_only
        .address_space:  global
        .offset:         16
        .size:           8
        .value_kind:     global_buffer
      - .actual_access:  read_only
        .address_space:  global
        .offset:         24
        .size:           8
        .value_kind:     global_buffer
      - .actual_access:  read_only
        .address_space:  global
        .offset:         32
        .size:           8
        .value_kind:     global_buffer
      - .actual_access:  read_only
        .address_space:  global
        .offset:         40
        .size:           8
        .value_kind:     global_buffer
      - .actual_access:  write_only
        .address_space:  global
        .offset:         48
        .size:           8
        .value_kind:     global_buffer
      - .actual_access:  write_only
        .address_space:  global
        .offset:         56
        .size:           8
        .value_kind:     global_buffer
      - .offset:         64
        .size:           4
        .value_kind:     hidden_block_count_x
      - .offset:         68
        .size:           4
        .value_kind:     hidden_block_count_y
      - .offset:         72
        .size:           4
        .value_kind:     hidden_block_count_z
      - .offset:         76
        .size:           2
        .value_kind:     hidden_group_size_x
      - .offset:         78
        .size:           2
        .value_kind:     hidden_group_size_y
      - .offset:         80
        .size:           2
        .value_kind:     hidden_group_size_z
      - .offset:         82
        .size:           2
        .value_kind:     hidden_remainder_x
      - .offset:         84
        .size:           2
        .value_kind:     hidden_remainder_y
      - .offset:         86
        .size:           2
        .value_kind:     hidden_remainder_z
      - .offset:         104
        .size:           8
        .value_kind:     hidden_global_offset_x
      - .offset:         112
        .size:           8
        .value_kind:     hidden_global_offset_y
      - .offset:         120
        .size:           8
        .value_kind:     hidden_global_offset_z
      - .offset:         128
        .size:           2
        .value_kind:     hidden_grid_dims
      - .offset:         184
        .size:           4
        .value_kind:     hidden_dynamic_lds_size
    .group_segment_fixed_size: 0
    .kernarg_segment_align: 8
    .kernarg_segment_size: 320
    .language:       OpenCL C
    .language_version:
      - 2
      - 0
    .max_flat_workgroup_size: 1024
    .name:           _ZN2at6native12_GLOBAL__N_135GammaBetaBackwardCUDAKernelTemplateIffLj64ELj16ELj256ELb0ELb1ELb0EEEvllPKT_S5_PKT0_S8_PS3_S9_
    .private_segment_fixed_size: 0
    .sgpr_count:     36
    .sgpr_spill_count: 0
    .symbol:         _ZN2at6native12_GLOBAL__N_135GammaBetaBackwardCUDAKernelTemplateIffLj64ELj16ELj256ELb0ELb1ELb0EEEvllPKT_S5_PKT0_S8_PS3_S9_.kd
    .uniform_work_group_size: 1
    .uses_dynamic_stack: false
    .vgpr_count:     60
    .vgpr_spill_count: 0
    .wavefront_size: 64
  - .agpr_count:     0
    .args:
      - .offset:         0
        .size:           8
        .value_kind:     by_value
      - .offset:         8
        .size:           8
        .value_kind:     by_value
      - .actual_access:  read_only
        .address_space:  global
        .offset:         16
        .size:           8
        .value_kind:     global_buffer
      - .actual_access:  read_only
        .address_space:  global
        .offset:         24
        .size:           8
        .value_kind:     global_buffer
      - .actual_access:  read_only
        .address_space:  global
        .offset:         32
        .size:           8
        .value_kind:     global_buffer
      - .actual_access:  read_only
        .address_space:  global
        .offset:         40
        .size:           8
        .value_kind:     global_buffer
      - .actual_access:  write_only
        .address_space:  global
        .offset:         48
        .size:           8
        .value_kind:     global_buffer
      - .actual_access:  write_only
        .address_space:  global
        .offset:         56
        .size:           8
        .value_kind:     global_buffer
      - .offset:         64
        .size:           4
        .value_kind:     hidden_block_count_x
      - .offset:         68
        .size:           4
        .value_kind:     hidden_block_count_y
      - .offset:         72
        .size:           4
        .value_kind:     hidden_block_count_z
      - .offset:         76
        .size:           2
        .value_kind:     hidden_group_size_x
      - .offset:         78
        .size:           2
        .value_kind:     hidden_group_size_y
      - .offset:         80
        .size:           2
        .value_kind:     hidden_group_size_z
      - .offset:         82
        .size:           2
        .value_kind:     hidden_remainder_x
      - .offset:         84
        .size:           2
        .value_kind:     hidden_remainder_y
      - .offset:         86
        .size:           2
        .value_kind:     hidden_remainder_z
      - .offset:         104
        .size:           8
        .value_kind:     hidden_global_offset_x
      - .offset:         112
        .size:           8
        .value_kind:     hidden_global_offset_y
      - .offset:         120
        .size:           8
        .value_kind:     hidden_global_offset_z
      - .offset:         128
        .size:           2
        .value_kind:     hidden_grid_dims
      - .offset:         184
        .size:           4
        .value_kind:     hidden_dynamic_lds_size
    .group_segment_fixed_size: 0
    .kernarg_segment_align: 8
    .kernarg_segment_size: 320
    .language:       OpenCL C
    .language_version:
      - 2
      - 0
    .max_flat_workgroup_size: 1024
    .name:           _ZN2at6native12_GLOBAL__N_135GammaBetaBackwardCUDAKernelTemplateIffLj64ELj16ELj256ELb0ELb0ELb0EEEvllPKT_S5_PKT0_S8_PS3_S9_
    .private_segment_fixed_size: 208
    .sgpr_count:     88
    .sgpr_spill_count: 0
    .symbol:         _ZN2at6native12_GLOBAL__N_135GammaBetaBackwardCUDAKernelTemplateIffLj64ELj16ELj256ELb0ELb0ELb0EEEvllPKT_S5_PKT0_S8_PS3_S9_.kd
    .uniform_work_group_size: 1
    .uses_dynamic_stack: false
    .vgpr_count:     128
    .vgpr_spill_count: 97
    .wavefront_size: 64
  - .agpr_count:     0
    .args:
      - .offset:         0
        .size:           8
        .value_kind:     by_value
      - .offset:         8
        .size:           8
        .value_kind:     by_value
      - .actual_access:  read_only
        .address_space:  global
        .offset:         16
        .size:           8
        .value_kind:     global_buffer
      - .actual_access:  read_only
        .address_space:  global
        .offset:         24
        .size:           8
        .value_kind:     global_buffer
      - .actual_access:  read_only
        .address_space:  global
        .offset:         32
        .size:           8
        .value_kind:     global_buffer
      - .actual_access:  read_only
        .address_space:  global
        .offset:         40
        .size:           8
        .value_kind:     global_buffer
      - .actual_access:  write_only
        .address_space:  global
        .offset:         48
        .size:           8
        .value_kind:     global_buffer
      - .actual_access:  write_only
        .address_space:  global
        .offset:         56
        .size:           8
        .value_kind:     global_buffer
      - .offset:         64
        .size:           4
        .value_kind:     hidden_block_count_x
      - .offset:         68
        .size:           4
        .value_kind:     hidden_block_count_y
      - .offset:         72
        .size:           4
        .value_kind:     hidden_block_count_z
      - .offset:         76
        .size:           2
        .value_kind:     hidden_group_size_x
      - .offset:         78
        .size:           2
        .value_kind:     hidden_group_size_y
      - .offset:         80
        .size:           2
        .value_kind:     hidden_group_size_z
      - .offset:         82
        .size:           2
        .value_kind:     hidden_remainder_x
      - .offset:         84
        .size:           2
        .value_kind:     hidden_remainder_y
      - .offset:         86
        .size:           2
        .value_kind:     hidden_remainder_z
      - .offset:         104
        .size:           8
        .value_kind:     hidden_global_offset_x
      - .offset:         112
        .size:           8
        .value_kind:     hidden_global_offset_y
      - .offset:         120
        .size:           8
        .value_kind:     hidden_global_offset_z
      - .offset:         128
        .size:           2
        .value_kind:     hidden_grid_dims
    .group_segment_fixed_size: 0
    .kernarg_segment_align: 8
    .kernarg_segment_size: 320
    .language:       OpenCL C
    .language_version:
      - 2
      - 0
    .max_flat_workgroup_size: 32
    .name:           _ZN2at6native12_GLOBAL__N_135GammaBetaBackwardCUDAKernelTemplateIffLj32ELj1ELj32ELb1ELb1ELb0EEEvllPKT_S5_PKT0_S8_PS3_S9_
    .private_segment_fixed_size: 0
    .sgpr_count:     46
    .sgpr_spill_count: 0
    .symbol:         _ZN2at6native12_GLOBAL__N_135GammaBetaBackwardCUDAKernelTemplateIffLj32ELj1ELj32ELb1ELb1ELb0EEEvllPKT_S5_PKT0_S8_PS3_S9_.kd
    .uniform_work_group_size: 1
    .uses_dynamic_stack: false
    .vgpr_count:     71
    .vgpr_spill_count: 0
    .wavefront_size: 64
  - .agpr_count:     78
    .args:
      - .offset:         0
        .size:           8
        .value_kind:     by_value
      - .offset:         8
        .size:           8
        .value_kind:     by_value
      - .actual_access:  read_only
        .address_space:  global
        .offset:         16
        .size:           8
        .value_kind:     global_buffer
      - .actual_access:  read_only
        .address_space:  global
        .offset:         24
        .size:           8
        .value_kind:     global_buffer
      - .actual_access:  read_only
        .address_space:  global
        .offset:         32
        .size:           8
        .value_kind:     global_buffer
      - .actual_access:  read_only
        .address_space:  global
        .offset:         40
        .size:           8
        .value_kind:     global_buffer
      - .actual_access:  write_only
        .address_space:  global
        .offset:         48
        .size:           8
        .value_kind:     global_buffer
      - .actual_access:  write_only
        .address_space:  global
        .offset:         56
        .size:           8
        .value_kind:     global_buffer
      - .offset:         64
        .size:           4
        .value_kind:     hidden_block_count_x
      - .offset:         68
        .size:           4
        .value_kind:     hidden_block_count_y
      - .offset:         72
        .size:           4
        .value_kind:     hidden_block_count_z
      - .offset:         76
        .size:           2
        .value_kind:     hidden_group_size_x
      - .offset:         78
        .size:           2
        .value_kind:     hidden_group_size_y
      - .offset:         80
        .size:           2
        .value_kind:     hidden_group_size_z
      - .offset:         82
        .size:           2
        .value_kind:     hidden_remainder_x
      - .offset:         84
        .size:           2
        .value_kind:     hidden_remainder_y
      - .offset:         86
        .size:           2
        .value_kind:     hidden_remainder_z
      - .offset:         104
        .size:           8
        .value_kind:     hidden_global_offset_x
      - .offset:         112
        .size:           8
        .value_kind:     hidden_global_offset_y
      - .offset:         120
        .size:           8
        .value_kind:     hidden_global_offset_z
      - .offset:         128
        .size:           2
        .value_kind:     hidden_grid_dims
    .group_segment_fixed_size: 0
    .kernarg_segment_align: 8
    .kernarg_segment_size: 320
    .language:       OpenCL C
    .language_version:
      - 2
      - 0
    .max_flat_workgroup_size: 32
    .name:           _ZN2at6native12_GLOBAL__N_135GammaBetaBackwardCUDAKernelTemplateIffLj32ELj1ELj32ELb1ELb0ELb0EEEvllPKT_S5_PKT0_S8_PS3_S9_
    .private_segment_fixed_size: 0
    .sgpr_count:     46
    .sgpr_spill_count: 0
    .symbol:         _ZN2at6native12_GLOBAL__N_135GammaBetaBackwardCUDAKernelTemplateIffLj32ELj1ELj32ELb1ELb0ELb0EEEvllPKT_S5_PKT0_S8_PS3_S9_.kd
    .uniform_work_group_size: 1
    .uses_dynamic_stack: false
    .vgpr_count:     334
    .vgpr_spill_count: 0
    .wavefront_size: 64
  - .agpr_count:     0
    .args:
      - .offset:         0
        .size:           8
        .value_kind:     by_value
      - .offset:         8
        .size:           8
        .value_kind:     by_value
      - .actual_access:  read_only
        .address_space:  global
        .offset:         16
        .size:           8
        .value_kind:     global_buffer
      - .actual_access:  read_only
        .address_space:  global
        .offset:         24
        .size:           8
        .value_kind:     global_buffer
      - .actual_access:  read_only
        .address_space:  global
        .offset:         32
        .size:           8
        .value_kind:     global_buffer
      - .actual_access:  read_only
        .address_space:  global
        .offset:         40
        .size:           8
        .value_kind:     global_buffer
      - .actual_access:  write_only
        .address_space:  global
        .offset:         48
        .size:           8
        .value_kind:     global_buffer
      - .actual_access:  write_only
        .address_space:  global
        .offset:         56
        .size:           8
        .value_kind:     global_buffer
      - .offset:         64
        .size:           4
        .value_kind:     hidden_block_count_x
      - .offset:         68
        .size:           4
        .value_kind:     hidden_block_count_y
      - .offset:         72
        .size:           4
        .value_kind:     hidden_block_count_z
      - .offset:         76
        .size:           2
        .value_kind:     hidden_group_size_x
      - .offset:         78
        .size:           2
        .value_kind:     hidden_group_size_y
      - .offset:         80
        .size:           2
        .value_kind:     hidden_group_size_z
      - .offset:         82
        .size:           2
        .value_kind:     hidden_remainder_x
      - .offset:         84
        .size:           2
        .value_kind:     hidden_remainder_y
      - .offset:         86
        .size:           2
        .value_kind:     hidden_remainder_z
      - .offset:         104
        .size:           8
        .value_kind:     hidden_global_offset_x
      - .offset:         112
        .size:           8
        .value_kind:     hidden_global_offset_y
      - .offset:         120
        .size:           8
        .value_kind:     hidden_global_offset_z
      - .offset:         128
        .size:           2
        .value_kind:     hidden_grid_dims
    .group_segment_fixed_size: 0
    .kernarg_segment_align: 8
    .kernarg_segment_size: 320
    .language:       OpenCL C
    .language_version:
      - 2
      - 0
    .max_flat_workgroup_size: 32
    .name:           _ZN2at6native12_GLOBAL__N_135GammaBetaBackwardCUDAKernelTemplateIffLj32ELj1ELj8ELb1ELb1ELb0EEEvllPKT_S5_PKT0_S8_PS3_S9_
    .private_segment_fixed_size: 0
    .sgpr_count:     46
    .sgpr_spill_count: 0
    .symbol:         _ZN2at6native12_GLOBAL__N_135GammaBetaBackwardCUDAKernelTemplateIffLj32ELj1ELj8ELb1ELb1ELb0EEEvllPKT_S5_PKT0_S8_PS3_S9_.kd
    .uniform_work_group_size: 1
    .uses_dynamic_stack: false
    .vgpr_count:     52
    .vgpr_spill_count: 0
    .wavefront_size: 64
  - .agpr_count:     0
    .args:
      - .offset:         0
        .size:           8
        .value_kind:     by_value
      - .offset:         8
        .size:           8
        .value_kind:     by_value
      - .actual_access:  read_only
        .address_space:  global
        .offset:         16
        .size:           8
        .value_kind:     global_buffer
      - .actual_access:  read_only
        .address_space:  global
        .offset:         24
        .size:           8
        .value_kind:     global_buffer
      - .actual_access:  read_only
        .address_space:  global
        .offset:         32
        .size:           8
        .value_kind:     global_buffer
      - .actual_access:  read_only
        .address_space:  global
        .offset:         40
        .size:           8
        .value_kind:     global_buffer
      - .actual_access:  write_only
        .address_space:  global
        .offset:         48
        .size:           8
        .value_kind:     global_buffer
      - .actual_access:  write_only
        .address_space:  global
        .offset:         56
        .size:           8
        .value_kind:     global_buffer
      - .offset:         64
        .size:           4
        .value_kind:     hidden_block_count_x
      - .offset:         68
        .size:           4
        .value_kind:     hidden_block_count_y
      - .offset:         72
        .size:           4
        .value_kind:     hidden_block_count_z
      - .offset:         76
        .size:           2
        .value_kind:     hidden_group_size_x
      - .offset:         78
        .size:           2
        .value_kind:     hidden_group_size_y
      - .offset:         80
        .size:           2
        .value_kind:     hidden_group_size_z
      - .offset:         82
        .size:           2
        .value_kind:     hidden_remainder_x
      - .offset:         84
        .size:           2
        .value_kind:     hidden_remainder_y
      - .offset:         86
        .size:           2
        .value_kind:     hidden_remainder_z
      - .offset:         104
        .size:           8
        .value_kind:     hidden_global_offset_x
      - .offset:         112
        .size:           8
        .value_kind:     hidden_global_offset_y
      - .offset:         120
        .size:           8
        .value_kind:     hidden_global_offset_z
      - .offset:         128
        .size:           2
        .value_kind:     hidden_grid_dims
    .group_segment_fixed_size: 0
    .kernarg_segment_align: 8
    .kernarg_segment_size: 320
    .language:       OpenCL C
    .language_version:
      - 2
      - 0
    .max_flat_workgroup_size: 32
    .name:           _ZN2at6native12_GLOBAL__N_135GammaBetaBackwardCUDAKernelTemplateIffLj32ELj1ELj8ELb1ELb0ELb0EEEvllPKT_S5_PKT0_S8_PS3_S9_
    .private_segment_fixed_size: 0
    .sgpr_count:     52
    .sgpr_spill_count: 0
    .symbol:         _ZN2at6native12_GLOBAL__N_135GammaBetaBackwardCUDAKernelTemplateIffLj32ELj1ELj8ELb1ELb0ELb0EEEvllPKT_S5_PKT0_S8_PS3_S9_.kd
    .uniform_work_group_size: 1
    .uses_dynamic_stack: false
    .vgpr_count:     103
    .vgpr_spill_count: 0
    .wavefront_size: 64
  - .agpr_count:     0
    .args:
      - .offset:         0
        .size:           8
        .value_kind:     by_value
      - .offset:         8
        .size:           8
        .value_kind:     by_value
      - .actual_access:  read_only
        .address_space:  global
        .offset:         16
        .size:           8
        .value_kind:     global_buffer
      - .actual_access:  read_only
        .address_space:  global
        .offset:         24
        .size:           8
        .value_kind:     global_buffer
      - .actual_access:  read_only
        .address_space:  global
        .offset:         32
        .size:           8
        .value_kind:     global_buffer
      - .actual_access:  read_only
        .address_space:  global
        .offset:         40
        .size:           8
        .value_kind:     global_buffer
      - .actual_access:  write_only
        .address_space:  global
        .offset:         48
        .size:           8
        .value_kind:     global_buffer
      - .actual_access:  write_only
        .address_space:  global
        .offset:         56
        .size:           8
        .value_kind:     global_buffer
      - .offset:         64
        .size:           4
        .value_kind:     hidden_block_count_x
      - .offset:         68
        .size:           4
        .value_kind:     hidden_block_count_y
      - .offset:         72
        .size:           4
        .value_kind:     hidden_block_count_z
      - .offset:         76
        .size:           2
        .value_kind:     hidden_group_size_x
      - .offset:         78
        .size:           2
        .value_kind:     hidden_group_size_y
      - .offset:         80
        .size:           2
        .value_kind:     hidden_group_size_z
      - .offset:         82
        .size:           2
        .value_kind:     hidden_remainder_x
      - .offset:         84
        .size:           2
        .value_kind:     hidden_remainder_y
      - .offset:         86
        .size:           2
        .value_kind:     hidden_remainder_z
      - .offset:         104
        .size:           8
        .value_kind:     hidden_global_offset_x
      - .offset:         112
        .size:           8
        .value_kind:     hidden_global_offset_y
      - .offset:         120
        .size:           8
        .value_kind:     hidden_global_offset_z
      - .offset:         128
        .size:           2
        .value_kind:     hidden_grid_dims
      - .offset:         184
        .size:           4
        .value_kind:     hidden_dynamic_lds_size
    .group_segment_fixed_size: 0
    .kernarg_segment_align: 8
    .kernarg_segment_size: 320
    .language:       OpenCL C
    .language_version:
      - 2
      - 0
    .max_flat_workgroup_size: 256
    .name:           _ZN2at6native12_GLOBAL__N_135GammaBetaBackwardCUDAKernelTemplateIffLj32ELj8ELj64ELb0ELb1ELb0EEEvllPKT_S5_PKT0_S8_PS3_S9_
    .private_segment_fixed_size: 0
    .sgpr_count:     36
    .sgpr_spill_count: 0
    .symbol:         _ZN2at6native12_GLOBAL__N_135GammaBetaBackwardCUDAKernelTemplateIffLj32ELj8ELj64ELb0ELb1ELb0EEEvllPKT_S5_PKT0_S8_PS3_S9_.kd
    .uniform_work_group_size: 1
    .uses_dynamic_stack: false
    .vgpr_count:     54
    .vgpr_spill_count: 0
    .wavefront_size: 64
  - .agpr_count:     0
    .args:
      - .offset:         0
        .size:           8
        .value_kind:     by_value
      - .offset:         8
        .size:           8
        .value_kind:     by_value
      - .actual_access:  read_only
        .address_space:  global
        .offset:         16
        .size:           8
        .value_kind:     global_buffer
      - .actual_access:  read_only
        .address_space:  global
        .offset:         24
        .size:           8
        .value_kind:     global_buffer
      - .actual_access:  read_only
        .address_space:  global
        .offset:         32
        .size:           8
        .value_kind:     global_buffer
      - .actual_access:  read_only
        .address_space:  global
        .offset:         40
        .size:           8
        .value_kind:     global_buffer
      - .actual_access:  write_only
        .address_space:  global
        .offset:         48
        .size:           8
        .value_kind:     global_buffer
      - .actual_access:  write_only
        .address_space:  global
        .offset:         56
        .size:           8
        .value_kind:     global_buffer
      - .offset:         64
        .size:           4
        .value_kind:     hidden_block_count_x
      - .offset:         68
        .size:           4
        .value_kind:     hidden_block_count_y
      - .offset:         72
        .size:           4
        .value_kind:     hidden_block_count_z
      - .offset:         76
        .size:           2
        .value_kind:     hidden_group_size_x
      - .offset:         78
        .size:           2
        .value_kind:     hidden_group_size_y
      - .offset:         80
        .size:           2
        .value_kind:     hidden_group_size_z
      - .offset:         82
        .size:           2
        .value_kind:     hidden_remainder_x
      - .offset:         84
        .size:           2
        .value_kind:     hidden_remainder_y
      - .offset:         86
        .size:           2
        .value_kind:     hidden_remainder_z
      - .offset:         104
        .size:           8
        .value_kind:     hidden_global_offset_x
      - .offset:         112
        .size:           8
        .value_kind:     hidden_global_offset_y
      - .offset:         120
        .size:           8
        .value_kind:     hidden_global_offset_z
      - .offset:         128
        .size:           2
        .value_kind:     hidden_grid_dims
      - .offset:         184
        .size:           4
        .value_kind:     hidden_dynamic_lds_size
    .group_segment_fixed_size: 0
    .kernarg_segment_align: 8
    .kernarg_segment_size: 320
    .language:       OpenCL C
    .language_version:
      - 2
      - 0
    .max_flat_workgroup_size: 256
    .name:           _ZN2at6native12_GLOBAL__N_135GammaBetaBackwardCUDAKernelTemplateIffLj32ELj8ELj64ELb0ELb0ELb0EEEvllPKT_S5_PKT0_S8_PS3_S9_
    .private_segment_fixed_size: 0
    .sgpr_count:     64
    .sgpr_spill_count: 0
    .symbol:         _ZN2at6native12_GLOBAL__N_135GammaBetaBackwardCUDAKernelTemplateIffLj32ELj8ELj64ELb0ELb0ELb0EEEvllPKT_S5_PKT0_S8_PS3_S9_.kd
    .uniform_work_group_size: 1
    .uses_dynamic_stack: false
    .vgpr_count:     103
    .vgpr_spill_count: 0
    .wavefront_size: 64
  - .agpr_count:     0
    .args:
      - .offset:         0
        .size:           8
        .value_kind:     by_value
      - .offset:         8
        .size:           8
        .value_kind:     by_value
      - .actual_access:  read_only
        .address_space:  global
        .offset:         16
        .size:           8
        .value_kind:     global_buffer
      - .actual_access:  read_only
        .address_space:  global
        .offset:         24
        .size:           8
        .value_kind:     global_buffer
      - .actual_access:  read_only
        .address_space:  global
        .offset:         32
        .size:           8
        .value_kind:     global_buffer
      - .actual_access:  read_only
        .address_space:  global
        .offset:         40
        .size:           8
        .value_kind:     global_buffer
      - .actual_access:  write_only
        .address_space:  global
        .offset:         48
        .size:           8
        .value_kind:     global_buffer
      - .actual_access:  write_only
        .address_space:  global
        .offset:         56
        .size:           8
        .value_kind:     global_buffer
      - .offset:         64
        .size:           4
        .value_kind:     hidden_block_count_x
      - .offset:         68
        .size:           4
        .value_kind:     hidden_block_count_y
      - .offset:         72
        .size:           4
        .value_kind:     hidden_block_count_z
      - .offset:         76
        .size:           2
        .value_kind:     hidden_group_size_x
      - .offset:         78
        .size:           2
        .value_kind:     hidden_group_size_y
      - .offset:         80
        .size:           2
        .value_kind:     hidden_group_size_z
      - .offset:         82
        .size:           2
        .value_kind:     hidden_remainder_x
      - .offset:         84
        .size:           2
        .value_kind:     hidden_remainder_y
      - .offset:         86
        .size:           2
        .value_kind:     hidden_remainder_z
      - .offset:         104
        .size:           8
        .value_kind:     hidden_global_offset_x
      - .offset:         112
        .size:           8
        .value_kind:     hidden_global_offset_y
      - .offset:         120
        .size:           8
        .value_kind:     hidden_global_offset_z
      - .offset:         128
        .size:           2
        .value_kind:     hidden_grid_dims
      - .offset:         184
        .size:           4
        .value_kind:     hidden_dynamic_lds_size
    .group_segment_fixed_size: 0
    .kernarg_segment_align: 8
    .kernarg_segment_size: 320
    .language:       OpenCL C
    .language_version:
      - 2
      - 0
    .max_flat_workgroup_size: 512
    .name:           _ZN2at6native12_GLOBAL__N_135GammaBetaBackwardCUDAKernelTemplateIffLj32ELj16ELj128ELb0ELb1ELb0EEEvllPKT_S5_PKT0_S8_PS3_S9_
    .private_segment_fixed_size: 0
    .sgpr_count:     36
    .sgpr_spill_count: 0
    .symbol:         _ZN2at6native12_GLOBAL__N_135GammaBetaBackwardCUDAKernelTemplateIffLj32ELj16ELj128ELb0ELb1ELb0EEEvllPKT_S5_PKT0_S8_PS3_S9_.kd
    .uniform_work_group_size: 1
    .uses_dynamic_stack: false
    .vgpr_count:     54
    .vgpr_spill_count: 0
    .wavefront_size: 64
  - .agpr_count:     0
    .args:
      - .offset:         0
        .size:           8
        .value_kind:     by_value
      - .offset:         8
        .size:           8
        .value_kind:     by_value
      - .actual_access:  read_only
        .address_space:  global
        .offset:         16
        .size:           8
        .value_kind:     global_buffer
      - .actual_access:  read_only
        .address_space:  global
        .offset:         24
        .size:           8
        .value_kind:     global_buffer
      - .actual_access:  read_only
        .address_space:  global
        .offset:         32
        .size:           8
        .value_kind:     global_buffer
      - .actual_access:  read_only
        .address_space:  global
        .offset:         40
        .size:           8
        .value_kind:     global_buffer
      - .actual_access:  write_only
        .address_space:  global
        .offset:         48
        .size:           8
        .value_kind:     global_buffer
      - .actual_access:  write_only
        .address_space:  global
        .offset:         56
        .size:           8
        .value_kind:     global_buffer
      - .offset:         64
        .size:           4
        .value_kind:     hidden_block_count_x
      - .offset:         68
        .size:           4
        .value_kind:     hidden_block_count_y
      - .offset:         72
        .size:           4
        .value_kind:     hidden_block_count_z
      - .offset:         76
        .size:           2
        .value_kind:     hidden_group_size_x
      - .offset:         78
        .size:           2
        .value_kind:     hidden_group_size_y
      - .offset:         80
        .size:           2
        .value_kind:     hidden_group_size_z
      - .offset:         82
        .size:           2
        .value_kind:     hidden_remainder_x
      - .offset:         84
        .size:           2
        .value_kind:     hidden_remainder_y
      - .offset:         86
        .size:           2
        .value_kind:     hidden_remainder_z
      - .offset:         104
        .size:           8
        .value_kind:     hidden_global_offset_x
      - .offset:         112
        .size:           8
        .value_kind:     hidden_global_offset_y
      - .offset:         120
        .size:           8
        .value_kind:     hidden_global_offset_z
      - .offset:         128
        .size:           2
        .value_kind:     hidden_grid_dims
      - .offset:         184
        .size:           4
        .value_kind:     hidden_dynamic_lds_size
    .group_segment_fixed_size: 0
    .kernarg_segment_align: 8
    .kernarg_segment_size: 320
    .language:       OpenCL C
    .language_version:
      - 2
      - 0
    .max_flat_workgroup_size: 512
    .name:           _ZN2at6native12_GLOBAL__N_135GammaBetaBackwardCUDAKernelTemplateIffLj32ELj16ELj128ELb0ELb0ELb0EEEvllPKT_S5_PKT0_S8_PS3_S9_
    .private_segment_fixed_size: 0
    .sgpr_count:     64
    .sgpr_spill_count: 0
    .symbol:         _ZN2at6native12_GLOBAL__N_135GammaBetaBackwardCUDAKernelTemplateIffLj32ELj16ELj128ELb0ELb0ELb0EEEvllPKT_S5_PKT0_S8_PS3_S9_.kd
    .uniform_work_group_size: 1
    .uses_dynamic_stack: false
    .vgpr_count:     103
    .vgpr_spill_count: 0
    .wavefront_size: 64
  - .agpr_count:     0
    .args:
      - .offset:         0
        .size:           8
        .value_kind:     by_value
      - .offset:         8
        .size:           8
        .value_kind:     by_value
      - .actual_access:  read_only
        .address_space:  global
        .offset:         16
        .size:           8
        .value_kind:     global_buffer
      - .actual_access:  read_only
        .address_space:  global
        .offset:         24
        .size:           8
        .value_kind:     global_buffer
      - .actual_access:  read_only
        .address_space:  global
        .offset:         32
        .size:           8
        .value_kind:     global_buffer
      - .actual_access:  read_only
        .address_space:  global
        .offset:         40
        .size:           8
        .value_kind:     global_buffer
      - .actual_access:  write_only
        .address_space:  global
        .offset:         48
        .size:           8
        .value_kind:     global_buffer
      - .actual_access:  write_only
        .address_space:  global
        .offset:         56
        .size:           8
        .value_kind:     global_buffer
      - .offset:         64
        .size:           4
        .value_kind:     hidden_block_count_x
      - .offset:         68
        .size:           4
        .value_kind:     hidden_block_count_y
      - .offset:         72
        .size:           4
        .value_kind:     hidden_block_count_z
      - .offset:         76
        .size:           2
        .value_kind:     hidden_group_size_x
      - .offset:         78
        .size:           2
        .value_kind:     hidden_group_size_y
      - .offset:         80
        .size:           2
        .value_kind:     hidden_group_size_z
      - .offset:         82
        .size:           2
        .value_kind:     hidden_remainder_x
      - .offset:         84
        .size:           2
        .value_kind:     hidden_remainder_y
      - .offset:         86
        .size:           2
        .value_kind:     hidden_remainder_z
      - .offset:         104
        .size:           8
        .value_kind:     hidden_global_offset_x
      - .offset:         112
        .size:           8
        .value_kind:     hidden_global_offset_y
      - .offset:         120
        .size:           8
        .value_kind:     hidden_global_offset_z
      - .offset:         128
        .size:           2
        .value_kind:     hidden_grid_dims
      - .offset:         184
        .size:           4
        .value_kind:     hidden_dynamic_lds_size
    .group_segment_fixed_size: 0
    .kernarg_segment_align: 8
    .kernarg_segment_size: 320
    .language:       OpenCL C
    .language_version:
      - 2
      - 0
    .max_flat_workgroup_size: 1024
    .name:           _ZN2at6native12_GLOBAL__N_135GammaBetaBackwardCUDAKernelTemplateIffLj32ELj32ELj256ELb0ELb1ELb0EEEvllPKT_S5_PKT0_S8_PS3_S9_
    .private_segment_fixed_size: 0
    .sgpr_count:     36
    .sgpr_spill_count: 0
    .symbol:         _ZN2at6native12_GLOBAL__N_135GammaBetaBackwardCUDAKernelTemplateIffLj32ELj32ELj256ELb0ELb1ELb0EEEvllPKT_S5_PKT0_S8_PS3_S9_.kd
    .uniform_work_group_size: 1
    .uses_dynamic_stack: false
    .vgpr_count:     54
    .vgpr_spill_count: 0
    .wavefront_size: 64
  - .agpr_count:     0
    .args:
      - .offset:         0
        .size:           8
        .value_kind:     by_value
      - .offset:         8
        .size:           8
        .value_kind:     by_value
      - .actual_access:  read_only
        .address_space:  global
        .offset:         16
        .size:           8
        .value_kind:     global_buffer
      - .actual_access:  read_only
        .address_space:  global
        .offset:         24
        .size:           8
        .value_kind:     global_buffer
      - .actual_access:  read_only
        .address_space:  global
        .offset:         32
        .size:           8
        .value_kind:     global_buffer
      - .actual_access:  read_only
        .address_space:  global
        .offset:         40
        .size:           8
        .value_kind:     global_buffer
      - .actual_access:  write_only
        .address_space:  global
        .offset:         48
        .size:           8
        .value_kind:     global_buffer
      - .actual_access:  write_only
        .address_space:  global
        .offset:         56
        .size:           8
        .value_kind:     global_buffer
      - .offset:         64
        .size:           4
        .value_kind:     hidden_block_count_x
      - .offset:         68
        .size:           4
        .value_kind:     hidden_block_count_y
      - .offset:         72
        .size:           4
        .value_kind:     hidden_block_count_z
      - .offset:         76
        .size:           2
        .value_kind:     hidden_group_size_x
      - .offset:         78
        .size:           2
        .value_kind:     hidden_group_size_y
      - .offset:         80
        .size:           2
        .value_kind:     hidden_group_size_z
      - .offset:         82
        .size:           2
        .value_kind:     hidden_remainder_x
      - .offset:         84
        .size:           2
        .value_kind:     hidden_remainder_y
      - .offset:         86
        .size:           2
        .value_kind:     hidden_remainder_z
      - .offset:         104
        .size:           8
        .value_kind:     hidden_global_offset_x
      - .offset:         112
        .size:           8
        .value_kind:     hidden_global_offset_y
      - .offset:         120
        .size:           8
        .value_kind:     hidden_global_offset_z
      - .offset:         128
        .size:           2
        .value_kind:     hidden_grid_dims
      - .offset:         184
        .size:           4
        .value_kind:     hidden_dynamic_lds_size
    .group_segment_fixed_size: 0
    .kernarg_segment_align: 8
    .kernarg_segment_size: 320
    .language:       OpenCL C
    .language_version:
      - 2
      - 0
    .max_flat_workgroup_size: 1024
    .name:           _ZN2at6native12_GLOBAL__N_135GammaBetaBackwardCUDAKernelTemplateIffLj32ELj32ELj256ELb0ELb0ELb0EEEvllPKT_S5_PKT0_S8_PS3_S9_
    .private_segment_fixed_size: 0
    .sgpr_count:     64
    .sgpr_spill_count: 0
    .symbol:         _ZN2at6native12_GLOBAL__N_135GammaBetaBackwardCUDAKernelTemplateIffLj32ELj32ELj256ELb0ELb0ELb0EEEvllPKT_S5_PKT0_S8_PS3_S9_.kd
    .uniform_work_group_size: 1
    .uses_dynamic_stack: false
    .vgpr_count:     104
    .vgpr_spill_count: 0
    .wavefront_size: 64
  - .agpr_count:     0
    .args:
      - .actual_access:  read_only
        .address_space:  global
        .offset:         0
        .size:           8
        .value_kind:     global_buffer
      - .actual_access:  read_only
        .address_space:  global
        .offset:         8
        .size:           8
        .value_kind:     global_buffer
      - .offset:         16
        .size:           8
        .value_kind:     by_value
      - .offset:         24
        .size:           8
        .value_kind:     by_value
      - .actual_access:  read_only
        .address_space:  global
        .offset:         32
        .size:           8
        .value_kind:     global_buffer
      - .actual_access:  read_only
        .address_space:  global
        .offset:         40
        .size:           8
        .value_kind:     global_buffer
      - .address_space:  global
        .offset:         48
        .size:           8
        .value_kind:     global_buffer
      - .address_space:  global
        .offset:         56
        .size:           8
        .value_kind:     global_buffer
      - .offset:         64
        .size:           4
        .value_kind:     hidden_block_count_x
      - .offset:         68
        .size:           4
        .value_kind:     hidden_block_count_y
      - .offset:         72
        .size:           4
        .value_kind:     hidden_block_count_z
      - .offset:         76
        .size:           2
        .value_kind:     hidden_group_size_x
      - .offset:         78
        .size:           2
        .value_kind:     hidden_group_size_y
      - .offset:         80
        .size:           2
        .value_kind:     hidden_group_size_z
      - .offset:         82
        .size:           2
        .value_kind:     hidden_remainder_x
      - .offset:         84
        .size:           2
        .value_kind:     hidden_remainder_y
      - .offset:         86
        .size:           2
        .value_kind:     hidden_remainder_z
      - .offset:         104
        .size:           8
        .value_kind:     hidden_global_offset_x
      - .offset:         112
        .size:           8
        .value_kind:     hidden_global_offset_y
      - .offset:         120
        .size:           8
        .value_kind:     hidden_global_offset_z
      - .offset:         128
        .size:           2
        .value_kind:     hidden_grid_dims
      - .offset:         184
        .size:           4
        .value_kind:     hidden_dynamic_lds_size
    .group_segment_fixed_size: 0
    .kernarg_segment_align: 8
    .kernarg_segment_size: 320
    .language:       OpenCL C
    .language_version:
      - 2
      - 0
    .max_flat_workgroup_size: 1024
    .name:           _ZN2at6native12_GLOBAL__N_118cuComputeGradInputIN3c104HalfEfLb0EEEvPKT_S7_llPKT0_SA_S7_PS5_
    .private_segment_fixed_size: 0
    .sgpr_count:     58
    .sgpr_spill_count: 0
    .symbol:         _ZN2at6native12_GLOBAL__N_118cuComputeGradInputIN3c104HalfEfLb0EEEvPKT_S7_llPKT0_SA_S7_PS5_.kd
    .uniform_work_group_size: 1
    .uses_dynamic_stack: false
    .vgpr_count:     29
    .vgpr_spill_count: 0
    .wavefront_size: 64
  - .agpr_count:     0
    .args:
      - .actual_access:  read_only
        .address_space:  global
        .offset:         0
        .size:           8
        .value_kind:     global_buffer
      - .actual_access:  read_only
        .address_space:  global
        .offset:         8
        .size:           8
        .value_kind:     global_buffer
      - .actual_access:  read_only
        .address_space:  global
        .offset:         16
        .size:           8
        .value_kind:     global_buffer
      - .actual_access:  read_only
        .address_space:  global
        .offset:         24
        .size:           8
        .value_kind:     global_buffer
      - .actual_access:  read_only
        .address_space:  global
        .offset:         32
        .size:           8
        .value_kind:     global_buffer
      - .address_space:  global
        .offset:         40
        .size:           8
        .value_kind:     global_buffer
      - .offset:         48
        .size:           4
        .value_kind:     by_value
      - .offset:         56
        .size:           4
        .value_kind:     hidden_block_count_x
      - .offset:         60
        .size:           4
        .value_kind:     hidden_block_count_y
      - .offset:         64
        .size:           4
        .value_kind:     hidden_block_count_z
      - .offset:         68
        .size:           2
        .value_kind:     hidden_group_size_x
      - .offset:         70
        .size:           2
        .value_kind:     hidden_group_size_y
      - .offset:         72
        .size:           2
        .value_kind:     hidden_group_size_z
      - .offset:         74
        .size:           2
        .value_kind:     hidden_remainder_x
      - .offset:         76
        .size:           2
        .value_kind:     hidden_remainder_y
      - .offset:         78
        .size:           2
        .value_kind:     hidden_remainder_z
      - .offset:         96
        .size:           8
        .value_kind:     hidden_global_offset_x
      - .offset:         104
        .size:           8
        .value_kind:     hidden_global_offset_y
      - .offset:         112
        .size:           8
        .value_kind:     hidden_global_offset_z
      - .offset:         120
        .size:           2
        .value_kind:     hidden_grid_dims
      - .offset:         176
        .size:           4
        .value_kind:     hidden_dynamic_lds_size
    .group_segment_fixed_size: 0
    .kernarg_segment_align: 8
    .kernarg_segment_size: 312
    .language:       OpenCL C
    .language_version:
      - 2
      - 0
    .max_flat_workgroup_size: 1024
    .name:           _ZN2at6native12_GLOBAL__N_128layer_norm_grad_input_kernelIN3c104HalfEfLb0EEEvPKT_S7_PKT0_SA_S7_PS5_i
    .private_segment_fixed_size: 0
    .sgpr_count:     41
    .sgpr_spill_count: 0
    .symbol:         _ZN2at6native12_GLOBAL__N_128layer_norm_grad_input_kernelIN3c104HalfEfLb0EEEvPKT_S7_PKT0_SA_S7_PS5_i.kd
    .uniform_work_group_size: 1
    .uses_dynamic_stack: false
    .vgpr_count:     22
    .vgpr_spill_count: 0
    .wavefront_size: 64
  - .agpr_count:     0
    .args:
      - .offset:         0
        .size:           8
        .value_kind:     by_value
      - .offset:         8
        .size:           8
        .value_kind:     by_value
      - .address_space:  global
        .offset:         16
        .size:           8
        .value_kind:     global_buffer
      - .address_space:  global
        .offset:         24
        .size:           8
        .value_kind:     global_buffer
      - .address_space:  global
        .offset:         32
        .size:           8
        .value_kind:     global_buffer
      - .address_space:  global
        .offset:         40
        .size:           8
        .value_kind:     global_buffer
      - .address_space:  global
        .offset:         48
        .size:           8
        .value_kind:     global_buffer
      - .address_space:  global
        .offset:         56
        .size:           8
        .value_kind:     global_buffer
      - .offset:         64
        .size:           4
        .value_kind:     hidden_block_count_x
      - .offset:         68
        .size:           4
        .value_kind:     hidden_block_count_y
      - .offset:         72
        .size:           4
        .value_kind:     hidden_block_count_z
      - .offset:         76
        .size:           2
        .value_kind:     hidden_group_size_x
      - .offset:         78
        .size:           2
        .value_kind:     hidden_group_size_y
      - .offset:         80
        .size:           2
        .value_kind:     hidden_group_size_z
      - .offset:         82
        .size:           2
        .value_kind:     hidden_remainder_x
      - .offset:         84
        .size:           2
        .value_kind:     hidden_remainder_y
      - .offset:         86
        .size:           2
        .value_kind:     hidden_remainder_z
      - .offset:         104
        .size:           8
        .value_kind:     hidden_global_offset_x
      - .offset:         112
        .size:           8
        .value_kind:     hidden_global_offset_y
      - .offset:         120
        .size:           8
        .value_kind:     hidden_global_offset_z
      - .offset:         128
        .size:           2
        .value_kind:     hidden_grid_dims
    .group_segment_fixed_size: 0
    .kernarg_segment_align: 8
    .kernarg_segment_size: 320
    .language:       OpenCL C
    .language_version:
      - 2
      - 0
    .max_flat_workgroup_size: 1024
    .name:           _ZN2at6native12_GLOBAL__N_133GammaBetaBackwardSimpleCUDAKernelIN3c104HalfEfLb0EEEvllPKT_S7_PKT0_SA_PS5_SB_
    .private_segment_fixed_size: 0
    .sgpr_count:     28
    .sgpr_spill_count: 0
    .symbol:         _ZN2at6native12_GLOBAL__N_133GammaBetaBackwardSimpleCUDAKernelIN3c104HalfEfLb0EEEvllPKT_S7_PKT0_SA_PS5_SB_.kd
    .uniform_work_group_size: 1
    .uses_dynamic_stack: false
    .vgpr_count:     11
    .vgpr_spill_count: 0
    .wavefront_size: 64
  - .agpr_count:     0
    .args:
      - .offset:         0
        .size:           8
        .value_kind:     by_value
      - .offset:         8
        .size:           8
        .value_kind:     by_value
      - .actual_access:  read_only
        .address_space:  global
        .offset:         16
        .size:           8
        .value_kind:     global_buffer
      - .actual_access:  read_only
        .address_space:  global
        .offset:         24
        .size:           8
        .value_kind:     global_buffer
      - .actual_access:  read_only
        .address_space:  global
        .offset:         32
        .size:           8
        .value_kind:     global_buffer
      - .actual_access:  read_only
        .address_space:  global
        .offset:         40
        .size:           8
        .value_kind:     global_buffer
      - .actual_access:  write_only
        .address_space:  global
        .offset:         48
        .size:           8
        .value_kind:     global_buffer
      - .actual_access:  write_only
        .address_space:  global
        .offset:         56
        .size:           8
        .value_kind:     global_buffer
      - .offset:         64
        .size:           4
        .value_kind:     hidden_block_count_x
      - .offset:         68
        .size:           4
        .value_kind:     hidden_block_count_y
      - .offset:         72
        .size:           4
        .value_kind:     hidden_block_count_z
      - .offset:         76
        .size:           2
        .value_kind:     hidden_group_size_x
      - .offset:         78
        .size:           2
        .value_kind:     hidden_group_size_y
      - .offset:         80
        .size:           2
        .value_kind:     hidden_group_size_z
      - .offset:         82
        .size:           2
        .value_kind:     hidden_remainder_x
      - .offset:         84
        .size:           2
        .value_kind:     hidden_remainder_y
      - .offset:         86
        .size:           2
        .value_kind:     hidden_remainder_z
      - .offset:         104
        .size:           8
        .value_kind:     hidden_global_offset_x
      - .offset:         112
        .size:           8
        .value_kind:     hidden_global_offset_y
      - .offset:         120
        .size:           8
        .value_kind:     hidden_global_offset_z
      - .offset:         128
        .size:           2
        .value_kind:     hidden_grid_dims
    .group_segment_fixed_size: 0
    .kernarg_segment_align: 8
    .kernarg_segment_size: 320
    .language:       OpenCL C
    .language_version:
      - 2
      - 0
    .max_flat_workgroup_size: 64
    .name:           _ZN2at6native12_GLOBAL__N_135GammaBetaBackwardCUDAKernelTemplateIN3c104HalfEfLj64ELj1ELj32ELb1ELb1ELb0EEEvllPKT_S7_PKT0_SA_PS5_SB_
    .private_segment_fixed_size: 0
    .sgpr_count:     46
    .sgpr_spill_count: 0
    .symbol:         _ZN2at6native12_GLOBAL__N_135GammaBetaBackwardCUDAKernelTemplateIN3c104HalfEfLj64ELj1ELj32ELb1ELb1ELb0EEEvllPKT_S7_PKT0_SA_PS5_SB_.kd
    .uniform_work_group_size: 1
    .uses_dynamic_stack: false
    .vgpr_count:     71
    .vgpr_spill_count: 0
    .wavefront_size: 64
  - .agpr_count:     83
    .args:
      - .offset:         0
        .size:           8
        .value_kind:     by_value
      - .offset:         8
        .size:           8
        .value_kind:     by_value
      - .actual_access:  read_only
        .address_space:  global
        .offset:         16
        .size:           8
        .value_kind:     global_buffer
      - .actual_access:  read_only
        .address_space:  global
        .offset:         24
        .size:           8
        .value_kind:     global_buffer
      - .actual_access:  read_only
        .address_space:  global
        .offset:         32
        .size:           8
        .value_kind:     global_buffer
      - .actual_access:  read_only
        .address_space:  global
        .offset:         40
        .size:           8
        .value_kind:     global_buffer
      - .actual_access:  write_only
        .address_space:  global
        .offset:         48
        .size:           8
        .value_kind:     global_buffer
      - .actual_access:  write_only
        .address_space:  global
        .offset:         56
        .size:           8
        .value_kind:     global_buffer
      - .offset:         64
        .size:           4
        .value_kind:     hidden_block_count_x
      - .offset:         68
        .size:           4
        .value_kind:     hidden_block_count_y
      - .offset:         72
        .size:           4
        .value_kind:     hidden_block_count_z
      - .offset:         76
        .size:           2
        .value_kind:     hidden_group_size_x
      - .offset:         78
        .size:           2
        .value_kind:     hidden_group_size_y
      - .offset:         80
        .size:           2
        .value_kind:     hidden_group_size_z
      - .offset:         82
        .size:           2
        .value_kind:     hidden_remainder_x
      - .offset:         84
        .size:           2
        .value_kind:     hidden_remainder_y
      - .offset:         86
        .size:           2
        .value_kind:     hidden_remainder_z
      - .offset:         104
        .size:           8
        .value_kind:     hidden_global_offset_x
      - .offset:         112
        .size:           8
        .value_kind:     hidden_global_offset_y
      - .offset:         120
        .size:           8
        .value_kind:     hidden_global_offset_z
      - .offset:         128
        .size:           2
        .value_kind:     hidden_grid_dims
    .group_segment_fixed_size: 0
    .kernarg_segment_align: 8
    .kernarg_segment_size: 320
    .language:       OpenCL C
    .language_version:
      - 2
      - 0
    .max_flat_workgroup_size: 64
    .name:           _ZN2at6native12_GLOBAL__N_135GammaBetaBackwardCUDAKernelTemplateIN3c104HalfEfLj64ELj1ELj32ELb1ELb0ELb0EEEvllPKT_S7_PKT0_SA_PS5_SB_
    .private_segment_fixed_size: 0
    .sgpr_count:     46
    .sgpr_spill_count: 0
    .symbol:         _ZN2at6native12_GLOBAL__N_135GammaBetaBackwardCUDAKernelTemplateIN3c104HalfEfLj64ELj1ELj32ELb1ELb0ELb0EEEvllPKT_S7_PKT0_SA_PS5_SB_.kd
    .uniform_work_group_size: 1
    .uses_dynamic_stack: false
    .vgpr_count:     339
    .vgpr_spill_count: 0
    .wavefront_size: 64
  - .agpr_count:     0
    .args:
      - .offset:         0
        .size:           8
        .value_kind:     by_value
      - .offset:         8
        .size:           8
        .value_kind:     by_value
      - .actual_access:  read_only
        .address_space:  global
        .offset:         16
        .size:           8
        .value_kind:     global_buffer
      - .actual_access:  read_only
        .address_space:  global
        .offset:         24
        .size:           8
        .value_kind:     global_buffer
      - .actual_access:  read_only
        .address_space:  global
        .offset:         32
        .size:           8
        .value_kind:     global_buffer
      - .actual_access:  read_only
        .address_space:  global
        .offset:         40
        .size:           8
        .value_kind:     global_buffer
      - .actual_access:  write_only
        .address_space:  global
        .offset:         48
        .size:           8
        .value_kind:     global_buffer
      - .actual_access:  write_only
        .address_space:  global
        .offset:         56
        .size:           8
        .value_kind:     global_buffer
      - .offset:         64
        .size:           4
        .value_kind:     hidden_block_count_x
      - .offset:         68
        .size:           4
        .value_kind:     hidden_block_count_y
      - .offset:         72
        .size:           4
        .value_kind:     hidden_block_count_z
      - .offset:         76
        .size:           2
        .value_kind:     hidden_group_size_x
      - .offset:         78
        .size:           2
        .value_kind:     hidden_group_size_y
      - .offset:         80
        .size:           2
        .value_kind:     hidden_group_size_z
      - .offset:         82
        .size:           2
        .value_kind:     hidden_remainder_x
      - .offset:         84
        .size:           2
        .value_kind:     hidden_remainder_y
      - .offset:         86
        .size:           2
        .value_kind:     hidden_remainder_z
      - .offset:         104
        .size:           8
        .value_kind:     hidden_global_offset_x
      - .offset:         112
        .size:           8
        .value_kind:     hidden_global_offset_y
      - .offset:         120
        .size:           8
        .value_kind:     hidden_global_offset_z
      - .offset:         128
        .size:           2
        .value_kind:     hidden_grid_dims
    .group_segment_fixed_size: 0
    .kernarg_segment_align: 8
    .kernarg_segment_size: 320
    .language:       OpenCL C
    .language_version:
      - 2
      - 0
    .max_flat_workgroup_size: 64
    .name:           _ZN2at6native12_GLOBAL__N_135GammaBetaBackwardCUDAKernelTemplateIN3c104HalfEfLj64ELj1ELj8ELb1ELb1ELb0EEEvllPKT_S7_PKT0_SA_PS5_SB_
    .private_segment_fixed_size: 0
    .sgpr_count:     46
    .sgpr_spill_count: 0
    .symbol:         _ZN2at6native12_GLOBAL__N_135GammaBetaBackwardCUDAKernelTemplateIN3c104HalfEfLj64ELj1ELj8ELb1ELb1ELb0EEEvllPKT_S7_PKT0_SA_PS5_SB_.kd
    .uniform_work_group_size: 1
    .uses_dynamic_stack: false
    .vgpr_count:     56
    .vgpr_spill_count: 0
    .wavefront_size: 64
  - .agpr_count:     0
    .args:
      - .offset:         0
        .size:           8
        .value_kind:     by_value
      - .offset:         8
        .size:           8
        .value_kind:     by_value
      - .actual_access:  read_only
        .address_space:  global
        .offset:         16
        .size:           8
        .value_kind:     global_buffer
      - .actual_access:  read_only
        .address_space:  global
        .offset:         24
        .size:           8
        .value_kind:     global_buffer
      - .actual_access:  read_only
        .address_space:  global
        .offset:         32
        .size:           8
        .value_kind:     global_buffer
      - .actual_access:  read_only
        .address_space:  global
        .offset:         40
        .size:           8
        .value_kind:     global_buffer
      - .actual_access:  write_only
        .address_space:  global
        .offset:         48
        .size:           8
        .value_kind:     global_buffer
      - .actual_access:  write_only
        .address_space:  global
        .offset:         56
        .size:           8
        .value_kind:     global_buffer
      - .offset:         64
        .size:           4
        .value_kind:     hidden_block_count_x
      - .offset:         68
        .size:           4
        .value_kind:     hidden_block_count_y
      - .offset:         72
        .size:           4
        .value_kind:     hidden_block_count_z
      - .offset:         76
        .size:           2
        .value_kind:     hidden_group_size_x
      - .offset:         78
        .size:           2
        .value_kind:     hidden_group_size_y
      - .offset:         80
        .size:           2
        .value_kind:     hidden_group_size_z
      - .offset:         82
        .size:           2
        .value_kind:     hidden_remainder_x
      - .offset:         84
        .size:           2
        .value_kind:     hidden_remainder_y
      - .offset:         86
        .size:           2
        .value_kind:     hidden_remainder_z
      - .offset:         104
        .size:           8
        .value_kind:     hidden_global_offset_x
      - .offset:         112
        .size:           8
        .value_kind:     hidden_global_offset_y
      - .offset:         120
        .size:           8
        .value_kind:     hidden_global_offset_z
      - .offset:         128
        .size:           2
        .value_kind:     hidden_grid_dims
    .group_segment_fixed_size: 0
    .kernarg_segment_align: 8
    .kernarg_segment_size: 320
    .language:       OpenCL C
    .language_version:
      - 2
      - 0
    .max_flat_workgroup_size: 64
    .name:           _ZN2at6native12_GLOBAL__N_135GammaBetaBackwardCUDAKernelTemplateIN3c104HalfEfLj64ELj1ELj8ELb1ELb0ELb0EEEvllPKT_S7_PKT0_SA_PS5_SB_
    .private_segment_fixed_size: 0
    .sgpr_count:     52
    .sgpr_spill_count: 0
    .symbol:         _ZN2at6native12_GLOBAL__N_135GammaBetaBackwardCUDAKernelTemplateIN3c104HalfEfLj64ELj1ELj8ELb1ELb0ELb0EEEvllPKT_S7_PKT0_SA_PS5_SB_.kd
    .uniform_work_group_size: 1
    .uses_dynamic_stack: false
    .vgpr_count:     105
    .vgpr_spill_count: 0
    .wavefront_size: 64
  - .agpr_count:     0
    .args:
      - .offset:         0
        .size:           8
        .value_kind:     by_value
      - .offset:         8
        .size:           8
        .value_kind:     by_value
      - .actual_access:  read_only
        .address_space:  global
        .offset:         16
        .size:           8
        .value_kind:     global_buffer
      - .actual_access:  read_only
        .address_space:  global
        .offset:         24
        .size:           8
        .value_kind:     global_buffer
      - .actual_access:  read_only
        .address_space:  global
        .offset:         32
        .size:           8
        .value_kind:     global_buffer
      - .actual_access:  read_only
        .address_space:  global
        .offset:         40
        .size:           8
        .value_kind:     global_buffer
      - .actual_access:  write_only
        .address_space:  global
        .offset:         48
        .size:           8
        .value_kind:     global_buffer
      - .actual_access:  write_only
        .address_space:  global
        .offset:         56
        .size:           8
        .value_kind:     global_buffer
      - .offset:         64
        .size:           4
        .value_kind:     hidden_block_count_x
      - .offset:         68
        .size:           4
        .value_kind:     hidden_block_count_y
      - .offset:         72
        .size:           4
        .value_kind:     hidden_block_count_z
      - .offset:         76
        .size:           2
        .value_kind:     hidden_group_size_x
      - .offset:         78
        .size:           2
        .value_kind:     hidden_group_size_y
      - .offset:         80
        .size:           2
        .value_kind:     hidden_group_size_z
      - .offset:         82
        .size:           2
        .value_kind:     hidden_remainder_x
      - .offset:         84
        .size:           2
        .value_kind:     hidden_remainder_y
      - .offset:         86
        .size:           2
        .value_kind:     hidden_remainder_z
      - .offset:         104
        .size:           8
        .value_kind:     hidden_global_offset_x
      - .offset:         112
        .size:           8
        .value_kind:     hidden_global_offset_y
      - .offset:         120
        .size:           8
        .value_kind:     hidden_global_offset_z
      - .offset:         128
        .size:           2
        .value_kind:     hidden_grid_dims
      - .offset:         184
        .size:           4
        .value_kind:     hidden_dynamic_lds_size
    .group_segment_fixed_size: 0
    .kernarg_segment_align: 8
    .kernarg_segment_size: 320
    .language:       OpenCL C
    .language_version:
      - 2
      - 0
    .max_flat_workgroup_size: 512
    .name:           _ZN2at6native12_GLOBAL__N_135GammaBetaBackwardCUDAKernelTemplateIN3c104HalfEfLj64ELj8ELj64ELb0ELb1ELb0EEEvllPKT_S7_PKT0_SA_PS5_SB_
    .private_segment_fixed_size: 0
    .sgpr_count:     36
    .sgpr_spill_count: 0
    .symbol:         _ZN2at6native12_GLOBAL__N_135GammaBetaBackwardCUDAKernelTemplateIN3c104HalfEfLj64ELj8ELj64ELb0ELb1ELb0EEEvllPKT_S7_PKT0_SA_PS5_SB_.kd
    .uniform_work_group_size: 1
    .uses_dynamic_stack: false
    .vgpr_count:     56
    .vgpr_spill_count: 0
    .wavefront_size: 64
  - .agpr_count:     0
    .args:
      - .offset:         0
        .size:           8
        .value_kind:     by_value
      - .offset:         8
        .size:           8
        .value_kind:     by_value
      - .actual_access:  read_only
        .address_space:  global
        .offset:         16
        .size:           8
        .value_kind:     global_buffer
      - .actual_access:  read_only
        .address_space:  global
        .offset:         24
        .size:           8
        .value_kind:     global_buffer
      - .actual_access:  read_only
        .address_space:  global
        .offset:         32
        .size:           8
        .value_kind:     global_buffer
      - .actual_access:  read_only
        .address_space:  global
        .offset:         40
        .size:           8
        .value_kind:     global_buffer
      - .actual_access:  write_only
        .address_space:  global
        .offset:         48
        .size:           8
        .value_kind:     global_buffer
      - .actual_access:  write_only
        .address_space:  global
        .offset:         56
        .size:           8
        .value_kind:     global_buffer
      - .offset:         64
        .size:           4
        .value_kind:     hidden_block_count_x
      - .offset:         68
        .size:           4
        .value_kind:     hidden_block_count_y
      - .offset:         72
        .size:           4
        .value_kind:     hidden_block_count_z
      - .offset:         76
        .size:           2
        .value_kind:     hidden_group_size_x
      - .offset:         78
        .size:           2
        .value_kind:     hidden_group_size_y
      - .offset:         80
        .size:           2
        .value_kind:     hidden_group_size_z
      - .offset:         82
        .size:           2
        .value_kind:     hidden_remainder_x
      - .offset:         84
        .size:           2
        .value_kind:     hidden_remainder_y
      - .offset:         86
        .size:           2
        .value_kind:     hidden_remainder_z
      - .offset:         104
        .size:           8
        .value_kind:     hidden_global_offset_x
      - .offset:         112
        .size:           8
        .value_kind:     hidden_global_offset_y
      - .offset:         120
        .size:           8
        .value_kind:     hidden_global_offset_z
      - .offset:         128
        .size:           2
        .value_kind:     hidden_grid_dims
      - .offset:         184
        .size:           4
        .value_kind:     hidden_dynamic_lds_size
    .group_segment_fixed_size: 0
    .kernarg_segment_align: 8
    .kernarg_segment_size: 320
    .language:       OpenCL C
    .language_version:
      - 2
      - 0
    .max_flat_workgroup_size: 512
    .name:           _ZN2at6native12_GLOBAL__N_135GammaBetaBackwardCUDAKernelTemplateIN3c104HalfEfLj64ELj8ELj64ELb0ELb0ELb0EEEvllPKT_S7_PKT0_SA_PS5_SB_
    .private_segment_fixed_size: 0
    .sgpr_count:     64
    .sgpr_spill_count: 0
    .symbol:         _ZN2at6native12_GLOBAL__N_135GammaBetaBackwardCUDAKernelTemplateIN3c104HalfEfLj64ELj8ELj64ELb0ELb0ELb0EEEvllPKT_S7_PKT0_SA_PS5_SB_.kd
    .uniform_work_group_size: 1
    .uses_dynamic_stack: false
    .vgpr_count:     105
    .vgpr_spill_count: 0
    .wavefront_size: 64
  - .agpr_count:     0
    .args:
      - .offset:         0
        .size:           8
        .value_kind:     by_value
      - .offset:         8
        .size:           8
        .value_kind:     by_value
      - .actual_access:  read_only
        .address_space:  global
        .offset:         16
        .size:           8
        .value_kind:     global_buffer
      - .actual_access:  read_only
        .address_space:  global
        .offset:         24
        .size:           8
        .value_kind:     global_buffer
      - .actual_access:  read_only
        .address_space:  global
        .offset:         32
        .size:           8
        .value_kind:     global_buffer
      - .actual_access:  read_only
        .address_space:  global
        .offset:         40
        .size:           8
        .value_kind:     global_buffer
      - .actual_access:  write_only
        .address_space:  global
        .offset:         48
        .size:           8
        .value_kind:     global_buffer
      - .actual_access:  write_only
        .address_space:  global
        .offset:         56
        .size:           8
        .value_kind:     global_buffer
      - .offset:         64
        .size:           4
        .value_kind:     hidden_block_count_x
      - .offset:         68
        .size:           4
        .value_kind:     hidden_block_count_y
      - .offset:         72
        .size:           4
        .value_kind:     hidden_block_count_z
      - .offset:         76
        .size:           2
        .value_kind:     hidden_group_size_x
      - .offset:         78
        .size:           2
        .value_kind:     hidden_group_size_y
      - .offset:         80
        .size:           2
        .value_kind:     hidden_group_size_z
      - .offset:         82
        .size:           2
        .value_kind:     hidden_remainder_x
      - .offset:         84
        .size:           2
        .value_kind:     hidden_remainder_y
      - .offset:         86
        .size:           2
        .value_kind:     hidden_remainder_z
      - .offset:         104
        .size:           8
        .value_kind:     hidden_global_offset_x
      - .offset:         112
        .size:           8
        .value_kind:     hidden_global_offset_y
      - .offset:         120
        .size:           8
        .value_kind:     hidden_global_offset_z
      - .offset:         128
        .size:           2
        .value_kind:     hidden_grid_dims
      - .offset:         184
        .size:           4
        .value_kind:     hidden_dynamic_lds_size
    .group_segment_fixed_size: 0
    .kernarg_segment_align: 8
    .kernarg_segment_size: 320
    .language:       OpenCL C
    .language_version:
      - 2
      - 0
    .max_flat_workgroup_size: 1024
    .name:           _ZN2at6native12_GLOBAL__N_135GammaBetaBackwardCUDAKernelTemplateIN3c104HalfEfLj64ELj16ELj128ELb0ELb1ELb0EEEvllPKT_S7_PKT0_SA_PS5_SB_
    .private_segment_fixed_size: 0
    .sgpr_count:     36
    .sgpr_spill_count: 0
    .symbol:         _ZN2at6native12_GLOBAL__N_135GammaBetaBackwardCUDAKernelTemplateIN3c104HalfEfLj64ELj16ELj128ELb0ELb1ELb0EEEvllPKT_S7_PKT0_SA_PS5_SB_.kd
    .uniform_work_group_size: 1
    .uses_dynamic_stack: false
    .vgpr_count:     56
    .vgpr_spill_count: 0
    .wavefront_size: 64
  - .agpr_count:     0
    .args:
      - .offset:         0
        .size:           8
        .value_kind:     by_value
      - .offset:         8
        .size:           8
        .value_kind:     by_value
      - .actual_access:  read_only
        .address_space:  global
        .offset:         16
        .size:           8
        .value_kind:     global_buffer
      - .actual_access:  read_only
        .address_space:  global
        .offset:         24
        .size:           8
        .value_kind:     global_buffer
      - .actual_access:  read_only
        .address_space:  global
        .offset:         32
        .size:           8
        .value_kind:     global_buffer
      - .actual_access:  read_only
        .address_space:  global
        .offset:         40
        .size:           8
        .value_kind:     global_buffer
      - .actual_access:  write_only
        .address_space:  global
        .offset:         48
        .size:           8
        .value_kind:     global_buffer
      - .actual_access:  write_only
        .address_space:  global
        .offset:         56
        .size:           8
        .value_kind:     global_buffer
      - .offset:         64
        .size:           4
        .value_kind:     hidden_block_count_x
      - .offset:         68
        .size:           4
        .value_kind:     hidden_block_count_y
      - .offset:         72
        .size:           4
        .value_kind:     hidden_block_count_z
      - .offset:         76
        .size:           2
        .value_kind:     hidden_group_size_x
      - .offset:         78
        .size:           2
        .value_kind:     hidden_group_size_y
      - .offset:         80
        .size:           2
        .value_kind:     hidden_group_size_z
      - .offset:         82
        .size:           2
        .value_kind:     hidden_remainder_x
      - .offset:         84
        .size:           2
        .value_kind:     hidden_remainder_y
      - .offset:         86
        .size:           2
        .value_kind:     hidden_remainder_z
      - .offset:         104
        .size:           8
        .value_kind:     hidden_global_offset_x
      - .offset:         112
        .size:           8
        .value_kind:     hidden_global_offset_y
      - .offset:         120
        .size:           8
        .value_kind:     hidden_global_offset_z
      - .offset:         128
        .size:           2
        .value_kind:     hidden_grid_dims
      - .offset:         184
        .size:           4
        .value_kind:     hidden_dynamic_lds_size
    .group_segment_fixed_size: 0
    .kernarg_segment_align: 8
    .kernarg_segment_size: 320
    .language:       OpenCL C
    .language_version:
      - 2
      - 0
    .max_flat_workgroup_size: 1024
    .name:           _ZN2at6native12_GLOBAL__N_135GammaBetaBackwardCUDAKernelTemplateIN3c104HalfEfLj64ELj16ELj128ELb0ELb0ELb0EEEvllPKT_S7_PKT0_SA_PS5_SB_
    .private_segment_fixed_size: 0
    .sgpr_count:     64
    .sgpr_spill_count: 0
    .symbol:         _ZN2at6native12_GLOBAL__N_135GammaBetaBackwardCUDAKernelTemplateIN3c104HalfEfLj64ELj16ELj128ELb0ELb0ELb0EEEvllPKT_S7_PKT0_SA_PS5_SB_.kd
    .uniform_work_group_size: 1
    .uses_dynamic_stack: false
    .vgpr_count:     105
    .vgpr_spill_count: 0
    .wavefront_size: 64
  - .agpr_count:     0
    .args:
      - .offset:         0
        .size:           8
        .value_kind:     by_value
      - .offset:         8
        .size:           8
        .value_kind:     by_value
      - .actual_access:  read_only
        .address_space:  global
        .offset:         16
        .size:           8
        .value_kind:     global_buffer
      - .actual_access:  read_only
        .address_space:  global
        .offset:         24
        .size:           8
        .value_kind:     global_buffer
      - .actual_access:  read_only
        .address_space:  global
        .offset:         32
        .size:           8
        .value_kind:     global_buffer
      - .actual_access:  read_only
        .address_space:  global
        .offset:         40
        .size:           8
        .value_kind:     global_buffer
      - .actual_access:  write_only
        .address_space:  global
        .offset:         48
        .size:           8
        .value_kind:     global_buffer
      - .actual_access:  write_only
        .address_space:  global
        .offset:         56
        .size:           8
        .value_kind:     global_buffer
      - .offset:         64
        .size:           4
        .value_kind:     hidden_block_count_x
      - .offset:         68
        .size:           4
        .value_kind:     hidden_block_count_y
      - .offset:         72
        .size:           4
        .value_kind:     hidden_block_count_z
      - .offset:         76
        .size:           2
        .value_kind:     hidden_group_size_x
      - .offset:         78
        .size:           2
        .value_kind:     hidden_group_size_y
      - .offset:         80
        .size:           2
        .value_kind:     hidden_group_size_z
      - .offset:         82
        .size:           2
        .value_kind:     hidden_remainder_x
      - .offset:         84
        .size:           2
        .value_kind:     hidden_remainder_y
      - .offset:         86
        .size:           2
        .value_kind:     hidden_remainder_z
      - .offset:         104
        .size:           8
        .value_kind:     hidden_global_offset_x
      - .offset:         112
        .size:           8
        .value_kind:     hidden_global_offset_y
      - .offset:         120
        .size:           8
        .value_kind:     hidden_global_offset_z
      - .offset:         128
        .size:           2
        .value_kind:     hidden_grid_dims
      - .offset:         184
        .size:           4
        .value_kind:     hidden_dynamic_lds_size
    .group_segment_fixed_size: 0
    .kernarg_segment_align: 8
    .kernarg_segment_size: 320
    .language:       OpenCL C
    .language_version:
      - 2
      - 0
    .max_flat_workgroup_size: 1024
    .name:           _ZN2at6native12_GLOBAL__N_135GammaBetaBackwardCUDAKernelTemplateIN3c104HalfEfLj64ELj16ELj256ELb0ELb1ELb0EEEvllPKT_S7_PKT0_SA_PS5_SB_
    .private_segment_fixed_size: 0
    .sgpr_count:     36
    .sgpr_spill_count: 0
    .symbol:         _ZN2at6native12_GLOBAL__N_135GammaBetaBackwardCUDAKernelTemplateIN3c104HalfEfLj64ELj16ELj256ELb0ELb1ELb0EEEvllPKT_S7_PKT0_SA_PS5_SB_.kd
    .uniform_work_group_size: 1
    .uses_dynamic_stack: false
    .vgpr_count:     62
    .vgpr_spill_count: 0
    .wavefront_size: 64
  - .agpr_count:     0
    .args:
      - .offset:         0
        .size:           8
        .value_kind:     by_value
      - .offset:         8
        .size:           8
        .value_kind:     by_value
      - .actual_access:  read_only
        .address_space:  global
        .offset:         16
        .size:           8
        .value_kind:     global_buffer
      - .actual_access:  read_only
        .address_space:  global
        .offset:         24
        .size:           8
        .value_kind:     global_buffer
      - .actual_access:  read_only
        .address_space:  global
        .offset:         32
        .size:           8
        .value_kind:     global_buffer
      - .actual_access:  read_only
        .address_space:  global
        .offset:         40
        .size:           8
        .value_kind:     global_buffer
      - .actual_access:  write_only
        .address_space:  global
        .offset:         48
        .size:           8
        .value_kind:     global_buffer
      - .actual_access:  write_only
        .address_space:  global
        .offset:         56
        .size:           8
        .value_kind:     global_buffer
      - .offset:         64
        .size:           4
        .value_kind:     hidden_block_count_x
      - .offset:         68
        .size:           4
        .value_kind:     hidden_block_count_y
      - .offset:         72
        .size:           4
        .value_kind:     hidden_block_count_z
      - .offset:         76
        .size:           2
        .value_kind:     hidden_group_size_x
      - .offset:         78
        .size:           2
        .value_kind:     hidden_group_size_y
      - .offset:         80
        .size:           2
        .value_kind:     hidden_group_size_z
      - .offset:         82
        .size:           2
        .value_kind:     hidden_remainder_x
      - .offset:         84
        .size:           2
        .value_kind:     hidden_remainder_y
      - .offset:         86
        .size:           2
        .value_kind:     hidden_remainder_z
      - .offset:         104
        .size:           8
        .value_kind:     hidden_global_offset_x
      - .offset:         112
        .size:           8
        .value_kind:     hidden_global_offset_y
      - .offset:         120
        .size:           8
        .value_kind:     hidden_global_offset_z
      - .offset:         128
        .size:           2
        .value_kind:     hidden_grid_dims
      - .offset:         184
        .size:           4
        .value_kind:     hidden_dynamic_lds_size
    .group_segment_fixed_size: 0
    .kernarg_segment_align: 8
    .kernarg_segment_size: 320
    .language:       OpenCL C
    .language_version:
      - 2
      - 0
    .max_flat_workgroup_size: 1024
    .name:           _ZN2at6native12_GLOBAL__N_135GammaBetaBackwardCUDAKernelTemplateIN3c104HalfEfLj64ELj16ELj256ELb0ELb0ELb0EEEvllPKT_S7_PKT0_SA_PS5_SB_
    .private_segment_fixed_size: 232
    .sgpr_count:     88
    .sgpr_spill_count: 0
    .symbol:         _ZN2at6native12_GLOBAL__N_135GammaBetaBackwardCUDAKernelTemplateIN3c104HalfEfLj64ELj16ELj256ELb0ELb0ELb0EEEvllPKT_S7_PKT0_SA_PS5_SB_.kd
    .uniform_work_group_size: 1
    .uses_dynamic_stack: false
    .vgpr_count:     128
    .vgpr_spill_count: 109
    .wavefront_size: 64
  - .agpr_count:     0
    .args:
      - .offset:         0
        .size:           8
        .value_kind:     by_value
      - .offset:         8
        .size:           8
        .value_kind:     by_value
      - .actual_access:  read_only
        .address_space:  global
        .offset:         16
        .size:           8
        .value_kind:     global_buffer
      - .actual_access:  read_only
        .address_space:  global
        .offset:         24
        .size:           8
        .value_kind:     global_buffer
      - .actual_access:  read_only
        .address_space:  global
        .offset:         32
        .size:           8
        .value_kind:     global_buffer
      - .actual_access:  read_only
        .address_space:  global
        .offset:         40
        .size:           8
        .value_kind:     global_buffer
      - .actual_access:  write_only
        .address_space:  global
        .offset:         48
        .size:           8
        .value_kind:     global_buffer
      - .actual_access:  write_only
        .address_space:  global
        .offset:         56
        .size:           8
        .value_kind:     global_buffer
      - .offset:         64
        .size:           4
        .value_kind:     hidden_block_count_x
      - .offset:         68
        .size:           4
        .value_kind:     hidden_block_count_y
      - .offset:         72
        .size:           4
        .value_kind:     hidden_block_count_z
      - .offset:         76
        .size:           2
        .value_kind:     hidden_group_size_x
      - .offset:         78
        .size:           2
        .value_kind:     hidden_group_size_y
      - .offset:         80
        .size:           2
        .value_kind:     hidden_group_size_z
      - .offset:         82
        .size:           2
        .value_kind:     hidden_remainder_x
      - .offset:         84
        .size:           2
        .value_kind:     hidden_remainder_y
      - .offset:         86
        .size:           2
        .value_kind:     hidden_remainder_z
      - .offset:         104
        .size:           8
        .value_kind:     hidden_global_offset_x
      - .offset:         112
        .size:           8
        .value_kind:     hidden_global_offset_y
      - .offset:         120
        .size:           8
        .value_kind:     hidden_global_offset_z
      - .offset:         128
        .size:           2
        .value_kind:     hidden_grid_dims
    .group_segment_fixed_size: 0
    .kernarg_segment_align: 8
    .kernarg_segment_size: 320
    .language:       OpenCL C
    .language_version:
      - 2
      - 0
    .max_flat_workgroup_size: 32
    .name:           _ZN2at6native12_GLOBAL__N_135GammaBetaBackwardCUDAKernelTemplateIN3c104HalfEfLj32ELj1ELj32ELb1ELb1ELb0EEEvllPKT_S7_PKT0_SA_PS5_SB_
    .private_segment_fixed_size: 0
    .sgpr_count:     46
    .sgpr_spill_count: 0
    .symbol:         _ZN2at6native12_GLOBAL__N_135GammaBetaBackwardCUDAKernelTemplateIN3c104HalfEfLj32ELj1ELj32ELb1ELb1ELb0EEEvllPKT_S7_PKT0_SA_PS5_SB_.kd
    .uniform_work_group_size: 1
    .uses_dynamic_stack: false
    .vgpr_count:     71
    .vgpr_spill_count: 0
    .wavefront_size: 64
  - .agpr_count:     83
    .args:
      - .offset:         0
        .size:           8
        .value_kind:     by_value
      - .offset:         8
        .size:           8
        .value_kind:     by_value
      - .actual_access:  read_only
        .address_space:  global
        .offset:         16
        .size:           8
        .value_kind:     global_buffer
      - .actual_access:  read_only
        .address_space:  global
        .offset:         24
        .size:           8
        .value_kind:     global_buffer
      - .actual_access:  read_only
        .address_space:  global
        .offset:         32
        .size:           8
        .value_kind:     global_buffer
      - .actual_access:  read_only
        .address_space:  global
        .offset:         40
        .size:           8
        .value_kind:     global_buffer
      - .actual_access:  write_only
        .address_space:  global
        .offset:         48
        .size:           8
        .value_kind:     global_buffer
      - .actual_access:  write_only
        .address_space:  global
        .offset:         56
        .size:           8
        .value_kind:     global_buffer
      - .offset:         64
        .size:           4
        .value_kind:     hidden_block_count_x
      - .offset:         68
        .size:           4
        .value_kind:     hidden_block_count_y
      - .offset:         72
        .size:           4
        .value_kind:     hidden_block_count_z
      - .offset:         76
        .size:           2
        .value_kind:     hidden_group_size_x
      - .offset:         78
        .size:           2
        .value_kind:     hidden_group_size_y
      - .offset:         80
        .size:           2
        .value_kind:     hidden_group_size_z
      - .offset:         82
        .size:           2
        .value_kind:     hidden_remainder_x
      - .offset:         84
        .size:           2
        .value_kind:     hidden_remainder_y
      - .offset:         86
        .size:           2
        .value_kind:     hidden_remainder_z
      - .offset:         104
        .size:           8
        .value_kind:     hidden_global_offset_x
      - .offset:         112
        .size:           8
        .value_kind:     hidden_global_offset_y
      - .offset:         120
        .size:           8
        .value_kind:     hidden_global_offset_z
      - .offset:         128
        .size:           2
        .value_kind:     hidden_grid_dims
    .group_segment_fixed_size: 0
    .kernarg_segment_align: 8
    .kernarg_segment_size: 320
    .language:       OpenCL C
    .language_version:
      - 2
      - 0
    .max_flat_workgroup_size: 32
    .name:           _ZN2at6native12_GLOBAL__N_135GammaBetaBackwardCUDAKernelTemplateIN3c104HalfEfLj32ELj1ELj32ELb1ELb0ELb0EEEvllPKT_S7_PKT0_SA_PS5_SB_
    .private_segment_fixed_size: 0
    .sgpr_count:     46
    .sgpr_spill_count: 0
    .symbol:         _ZN2at6native12_GLOBAL__N_135GammaBetaBackwardCUDAKernelTemplateIN3c104HalfEfLj32ELj1ELj32ELb1ELb0ELb0EEEvllPKT_S7_PKT0_SA_PS5_SB_.kd
    .uniform_work_group_size: 1
    .uses_dynamic_stack: false
    .vgpr_count:     339
    .vgpr_spill_count: 0
    .wavefront_size: 64
  - .agpr_count:     0
    .args:
      - .offset:         0
        .size:           8
        .value_kind:     by_value
      - .offset:         8
        .size:           8
        .value_kind:     by_value
      - .actual_access:  read_only
        .address_space:  global
        .offset:         16
        .size:           8
        .value_kind:     global_buffer
      - .actual_access:  read_only
        .address_space:  global
        .offset:         24
        .size:           8
        .value_kind:     global_buffer
      - .actual_access:  read_only
        .address_space:  global
        .offset:         32
        .size:           8
        .value_kind:     global_buffer
      - .actual_access:  read_only
        .address_space:  global
        .offset:         40
        .size:           8
        .value_kind:     global_buffer
      - .actual_access:  write_only
        .address_space:  global
        .offset:         48
        .size:           8
        .value_kind:     global_buffer
      - .actual_access:  write_only
        .address_space:  global
        .offset:         56
        .size:           8
        .value_kind:     global_buffer
      - .offset:         64
        .size:           4
        .value_kind:     hidden_block_count_x
      - .offset:         68
        .size:           4
        .value_kind:     hidden_block_count_y
      - .offset:         72
        .size:           4
        .value_kind:     hidden_block_count_z
      - .offset:         76
        .size:           2
        .value_kind:     hidden_group_size_x
      - .offset:         78
        .size:           2
        .value_kind:     hidden_group_size_y
      - .offset:         80
        .size:           2
        .value_kind:     hidden_group_size_z
      - .offset:         82
        .size:           2
        .value_kind:     hidden_remainder_x
      - .offset:         84
        .size:           2
        .value_kind:     hidden_remainder_y
      - .offset:         86
        .size:           2
        .value_kind:     hidden_remainder_z
      - .offset:         104
        .size:           8
        .value_kind:     hidden_global_offset_x
      - .offset:         112
        .size:           8
        .value_kind:     hidden_global_offset_y
      - .offset:         120
        .size:           8
        .value_kind:     hidden_global_offset_z
      - .offset:         128
        .size:           2
        .value_kind:     hidden_grid_dims
    .group_segment_fixed_size: 0
    .kernarg_segment_align: 8
    .kernarg_segment_size: 320
    .language:       OpenCL C
    .language_version:
      - 2
      - 0
    .max_flat_workgroup_size: 32
    .name:           _ZN2at6native12_GLOBAL__N_135GammaBetaBackwardCUDAKernelTemplateIN3c104HalfEfLj32ELj1ELj8ELb1ELb1ELb0EEEvllPKT_S7_PKT0_SA_PS5_SB_
    .private_segment_fixed_size: 0
    .sgpr_count:     46
    .sgpr_spill_count: 0
    .symbol:         _ZN2at6native12_GLOBAL__N_135GammaBetaBackwardCUDAKernelTemplateIN3c104HalfEfLj32ELj1ELj8ELb1ELb1ELb0EEEvllPKT_S7_PKT0_SA_PS5_SB_.kd
    .uniform_work_group_size: 1
    .uses_dynamic_stack: false
    .vgpr_count:     56
    .vgpr_spill_count: 0
    .wavefront_size: 64
  - .agpr_count:     0
    .args:
      - .offset:         0
        .size:           8
        .value_kind:     by_value
      - .offset:         8
        .size:           8
        .value_kind:     by_value
      - .actual_access:  read_only
        .address_space:  global
        .offset:         16
        .size:           8
        .value_kind:     global_buffer
      - .actual_access:  read_only
        .address_space:  global
        .offset:         24
        .size:           8
        .value_kind:     global_buffer
      - .actual_access:  read_only
        .address_space:  global
        .offset:         32
        .size:           8
        .value_kind:     global_buffer
      - .actual_access:  read_only
        .address_space:  global
        .offset:         40
        .size:           8
        .value_kind:     global_buffer
      - .actual_access:  write_only
        .address_space:  global
        .offset:         48
        .size:           8
        .value_kind:     global_buffer
      - .actual_access:  write_only
        .address_space:  global
        .offset:         56
        .size:           8
        .value_kind:     global_buffer
      - .offset:         64
        .size:           4
        .value_kind:     hidden_block_count_x
      - .offset:         68
        .size:           4
        .value_kind:     hidden_block_count_y
      - .offset:         72
        .size:           4
        .value_kind:     hidden_block_count_z
      - .offset:         76
        .size:           2
        .value_kind:     hidden_group_size_x
      - .offset:         78
        .size:           2
        .value_kind:     hidden_group_size_y
      - .offset:         80
        .size:           2
        .value_kind:     hidden_group_size_z
      - .offset:         82
        .size:           2
        .value_kind:     hidden_remainder_x
      - .offset:         84
        .size:           2
        .value_kind:     hidden_remainder_y
      - .offset:         86
        .size:           2
        .value_kind:     hidden_remainder_z
      - .offset:         104
        .size:           8
        .value_kind:     hidden_global_offset_x
      - .offset:         112
        .size:           8
        .value_kind:     hidden_global_offset_y
      - .offset:         120
        .size:           8
        .value_kind:     hidden_global_offset_z
      - .offset:         128
        .size:           2
        .value_kind:     hidden_grid_dims
    .group_segment_fixed_size: 0
    .kernarg_segment_align: 8
    .kernarg_segment_size: 320
    .language:       OpenCL C
    .language_version:
      - 2
      - 0
    .max_flat_workgroup_size: 32
    .name:           _ZN2at6native12_GLOBAL__N_135GammaBetaBackwardCUDAKernelTemplateIN3c104HalfEfLj32ELj1ELj8ELb1ELb0ELb0EEEvllPKT_S7_PKT0_SA_PS5_SB_
    .private_segment_fixed_size: 0
    .sgpr_count:     52
    .sgpr_spill_count: 0
    .symbol:         _ZN2at6native12_GLOBAL__N_135GammaBetaBackwardCUDAKernelTemplateIN3c104HalfEfLj32ELj1ELj8ELb1ELb0ELb0EEEvllPKT_S7_PKT0_SA_PS5_SB_.kd
    .uniform_work_group_size: 1
    .uses_dynamic_stack: false
    .vgpr_count:     105
    .vgpr_spill_count: 0
    .wavefront_size: 64
  - .agpr_count:     0
    .args:
      - .offset:         0
        .size:           8
        .value_kind:     by_value
      - .offset:         8
        .size:           8
        .value_kind:     by_value
      - .actual_access:  read_only
        .address_space:  global
        .offset:         16
        .size:           8
        .value_kind:     global_buffer
      - .actual_access:  read_only
        .address_space:  global
        .offset:         24
        .size:           8
        .value_kind:     global_buffer
      - .actual_access:  read_only
        .address_space:  global
        .offset:         32
        .size:           8
        .value_kind:     global_buffer
      - .actual_access:  read_only
        .address_space:  global
        .offset:         40
        .size:           8
        .value_kind:     global_buffer
      - .actual_access:  write_only
        .address_space:  global
        .offset:         48
        .size:           8
        .value_kind:     global_buffer
      - .actual_access:  write_only
        .address_space:  global
        .offset:         56
        .size:           8
        .value_kind:     global_buffer
      - .offset:         64
        .size:           4
        .value_kind:     hidden_block_count_x
      - .offset:         68
        .size:           4
        .value_kind:     hidden_block_count_y
      - .offset:         72
        .size:           4
        .value_kind:     hidden_block_count_z
      - .offset:         76
        .size:           2
        .value_kind:     hidden_group_size_x
      - .offset:         78
        .size:           2
        .value_kind:     hidden_group_size_y
      - .offset:         80
        .size:           2
        .value_kind:     hidden_group_size_z
      - .offset:         82
        .size:           2
        .value_kind:     hidden_remainder_x
      - .offset:         84
        .size:           2
        .value_kind:     hidden_remainder_y
      - .offset:         86
        .size:           2
        .value_kind:     hidden_remainder_z
      - .offset:         104
        .size:           8
        .value_kind:     hidden_global_offset_x
      - .offset:         112
        .size:           8
        .value_kind:     hidden_global_offset_y
      - .offset:         120
        .size:           8
        .value_kind:     hidden_global_offset_z
      - .offset:         128
        .size:           2
        .value_kind:     hidden_grid_dims
      - .offset:         184
        .size:           4
        .value_kind:     hidden_dynamic_lds_size
    .group_segment_fixed_size: 0
    .kernarg_segment_align: 8
    .kernarg_segment_size: 320
    .language:       OpenCL C
    .language_version:
      - 2
      - 0
    .max_flat_workgroup_size: 256
    .name:           _ZN2at6native12_GLOBAL__N_135GammaBetaBackwardCUDAKernelTemplateIN3c104HalfEfLj32ELj8ELj64ELb0ELb1ELb0EEEvllPKT_S7_PKT0_SA_PS5_SB_
    .private_segment_fixed_size: 0
    .sgpr_count:     36
    .sgpr_spill_count: 0
    .symbol:         _ZN2at6native12_GLOBAL__N_135GammaBetaBackwardCUDAKernelTemplateIN3c104HalfEfLj32ELj8ELj64ELb0ELb1ELb0EEEvllPKT_S7_PKT0_SA_PS5_SB_.kd
    .uniform_work_group_size: 1
    .uses_dynamic_stack: false
    .vgpr_count:     56
    .vgpr_spill_count: 0
    .wavefront_size: 64
  - .agpr_count:     0
    .args:
      - .offset:         0
        .size:           8
        .value_kind:     by_value
      - .offset:         8
        .size:           8
        .value_kind:     by_value
      - .actual_access:  read_only
        .address_space:  global
        .offset:         16
        .size:           8
        .value_kind:     global_buffer
      - .actual_access:  read_only
        .address_space:  global
        .offset:         24
        .size:           8
        .value_kind:     global_buffer
      - .actual_access:  read_only
        .address_space:  global
        .offset:         32
        .size:           8
        .value_kind:     global_buffer
      - .actual_access:  read_only
        .address_space:  global
        .offset:         40
        .size:           8
        .value_kind:     global_buffer
      - .actual_access:  write_only
        .address_space:  global
        .offset:         48
        .size:           8
        .value_kind:     global_buffer
      - .actual_access:  write_only
        .address_space:  global
        .offset:         56
        .size:           8
        .value_kind:     global_buffer
      - .offset:         64
        .size:           4
        .value_kind:     hidden_block_count_x
      - .offset:         68
        .size:           4
        .value_kind:     hidden_block_count_y
      - .offset:         72
        .size:           4
        .value_kind:     hidden_block_count_z
      - .offset:         76
        .size:           2
        .value_kind:     hidden_group_size_x
      - .offset:         78
        .size:           2
        .value_kind:     hidden_group_size_y
      - .offset:         80
        .size:           2
        .value_kind:     hidden_group_size_z
      - .offset:         82
        .size:           2
        .value_kind:     hidden_remainder_x
      - .offset:         84
        .size:           2
        .value_kind:     hidden_remainder_y
      - .offset:         86
        .size:           2
        .value_kind:     hidden_remainder_z
      - .offset:         104
        .size:           8
        .value_kind:     hidden_global_offset_x
      - .offset:         112
        .size:           8
        .value_kind:     hidden_global_offset_y
      - .offset:         120
        .size:           8
        .value_kind:     hidden_global_offset_z
      - .offset:         128
        .size:           2
        .value_kind:     hidden_grid_dims
      - .offset:         184
        .size:           4
        .value_kind:     hidden_dynamic_lds_size
    .group_segment_fixed_size: 0
    .kernarg_segment_align: 8
    .kernarg_segment_size: 320
    .language:       OpenCL C
    .language_version:
      - 2
      - 0
    .max_flat_workgroup_size: 256
    .name:           _ZN2at6native12_GLOBAL__N_135GammaBetaBackwardCUDAKernelTemplateIN3c104HalfEfLj32ELj8ELj64ELb0ELb0ELb0EEEvllPKT_S7_PKT0_SA_PS5_SB_
    .private_segment_fixed_size: 0
    .sgpr_count:     64
    .sgpr_spill_count: 0
    .symbol:         _ZN2at6native12_GLOBAL__N_135GammaBetaBackwardCUDAKernelTemplateIN3c104HalfEfLj32ELj8ELj64ELb0ELb0ELb0EEEvllPKT_S7_PKT0_SA_PS5_SB_.kd
    .uniform_work_group_size: 1
    .uses_dynamic_stack: false
    .vgpr_count:     105
    .vgpr_spill_count: 0
    .wavefront_size: 64
  - .agpr_count:     0
    .args:
      - .offset:         0
        .size:           8
        .value_kind:     by_value
      - .offset:         8
        .size:           8
        .value_kind:     by_value
      - .actual_access:  read_only
        .address_space:  global
        .offset:         16
        .size:           8
        .value_kind:     global_buffer
      - .actual_access:  read_only
        .address_space:  global
        .offset:         24
        .size:           8
        .value_kind:     global_buffer
      - .actual_access:  read_only
        .address_space:  global
        .offset:         32
        .size:           8
        .value_kind:     global_buffer
      - .actual_access:  read_only
        .address_space:  global
        .offset:         40
        .size:           8
        .value_kind:     global_buffer
      - .actual_access:  write_only
        .address_space:  global
        .offset:         48
        .size:           8
        .value_kind:     global_buffer
      - .actual_access:  write_only
        .address_space:  global
        .offset:         56
        .size:           8
        .value_kind:     global_buffer
      - .offset:         64
        .size:           4
        .value_kind:     hidden_block_count_x
      - .offset:         68
        .size:           4
        .value_kind:     hidden_block_count_y
      - .offset:         72
        .size:           4
        .value_kind:     hidden_block_count_z
      - .offset:         76
        .size:           2
        .value_kind:     hidden_group_size_x
      - .offset:         78
        .size:           2
        .value_kind:     hidden_group_size_y
      - .offset:         80
        .size:           2
        .value_kind:     hidden_group_size_z
      - .offset:         82
        .size:           2
        .value_kind:     hidden_remainder_x
      - .offset:         84
        .size:           2
        .value_kind:     hidden_remainder_y
      - .offset:         86
        .size:           2
        .value_kind:     hidden_remainder_z
      - .offset:         104
        .size:           8
        .value_kind:     hidden_global_offset_x
      - .offset:         112
        .size:           8
        .value_kind:     hidden_global_offset_y
      - .offset:         120
        .size:           8
        .value_kind:     hidden_global_offset_z
      - .offset:         128
        .size:           2
        .value_kind:     hidden_grid_dims
      - .offset:         184
        .size:           4
        .value_kind:     hidden_dynamic_lds_size
    .group_segment_fixed_size: 0
    .kernarg_segment_align: 8
    .kernarg_segment_size: 320
    .language:       OpenCL C
    .language_version:
      - 2
      - 0
    .max_flat_workgroup_size: 512
    .name:           _ZN2at6native12_GLOBAL__N_135GammaBetaBackwardCUDAKernelTemplateIN3c104HalfEfLj32ELj16ELj128ELb0ELb1ELb0EEEvllPKT_S7_PKT0_SA_PS5_SB_
    .private_segment_fixed_size: 0
    .sgpr_count:     36
    .sgpr_spill_count: 0
    .symbol:         _ZN2at6native12_GLOBAL__N_135GammaBetaBackwardCUDAKernelTemplateIN3c104HalfEfLj32ELj16ELj128ELb0ELb1ELb0EEEvllPKT_S7_PKT0_SA_PS5_SB_.kd
    .uniform_work_group_size: 1
    .uses_dynamic_stack: false
    .vgpr_count:     56
    .vgpr_spill_count: 0
    .wavefront_size: 64
  - .agpr_count:     0
    .args:
      - .offset:         0
        .size:           8
        .value_kind:     by_value
      - .offset:         8
        .size:           8
        .value_kind:     by_value
      - .actual_access:  read_only
        .address_space:  global
        .offset:         16
        .size:           8
        .value_kind:     global_buffer
      - .actual_access:  read_only
        .address_space:  global
        .offset:         24
        .size:           8
        .value_kind:     global_buffer
      - .actual_access:  read_only
        .address_space:  global
        .offset:         32
        .size:           8
        .value_kind:     global_buffer
      - .actual_access:  read_only
        .address_space:  global
        .offset:         40
        .size:           8
        .value_kind:     global_buffer
      - .actual_access:  write_only
        .address_space:  global
        .offset:         48
        .size:           8
        .value_kind:     global_buffer
      - .actual_access:  write_only
        .address_space:  global
        .offset:         56
        .size:           8
        .value_kind:     global_buffer
      - .offset:         64
        .size:           4
        .value_kind:     hidden_block_count_x
      - .offset:         68
        .size:           4
        .value_kind:     hidden_block_count_y
      - .offset:         72
        .size:           4
        .value_kind:     hidden_block_count_z
      - .offset:         76
        .size:           2
        .value_kind:     hidden_group_size_x
      - .offset:         78
        .size:           2
        .value_kind:     hidden_group_size_y
      - .offset:         80
        .size:           2
        .value_kind:     hidden_group_size_z
      - .offset:         82
        .size:           2
        .value_kind:     hidden_remainder_x
      - .offset:         84
        .size:           2
        .value_kind:     hidden_remainder_y
      - .offset:         86
        .size:           2
        .value_kind:     hidden_remainder_z
      - .offset:         104
        .size:           8
        .value_kind:     hidden_global_offset_x
      - .offset:         112
        .size:           8
        .value_kind:     hidden_global_offset_y
      - .offset:         120
        .size:           8
        .value_kind:     hidden_global_offset_z
      - .offset:         128
        .size:           2
        .value_kind:     hidden_grid_dims
      - .offset:         184
        .size:           4
        .value_kind:     hidden_dynamic_lds_size
    .group_segment_fixed_size: 0
    .kernarg_segment_align: 8
    .kernarg_segment_size: 320
    .language:       OpenCL C
    .language_version:
      - 2
      - 0
    .max_flat_workgroup_size: 512
    .name:           _ZN2at6native12_GLOBAL__N_135GammaBetaBackwardCUDAKernelTemplateIN3c104HalfEfLj32ELj16ELj128ELb0ELb0ELb0EEEvllPKT_S7_PKT0_SA_PS5_SB_
    .private_segment_fixed_size: 0
    .sgpr_count:     64
    .sgpr_spill_count: 0
    .symbol:         _ZN2at6native12_GLOBAL__N_135GammaBetaBackwardCUDAKernelTemplateIN3c104HalfEfLj32ELj16ELj128ELb0ELb0ELb0EEEvllPKT_S7_PKT0_SA_PS5_SB_.kd
    .uniform_work_group_size: 1
    .uses_dynamic_stack: false
    .vgpr_count:     105
    .vgpr_spill_count: 0
    .wavefront_size: 64
  - .agpr_count:     0
    .args:
      - .offset:         0
        .size:           8
        .value_kind:     by_value
      - .offset:         8
        .size:           8
        .value_kind:     by_value
      - .actual_access:  read_only
        .address_space:  global
        .offset:         16
        .size:           8
        .value_kind:     global_buffer
      - .actual_access:  read_only
        .address_space:  global
        .offset:         24
        .size:           8
        .value_kind:     global_buffer
      - .actual_access:  read_only
        .address_space:  global
        .offset:         32
        .size:           8
        .value_kind:     global_buffer
      - .actual_access:  read_only
        .address_space:  global
        .offset:         40
        .size:           8
        .value_kind:     global_buffer
      - .actual_access:  write_only
        .address_space:  global
        .offset:         48
        .size:           8
        .value_kind:     global_buffer
      - .actual_access:  write_only
        .address_space:  global
        .offset:         56
        .size:           8
        .value_kind:     global_buffer
      - .offset:         64
        .size:           4
        .value_kind:     hidden_block_count_x
      - .offset:         68
        .size:           4
        .value_kind:     hidden_block_count_y
      - .offset:         72
        .size:           4
        .value_kind:     hidden_block_count_z
      - .offset:         76
        .size:           2
        .value_kind:     hidden_group_size_x
      - .offset:         78
        .size:           2
        .value_kind:     hidden_group_size_y
      - .offset:         80
        .size:           2
        .value_kind:     hidden_group_size_z
      - .offset:         82
        .size:           2
        .value_kind:     hidden_remainder_x
      - .offset:         84
        .size:           2
        .value_kind:     hidden_remainder_y
      - .offset:         86
        .size:           2
        .value_kind:     hidden_remainder_z
      - .offset:         104
        .size:           8
        .value_kind:     hidden_global_offset_x
      - .offset:         112
        .size:           8
        .value_kind:     hidden_global_offset_y
      - .offset:         120
        .size:           8
        .value_kind:     hidden_global_offset_z
      - .offset:         128
        .size:           2
        .value_kind:     hidden_grid_dims
      - .offset:         184
        .size:           4
        .value_kind:     hidden_dynamic_lds_size
    .group_segment_fixed_size: 0
    .kernarg_segment_align: 8
    .kernarg_segment_size: 320
    .language:       OpenCL C
    .language_version:
      - 2
      - 0
    .max_flat_workgroup_size: 1024
    .name:           _ZN2at6native12_GLOBAL__N_135GammaBetaBackwardCUDAKernelTemplateIN3c104HalfEfLj32ELj32ELj256ELb0ELb1ELb0EEEvllPKT_S7_PKT0_SA_PS5_SB_
    .private_segment_fixed_size: 0
    .sgpr_count:     36
    .sgpr_spill_count: 0
    .symbol:         _ZN2at6native12_GLOBAL__N_135GammaBetaBackwardCUDAKernelTemplateIN3c104HalfEfLj32ELj32ELj256ELb0ELb1ELb0EEEvllPKT_S7_PKT0_SA_PS5_SB_.kd
    .uniform_work_group_size: 1
    .uses_dynamic_stack: false
    .vgpr_count:     56
    .vgpr_spill_count: 0
    .wavefront_size: 64
  - .agpr_count:     0
    .args:
      - .offset:         0
        .size:           8
        .value_kind:     by_value
      - .offset:         8
        .size:           8
        .value_kind:     by_value
      - .actual_access:  read_only
        .address_space:  global
        .offset:         16
        .size:           8
        .value_kind:     global_buffer
      - .actual_access:  read_only
        .address_space:  global
        .offset:         24
        .size:           8
        .value_kind:     global_buffer
      - .actual_access:  read_only
        .address_space:  global
        .offset:         32
        .size:           8
        .value_kind:     global_buffer
      - .actual_access:  read_only
        .address_space:  global
        .offset:         40
        .size:           8
        .value_kind:     global_buffer
      - .actual_access:  write_only
        .address_space:  global
        .offset:         48
        .size:           8
        .value_kind:     global_buffer
      - .actual_access:  write_only
        .address_space:  global
        .offset:         56
        .size:           8
        .value_kind:     global_buffer
      - .offset:         64
        .size:           4
        .value_kind:     hidden_block_count_x
      - .offset:         68
        .size:           4
        .value_kind:     hidden_block_count_y
      - .offset:         72
        .size:           4
        .value_kind:     hidden_block_count_z
      - .offset:         76
        .size:           2
        .value_kind:     hidden_group_size_x
      - .offset:         78
        .size:           2
        .value_kind:     hidden_group_size_y
      - .offset:         80
        .size:           2
        .value_kind:     hidden_group_size_z
      - .offset:         82
        .size:           2
        .value_kind:     hidden_remainder_x
      - .offset:         84
        .size:           2
        .value_kind:     hidden_remainder_y
      - .offset:         86
        .size:           2
        .value_kind:     hidden_remainder_z
      - .offset:         104
        .size:           8
        .value_kind:     hidden_global_offset_x
      - .offset:         112
        .size:           8
        .value_kind:     hidden_global_offset_y
      - .offset:         120
        .size:           8
        .value_kind:     hidden_global_offset_z
      - .offset:         128
        .size:           2
        .value_kind:     hidden_grid_dims
      - .offset:         184
        .size:           4
        .value_kind:     hidden_dynamic_lds_size
    .group_segment_fixed_size: 0
    .kernarg_segment_align: 8
    .kernarg_segment_size: 320
    .language:       OpenCL C
    .language_version:
      - 2
      - 0
    .max_flat_workgroup_size: 1024
    .name:           _ZN2at6native12_GLOBAL__N_135GammaBetaBackwardCUDAKernelTemplateIN3c104HalfEfLj32ELj32ELj256ELb0ELb0ELb0EEEvllPKT_S7_PKT0_SA_PS5_SB_
    .private_segment_fixed_size: 0
    .sgpr_count:     64
    .sgpr_spill_count: 0
    .symbol:         _ZN2at6native12_GLOBAL__N_135GammaBetaBackwardCUDAKernelTemplateIN3c104HalfEfLj32ELj32ELj256ELb0ELb0ELb0EEEvllPKT_S7_PKT0_SA_PS5_SB_.kd
    .uniform_work_group_size: 1
    .uses_dynamic_stack: false
    .vgpr_count:     105
    .vgpr_spill_count: 0
    .wavefront_size: 64
  - .agpr_count:     0
    .args:
      - .actual_access:  read_only
        .address_space:  global
        .offset:         0
        .size:           8
        .value_kind:     global_buffer
      - .actual_access:  read_only
        .address_space:  global
        .offset:         8
        .size:           8
        .value_kind:     global_buffer
      - .offset:         16
        .size:           8
        .value_kind:     by_value
      - .offset:         24
        .size:           8
        .value_kind:     by_value
      - .actual_access:  read_only
        .address_space:  global
        .offset:         32
        .size:           8
        .value_kind:     global_buffer
      - .actual_access:  read_only
        .address_space:  global
        .offset:         40
        .size:           8
        .value_kind:     global_buffer
      - .address_space:  global
        .offset:         48
        .size:           8
        .value_kind:     global_buffer
      - .address_space:  global
        .offset:         56
        .size:           8
        .value_kind:     global_buffer
      - .offset:         64
        .size:           4
        .value_kind:     hidden_block_count_x
      - .offset:         68
        .size:           4
        .value_kind:     hidden_block_count_y
      - .offset:         72
        .size:           4
        .value_kind:     hidden_block_count_z
      - .offset:         76
        .size:           2
        .value_kind:     hidden_group_size_x
      - .offset:         78
        .size:           2
        .value_kind:     hidden_group_size_y
      - .offset:         80
        .size:           2
        .value_kind:     hidden_group_size_z
      - .offset:         82
        .size:           2
        .value_kind:     hidden_remainder_x
      - .offset:         84
        .size:           2
        .value_kind:     hidden_remainder_y
      - .offset:         86
        .size:           2
        .value_kind:     hidden_remainder_z
      - .offset:         104
        .size:           8
        .value_kind:     hidden_global_offset_x
      - .offset:         112
        .size:           8
        .value_kind:     hidden_global_offset_y
      - .offset:         120
        .size:           8
        .value_kind:     hidden_global_offset_z
      - .offset:         128
        .size:           2
        .value_kind:     hidden_grid_dims
      - .offset:         184
        .size:           4
        .value_kind:     hidden_dynamic_lds_size
    .group_segment_fixed_size: 0
    .kernarg_segment_align: 8
    .kernarg_segment_size: 320
    .language:       OpenCL C
    .language_version:
      - 2
      - 0
    .max_flat_workgroup_size: 1024
    .name:           _ZN2at6native12_GLOBAL__N_118cuComputeGradInputIN3c108BFloat16EfLb0EEEvPKT_S7_llPKT0_SA_S7_PS5_
    .private_segment_fixed_size: 0
    .sgpr_count:     58
    .sgpr_spill_count: 0
    .symbol:         _ZN2at6native12_GLOBAL__N_118cuComputeGradInputIN3c108BFloat16EfLb0EEEvPKT_S7_llPKT0_SA_S7_PS5_.kd
    .uniform_work_group_size: 1
    .uses_dynamic_stack: false
    .vgpr_count:     31
    .vgpr_spill_count: 0
    .wavefront_size: 64
  - .agpr_count:     0
    .args:
      - .actual_access:  read_only
        .address_space:  global
        .offset:         0
        .size:           8
        .value_kind:     global_buffer
      - .actual_access:  read_only
        .address_space:  global
        .offset:         8
        .size:           8
        .value_kind:     global_buffer
      - .actual_access:  read_only
        .address_space:  global
        .offset:         16
        .size:           8
        .value_kind:     global_buffer
      - .actual_access:  read_only
        .address_space:  global
        .offset:         24
        .size:           8
        .value_kind:     global_buffer
      - .actual_access:  read_only
        .address_space:  global
        .offset:         32
        .size:           8
        .value_kind:     global_buffer
      - .address_space:  global
        .offset:         40
        .size:           8
        .value_kind:     global_buffer
      - .offset:         48
        .size:           4
        .value_kind:     by_value
      - .offset:         56
        .size:           4
        .value_kind:     hidden_block_count_x
      - .offset:         60
        .size:           4
        .value_kind:     hidden_block_count_y
      - .offset:         64
        .size:           4
        .value_kind:     hidden_block_count_z
      - .offset:         68
        .size:           2
        .value_kind:     hidden_group_size_x
      - .offset:         70
        .size:           2
        .value_kind:     hidden_group_size_y
      - .offset:         72
        .size:           2
        .value_kind:     hidden_group_size_z
      - .offset:         74
        .size:           2
        .value_kind:     hidden_remainder_x
      - .offset:         76
        .size:           2
        .value_kind:     hidden_remainder_y
      - .offset:         78
        .size:           2
        .value_kind:     hidden_remainder_z
      - .offset:         96
        .size:           8
        .value_kind:     hidden_global_offset_x
      - .offset:         104
        .size:           8
        .value_kind:     hidden_global_offset_y
      - .offset:         112
        .size:           8
        .value_kind:     hidden_global_offset_z
      - .offset:         120
        .size:           2
        .value_kind:     hidden_grid_dims
      - .offset:         176
        .size:           4
        .value_kind:     hidden_dynamic_lds_size
    .group_segment_fixed_size: 0
    .kernarg_segment_align: 8
    .kernarg_segment_size: 312
    .language:       OpenCL C
    .language_version:
      - 2
      - 0
    .max_flat_workgroup_size: 1024
    .name:           _ZN2at6native12_GLOBAL__N_128layer_norm_grad_input_kernelIN3c108BFloat16EfLb0EEEvPKT_S7_PKT0_SA_S7_PS5_i
    .private_segment_fixed_size: 0
    .sgpr_count:     41
    .sgpr_spill_count: 0
    .symbol:         _ZN2at6native12_GLOBAL__N_128layer_norm_grad_input_kernelIN3c108BFloat16EfLb0EEEvPKT_S7_PKT0_SA_S7_PS5_i.kd
    .uniform_work_group_size: 1
    .uses_dynamic_stack: false
    .vgpr_count:     22
    .vgpr_spill_count: 0
    .wavefront_size: 64
  - .agpr_count:     0
    .args:
      - .offset:         0
        .size:           8
        .value_kind:     by_value
      - .offset:         8
        .size:           8
        .value_kind:     by_value
      - .address_space:  global
        .offset:         16
        .size:           8
        .value_kind:     global_buffer
      - .address_space:  global
        .offset:         24
        .size:           8
        .value_kind:     global_buffer
      - .address_space:  global
        .offset:         32
        .size:           8
        .value_kind:     global_buffer
      - .address_space:  global
        .offset:         40
        .size:           8
        .value_kind:     global_buffer
      - .address_space:  global
        .offset:         48
        .size:           8
        .value_kind:     global_buffer
      - .address_space:  global
        .offset:         56
        .size:           8
        .value_kind:     global_buffer
      - .offset:         64
        .size:           4
        .value_kind:     hidden_block_count_x
      - .offset:         68
        .size:           4
        .value_kind:     hidden_block_count_y
      - .offset:         72
        .size:           4
        .value_kind:     hidden_block_count_z
      - .offset:         76
        .size:           2
        .value_kind:     hidden_group_size_x
      - .offset:         78
        .size:           2
        .value_kind:     hidden_group_size_y
      - .offset:         80
        .size:           2
        .value_kind:     hidden_group_size_z
      - .offset:         82
        .size:           2
        .value_kind:     hidden_remainder_x
      - .offset:         84
        .size:           2
        .value_kind:     hidden_remainder_y
      - .offset:         86
        .size:           2
        .value_kind:     hidden_remainder_z
      - .offset:         104
        .size:           8
        .value_kind:     hidden_global_offset_x
      - .offset:         112
        .size:           8
        .value_kind:     hidden_global_offset_y
      - .offset:         120
        .size:           8
        .value_kind:     hidden_global_offset_z
      - .offset:         128
        .size:           2
        .value_kind:     hidden_grid_dims
    .group_segment_fixed_size: 0
    .kernarg_segment_align: 8
    .kernarg_segment_size: 320
    .language:       OpenCL C
    .language_version:
      - 2
      - 0
    .max_flat_workgroup_size: 1024
    .name:           _ZN2at6native12_GLOBAL__N_133GammaBetaBackwardSimpleCUDAKernelIN3c108BFloat16EfLb0EEEvllPKT_S7_PKT0_SA_PS5_SB_
    .private_segment_fixed_size: 0
    .sgpr_count:     28
    .sgpr_spill_count: 0
    .symbol:         _ZN2at6native12_GLOBAL__N_133GammaBetaBackwardSimpleCUDAKernelIN3c108BFloat16EfLb0EEEvllPKT_S7_PKT0_SA_PS5_SB_.kd
    .uniform_work_group_size: 1
    .uses_dynamic_stack: false
    .vgpr_count:     11
    .vgpr_spill_count: 0
    .wavefront_size: 64
  - .agpr_count:     0
    .args:
      - .offset:         0
        .size:           8
        .value_kind:     by_value
      - .offset:         8
        .size:           8
        .value_kind:     by_value
      - .actual_access:  read_only
        .address_space:  global
        .offset:         16
        .size:           8
        .value_kind:     global_buffer
      - .actual_access:  read_only
        .address_space:  global
        .offset:         24
        .size:           8
        .value_kind:     global_buffer
      - .actual_access:  read_only
        .address_space:  global
        .offset:         32
        .size:           8
        .value_kind:     global_buffer
      - .actual_access:  read_only
        .address_space:  global
        .offset:         40
        .size:           8
        .value_kind:     global_buffer
      - .actual_access:  write_only
        .address_space:  global
        .offset:         48
        .size:           8
        .value_kind:     global_buffer
      - .actual_access:  write_only
        .address_space:  global
        .offset:         56
        .size:           8
        .value_kind:     global_buffer
      - .offset:         64
        .size:           4
        .value_kind:     hidden_block_count_x
      - .offset:         68
        .size:           4
        .value_kind:     hidden_block_count_y
      - .offset:         72
        .size:           4
        .value_kind:     hidden_block_count_z
      - .offset:         76
        .size:           2
        .value_kind:     hidden_group_size_x
      - .offset:         78
        .size:           2
        .value_kind:     hidden_group_size_y
      - .offset:         80
        .size:           2
        .value_kind:     hidden_group_size_z
      - .offset:         82
        .size:           2
        .value_kind:     hidden_remainder_x
      - .offset:         84
        .size:           2
        .value_kind:     hidden_remainder_y
      - .offset:         86
        .size:           2
        .value_kind:     hidden_remainder_z
      - .offset:         104
        .size:           8
        .value_kind:     hidden_global_offset_x
      - .offset:         112
        .size:           8
        .value_kind:     hidden_global_offset_y
      - .offset:         120
        .size:           8
        .value_kind:     hidden_global_offset_z
      - .offset:         128
        .size:           2
        .value_kind:     hidden_grid_dims
    .group_segment_fixed_size: 0
    .kernarg_segment_align: 8
    .kernarg_segment_size: 320
    .language:       OpenCL C
    .language_version:
      - 2
      - 0
    .max_flat_workgroup_size: 64
    .name:           _ZN2at6native12_GLOBAL__N_135GammaBetaBackwardCUDAKernelTemplateIN3c108BFloat16EfLj64ELj1ELj32ELb1ELb1ELb0EEEvllPKT_S7_PKT0_SA_PS5_SB_
    .private_segment_fixed_size: 0
    .sgpr_count:     46
    .sgpr_spill_count: 0
    .symbol:         _ZN2at6native12_GLOBAL__N_135GammaBetaBackwardCUDAKernelTemplateIN3c108BFloat16EfLj64ELj1ELj32ELb1ELb1ELb0EEEvllPKT_S7_PKT0_SA_PS5_SB_.kd
    .uniform_work_group_size: 1
    .uses_dynamic_stack: false
    .vgpr_count:     84
    .vgpr_spill_count: 0
    .wavefront_size: 64
  - .agpr_count:     81
    .args:
      - .offset:         0
        .size:           8
        .value_kind:     by_value
      - .offset:         8
        .size:           8
        .value_kind:     by_value
      - .actual_access:  read_only
        .address_space:  global
        .offset:         16
        .size:           8
        .value_kind:     global_buffer
      - .actual_access:  read_only
        .address_space:  global
        .offset:         24
        .size:           8
        .value_kind:     global_buffer
      - .actual_access:  read_only
        .address_space:  global
        .offset:         32
        .size:           8
        .value_kind:     global_buffer
      - .actual_access:  read_only
        .address_space:  global
        .offset:         40
        .size:           8
        .value_kind:     global_buffer
      - .actual_access:  write_only
        .address_space:  global
        .offset:         48
        .size:           8
        .value_kind:     global_buffer
      - .actual_access:  write_only
        .address_space:  global
        .offset:         56
        .size:           8
        .value_kind:     global_buffer
      - .offset:         64
        .size:           4
        .value_kind:     hidden_block_count_x
      - .offset:         68
        .size:           4
        .value_kind:     hidden_block_count_y
      - .offset:         72
        .size:           4
        .value_kind:     hidden_block_count_z
      - .offset:         76
        .size:           2
        .value_kind:     hidden_group_size_x
      - .offset:         78
        .size:           2
        .value_kind:     hidden_group_size_y
      - .offset:         80
        .size:           2
        .value_kind:     hidden_group_size_z
      - .offset:         82
        .size:           2
        .value_kind:     hidden_remainder_x
      - .offset:         84
        .size:           2
        .value_kind:     hidden_remainder_y
      - .offset:         86
        .size:           2
        .value_kind:     hidden_remainder_z
      - .offset:         104
        .size:           8
        .value_kind:     hidden_global_offset_x
      - .offset:         112
        .size:           8
        .value_kind:     hidden_global_offset_y
      - .offset:         120
        .size:           8
        .value_kind:     hidden_global_offset_z
      - .offset:         128
        .size:           2
        .value_kind:     hidden_grid_dims
    .group_segment_fixed_size: 0
    .kernarg_segment_align: 8
    .kernarg_segment_size: 320
    .language:       OpenCL C
    .language_version:
      - 2
      - 0
    .max_flat_workgroup_size: 64
    .name:           _ZN2at6native12_GLOBAL__N_135GammaBetaBackwardCUDAKernelTemplateIN3c108BFloat16EfLj64ELj1ELj32ELb1ELb0ELb0EEEvllPKT_S7_PKT0_SA_PS5_SB_
    .private_segment_fixed_size: 0
    .sgpr_count:     46
    .sgpr_spill_count: 0
    .symbol:         _ZN2at6native12_GLOBAL__N_135GammaBetaBackwardCUDAKernelTemplateIN3c108BFloat16EfLj64ELj1ELj32ELb1ELb0ELb0EEEvllPKT_S7_PKT0_SA_PS5_SB_.kd
    .uniform_work_group_size: 1
    .uses_dynamic_stack: false
    .vgpr_count:     337
    .vgpr_spill_count: 0
    .wavefront_size: 64
  - .agpr_count:     0
    .args:
      - .offset:         0
        .size:           8
        .value_kind:     by_value
      - .offset:         8
        .size:           8
        .value_kind:     by_value
      - .actual_access:  read_only
        .address_space:  global
        .offset:         16
        .size:           8
        .value_kind:     global_buffer
      - .actual_access:  read_only
        .address_space:  global
        .offset:         24
        .size:           8
        .value_kind:     global_buffer
      - .actual_access:  read_only
        .address_space:  global
        .offset:         32
        .size:           8
        .value_kind:     global_buffer
      - .actual_access:  read_only
        .address_space:  global
        .offset:         40
        .size:           8
        .value_kind:     global_buffer
      - .actual_access:  write_only
        .address_space:  global
        .offset:         48
        .size:           8
        .value_kind:     global_buffer
      - .actual_access:  write_only
        .address_space:  global
        .offset:         56
        .size:           8
        .value_kind:     global_buffer
      - .offset:         64
        .size:           4
        .value_kind:     hidden_block_count_x
      - .offset:         68
        .size:           4
        .value_kind:     hidden_block_count_y
      - .offset:         72
        .size:           4
        .value_kind:     hidden_block_count_z
      - .offset:         76
        .size:           2
        .value_kind:     hidden_group_size_x
      - .offset:         78
        .size:           2
        .value_kind:     hidden_group_size_y
      - .offset:         80
        .size:           2
        .value_kind:     hidden_group_size_z
      - .offset:         82
        .size:           2
        .value_kind:     hidden_remainder_x
      - .offset:         84
        .size:           2
        .value_kind:     hidden_remainder_y
      - .offset:         86
        .size:           2
        .value_kind:     hidden_remainder_z
      - .offset:         104
        .size:           8
        .value_kind:     hidden_global_offset_x
      - .offset:         112
        .size:           8
        .value_kind:     hidden_global_offset_y
      - .offset:         120
        .size:           8
        .value_kind:     hidden_global_offset_z
      - .offset:         128
        .size:           2
        .value_kind:     hidden_grid_dims
    .group_segment_fixed_size: 0
    .kernarg_segment_align: 8
    .kernarg_segment_size: 320
    .language:       OpenCL C
    .language_version:
      - 2
      - 0
    .max_flat_workgroup_size: 64
    .name:           _ZN2at6native12_GLOBAL__N_135GammaBetaBackwardCUDAKernelTemplateIN3c108BFloat16EfLj64ELj1ELj8ELb1ELb1ELb0EEEvllPKT_S7_PKT0_SA_PS5_SB_
    .private_segment_fixed_size: 0
    .sgpr_count:     46
    .sgpr_spill_count: 0
    .symbol:         _ZN2at6native12_GLOBAL__N_135GammaBetaBackwardCUDAKernelTemplateIN3c108BFloat16EfLj64ELj1ELj8ELb1ELb1ELb0EEEvllPKT_S7_PKT0_SA_PS5_SB_.kd
    .uniform_work_group_size: 1
    .uses_dynamic_stack: false
    .vgpr_count:     55
    .vgpr_spill_count: 0
    .wavefront_size: 64
  - .agpr_count:     0
    .args:
      - .offset:         0
        .size:           8
        .value_kind:     by_value
      - .offset:         8
        .size:           8
        .value_kind:     by_value
      - .actual_access:  read_only
        .address_space:  global
        .offset:         16
        .size:           8
        .value_kind:     global_buffer
      - .actual_access:  read_only
        .address_space:  global
        .offset:         24
        .size:           8
        .value_kind:     global_buffer
      - .actual_access:  read_only
        .address_space:  global
        .offset:         32
        .size:           8
        .value_kind:     global_buffer
      - .actual_access:  read_only
        .address_space:  global
        .offset:         40
        .size:           8
        .value_kind:     global_buffer
      - .actual_access:  write_only
        .address_space:  global
        .offset:         48
        .size:           8
        .value_kind:     global_buffer
      - .actual_access:  write_only
        .address_space:  global
        .offset:         56
        .size:           8
        .value_kind:     global_buffer
      - .offset:         64
        .size:           4
        .value_kind:     hidden_block_count_x
      - .offset:         68
        .size:           4
        .value_kind:     hidden_block_count_y
      - .offset:         72
        .size:           4
        .value_kind:     hidden_block_count_z
      - .offset:         76
        .size:           2
        .value_kind:     hidden_group_size_x
      - .offset:         78
        .size:           2
        .value_kind:     hidden_group_size_y
      - .offset:         80
        .size:           2
        .value_kind:     hidden_group_size_z
      - .offset:         82
        .size:           2
        .value_kind:     hidden_remainder_x
      - .offset:         84
        .size:           2
        .value_kind:     hidden_remainder_y
      - .offset:         86
        .size:           2
        .value_kind:     hidden_remainder_z
      - .offset:         104
        .size:           8
        .value_kind:     hidden_global_offset_x
      - .offset:         112
        .size:           8
        .value_kind:     hidden_global_offset_y
      - .offset:         120
        .size:           8
        .value_kind:     hidden_global_offset_z
      - .offset:         128
        .size:           2
        .value_kind:     hidden_grid_dims
    .group_segment_fixed_size: 0
    .kernarg_segment_align: 8
    .kernarg_segment_size: 320
    .language:       OpenCL C
    .language_version:
      - 2
      - 0
    .max_flat_workgroup_size: 64
    .name:           _ZN2at6native12_GLOBAL__N_135GammaBetaBackwardCUDAKernelTemplateIN3c108BFloat16EfLj64ELj1ELj8ELb1ELb0ELb0EEEvllPKT_S7_PKT0_SA_PS5_SB_
    .private_segment_fixed_size: 0
    .sgpr_count:     52
    .sgpr_spill_count: 0
    .symbol:         _ZN2at6native12_GLOBAL__N_135GammaBetaBackwardCUDAKernelTemplateIN3c108BFloat16EfLj64ELj1ELj8ELb1ELb0ELb0EEEvllPKT_S7_PKT0_SA_PS5_SB_.kd
    .uniform_work_group_size: 1
    .uses_dynamic_stack: false
    .vgpr_count:     106
    .vgpr_spill_count: 0
    .wavefront_size: 64
  - .agpr_count:     0
    .args:
      - .offset:         0
        .size:           8
        .value_kind:     by_value
      - .offset:         8
        .size:           8
        .value_kind:     by_value
      - .actual_access:  read_only
        .address_space:  global
        .offset:         16
        .size:           8
        .value_kind:     global_buffer
      - .actual_access:  read_only
        .address_space:  global
        .offset:         24
        .size:           8
        .value_kind:     global_buffer
      - .actual_access:  read_only
        .address_space:  global
        .offset:         32
        .size:           8
        .value_kind:     global_buffer
      - .actual_access:  read_only
        .address_space:  global
        .offset:         40
        .size:           8
        .value_kind:     global_buffer
      - .actual_access:  write_only
        .address_space:  global
        .offset:         48
        .size:           8
        .value_kind:     global_buffer
      - .actual_access:  write_only
        .address_space:  global
        .offset:         56
        .size:           8
        .value_kind:     global_buffer
      - .offset:         64
        .size:           4
        .value_kind:     hidden_block_count_x
      - .offset:         68
        .size:           4
        .value_kind:     hidden_block_count_y
      - .offset:         72
        .size:           4
        .value_kind:     hidden_block_count_z
      - .offset:         76
        .size:           2
        .value_kind:     hidden_group_size_x
      - .offset:         78
        .size:           2
        .value_kind:     hidden_group_size_y
      - .offset:         80
        .size:           2
        .value_kind:     hidden_group_size_z
      - .offset:         82
        .size:           2
        .value_kind:     hidden_remainder_x
      - .offset:         84
        .size:           2
        .value_kind:     hidden_remainder_y
      - .offset:         86
        .size:           2
        .value_kind:     hidden_remainder_z
      - .offset:         104
        .size:           8
        .value_kind:     hidden_global_offset_x
      - .offset:         112
        .size:           8
        .value_kind:     hidden_global_offset_y
      - .offset:         120
        .size:           8
        .value_kind:     hidden_global_offset_z
      - .offset:         128
        .size:           2
        .value_kind:     hidden_grid_dims
      - .offset:         184
        .size:           4
        .value_kind:     hidden_dynamic_lds_size
    .group_segment_fixed_size: 0
    .kernarg_segment_align: 8
    .kernarg_segment_size: 320
    .language:       OpenCL C
    .language_version:
      - 2
      - 0
    .max_flat_workgroup_size: 512
    .name:           _ZN2at6native12_GLOBAL__N_135GammaBetaBackwardCUDAKernelTemplateIN3c108BFloat16EfLj64ELj8ELj64ELb0ELb1ELb0EEEvllPKT_S7_PKT0_SA_PS5_SB_
    .private_segment_fixed_size: 0
    .sgpr_count:     36
    .sgpr_spill_count: 0
    .symbol:         _ZN2at6native12_GLOBAL__N_135GammaBetaBackwardCUDAKernelTemplateIN3c108BFloat16EfLj64ELj8ELj64ELb0ELb1ELb0EEEvllPKT_S7_PKT0_SA_PS5_SB_.kd
    .uniform_work_group_size: 1
    .uses_dynamic_stack: false
    .vgpr_count:     55
    .vgpr_spill_count: 0
    .wavefront_size: 64
  - .agpr_count:     0
    .args:
      - .offset:         0
        .size:           8
        .value_kind:     by_value
      - .offset:         8
        .size:           8
        .value_kind:     by_value
      - .actual_access:  read_only
        .address_space:  global
        .offset:         16
        .size:           8
        .value_kind:     global_buffer
      - .actual_access:  read_only
        .address_space:  global
        .offset:         24
        .size:           8
        .value_kind:     global_buffer
      - .actual_access:  read_only
        .address_space:  global
        .offset:         32
        .size:           8
        .value_kind:     global_buffer
      - .actual_access:  read_only
        .address_space:  global
        .offset:         40
        .size:           8
        .value_kind:     global_buffer
      - .actual_access:  write_only
        .address_space:  global
        .offset:         48
        .size:           8
        .value_kind:     global_buffer
      - .actual_access:  write_only
        .address_space:  global
        .offset:         56
        .size:           8
        .value_kind:     global_buffer
      - .offset:         64
        .size:           4
        .value_kind:     hidden_block_count_x
      - .offset:         68
        .size:           4
        .value_kind:     hidden_block_count_y
      - .offset:         72
        .size:           4
        .value_kind:     hidden_block_count_z
      - .offset:         76
        .size:           2
        .value_kind:     hidden_group_size_x
      - .offset:         78
        .size:           2
        .value_kind:     hidden_group_size_y
      - .offset:         80
        .size:           2
        .value_kind:     hidden_group_size_z
      - .offset:         82
        .size:           2
        .value_kind:     hidden_remainder_x
      - .offset:         84
        .size:           2
        .value_kind:     hidden_remainder_y
      - .offset:         86
        .size:           2
        .value_kind:     hidden_remainder_z
      - .offset:         104
        .size:           8
        .value_kind:     hidden_global_offset_x
      - .offset:         112
        .size:           8
        .value_kind:     hidden_global_offset_y
      - .offset:         120
        .size:           8
        .value_kind:     hidden_global_offset_z
      - .offset:         128
        .size:           2
        .value_kind:     hidden_grid_dims
      - .offset:         184
        .size:           4
        .value_kind:     hidden_dynamic_lds_size
    .group_segment_fixed_size: 0
    .kernarg_segment_align: 8
    .kernarg_segment_size: 320
    .language:       OpenCL C
    .language_version:
      - 2
      - 0
    .max_flat_workgroup_size: 512
    .name:           _ZN2at6native12_GLOBAL__N_135GammaBetaBackwardCUDAKernelTemplateIN3c108BFloat16EfLj64ELj8ELj64ELb0ELb0ELb0EEEvllPKT_S7_PKT0_SA_PS5_SB_
    .private_segment_fixed_size: 0
    .sgpr_count:     64
    .sgpr_spill_count: 0
    .symbol:         _ZN2at6native12_GLOBAL__N_135GammaBetaBackwardCUDAKernelTemplateIN3c108BFloat16EfLj64ELj8ELj64ELb0ELb0ELb0EEEvllPKT_S7_PKT0_SA_PS5_SB_.kd
    .uniform_work_group_size: 1
    .uses_dynamic_stack: false
    .vgpr_count:     106
    .vgpr_spill_count: 0
    .wavefront_size: 64
  - .agpr_count:     0
    .args:
      - .offset:         0
        .size:           8
        .value_kind:     by_value
      - .offset:         8
        .size:           8
        .value_kind:     by_value
      - .actual_access:  read_only
        .address_space:  global
        .offset:         16
        .size:           8
        .value_kind:     global_buffer
      - .actual_access:  read_only
        .address_space:  global
        .offset:         24
        .size:           8
        .value_kind:     global_buffer
      - .actual_access:  read_only
        .address_space:  global
        .offset:         32
        .size:           8
        .value_kind:     global_buffer
      - .actual_access:  read_only
        .address_space:  global
        .offset:         40
        .size:           8
        .value_kind:     global_buffer
      - .actual_access:  write_only
        .address_space:  global
        .offset:         48
        .size:           8
        .value_kind:     global_buffer
      - .actual_access:  write_only
        .address_space:  global
        .offset:         56
        .size:           8
        .value_kind:     global_buffer
      - .offset:         64
        .size:           4
        .value_kind:     hidden_block_count_x
      - .offset:         68
        .size:           4
        .value_kind:     hidden_block_count_y
      - .offset:         72
        .size:           4
        .value_kind:     hidden_block_count_z
      - .offset:         76
        .size:           2
        .value_kind:     hidden_group_size_x
      - .offset:         78
        .size:           2
        .value_kind:     hidden_group_size_y
      - .offset:         80
        .size:           2
        .value_kind:     hidden_group_size_z
      - .offset:         82
        .size:           2
        .value_kind:     hidden_remainder_x
      - .offset:         84
        .size:           2
        .value_kind:     hidden_remainder_y
      - .offset:         86
        .size:           2
        .value_kind:     hidden_remainder_z
      - .offset:         104
        .size:           8
        .value_kind:     hidden_global_offset_x
      - .offset:         112
        .size:           8
        .value_kind:     hidden_global_offset_y
      - .offset:         120
        .size:           8
        .value_kind:     hidden_global_offset_z
      - .offset:         128
        .size:           2
        .value_kind:     hidden_grid_dims
      - .offset:         184
        .size:           4
        .value_kind:     hidden_dynamic_lds_size
    .group_segment_fixed_size: 0
    .kernarg_segment_align: 8
    .kernarg_segment_size: 320
    .language:       OpenCL C
    .language_version:
      - 2
      - 0
    .max_flat_workgroup_size: 1024
    .name:           _ZN2at6native12_GLOBAL__N_135GammaBetaBackwardCUDAKernelTemplateIN3c108BFloat16EfLj64ELj16ELj128ELb0ELb1ELb0EEEvllPKT_S7_PKT0_SA_PS5_SB_
    .private_segment_fixed_size: 0
    .sgpr_count:     36
    .sgpr_spill_count: 0
    .symbol:         _ZN2at6native12_GLOBAL__N_135GammaBetaBackwardCUDAKernelTemplateIN3c108BFloat16EfLj64ELj16ELj128ELb0ELb1ELb0EEEvllPKT_S7_PKT0_SA_PS5_SB_.kd
    .uniform_work_group_size: 1
    .uses_dynamic_stack: false
    .vgpr_count:     55
    .vgpr_spill_count: 0
    .wavefront_size: 64
  - .agpr_count:     0
    .args:
      - .offset:         0
        .size:           8
        .value_kind:     by_value
      - .offset:         8
        .size:           8
        .value_kind:     by_value
      - .actual_access:  read_only
        .address_space:  global
        .offset:         16
        .size:           8
        .value_kind:     global_buffer
      - .actual_access:  read_only
        .address_space:  global
        .offset:         24
        .size:           8
        .value_kind:     global_buffer
      - .actual_access:  read_only
        .address_space:  global
        .offset:         32
        .size:           8
        .value_kind:     global_buffer
      - .actual_access:  read_only
        .address_space:  global
        .offset:         40
        .size:           8
        .value_kind:     global_buffer
      - .actual_access:  write_only
        .address_space:  global
        .offset:         48
        .size:           8
        .value_kind:     global_buffer
      - .actual_access:  write_only
        .address_space:  global
        .offset:         56
        .size:           8
        .value_kind:     global_buffer
      - .offset:         64
        .size:           4
        .value_kind:     hidden_block_count_x
      - .offset:         68
        .size:           4
        .value_kind:     hidden_block_count_y
      - .offset:         72
        .size:           4
        .value_kind:     hidden_block_count_z
      - .offset:         76
        .size:           2
        .value_kind:     hidden_group_size_x
      - .offset:         78
        .size:           2
        .value_kind:     hidden_group_size_y
      - .offset:         80
        .size:           2
        .value_kind:     hidden_group_size_z
      - .offset:         82
        .size:           2
        .value_kind:     hidden_remainder_x
      - .offset:         84
        .size:           2
        .value_kind:     hidden_remainder_y
      - .offset:         86
        .size:           2
        .value_kind:     hidden_remainder_z
      - .offset:         104
        .size:           8
        .value_kind:     hidden_global_offset_x
      - .offset:         112
        .size:           8
        .value_kind:     hidden_global_offset_y
      - .offset:         120
        .size:           8
        .value_kind:     hidden_global_offset_z
      - .offset:         128
        .size:           2
        .value_kind:     hidden_grid_dims
      - .offset:         184
        .size:           4
        .value_kind:     hidden_dynamic_lds_size
    .group_segment_fixed_size: 0
    .kernarg_segment_align: 8
    .kernarg_segment_size: 320
    .language:       OpenCL C
    .language_version:
      - 2
      - 0
    .max_flat_workgroup_size: 1024
    .name:           _ZN2at6native12_GLOBAL__N_135GammaBetaBackwardCUDAKernelTemplateIN3c108BFloat16EfLj64ELj16ELj128ELb0ELb0ELb0EEEvllPKT_S7_PKT0_SA_PS5_SB_
    .private_segment_fixed_size: 0
    .sgpr_count:     64
    .sgpr_spill_count: 0
    .symbol:         _ZN2at6native12_GLOBAL__N_135GammaBetaBackwardCUDAKernelTemplateIN3c108BFloat16EfLj64ELj16ELj128ELb0ELb0ELb0EEEvllPKT_S7_PKT0_SA_PS5_SB_.kd
    .uniform_work_group_size: 1
    .uses_dynamic_stack: false
    .vgpr_count:     106
    .vgpr_spill_count: 0
    .wavefront_size: 64
  - .agpr_count:     0
    .args:
      - .offset:         0
        .size:           8
        .value_kind:     by_value
      - .offset:         8
        .size:           8
        .value_kind:     by_value
      - .actual_access:  read_only
        .address_space:  global
        .offset:         16
        .size:           8
        .value_kind:     global_buffer
      - .actual_access:  read_only
        .address_space:  global
        .offset:         24
        .size:           8
        .value_kind:     global_buffer
      - .actual_access:  read_only
        .address_space:  global
        .offset:         32
        .size:           8
        .value_kind:     global_buffer
      - .actual_access:  read_only
        .address_space:  global
        .offset:         40
        .size:           8
        .value_kind:     global_buffer
      - .actual_access:  write_only
        .address_space:  global
        .offset:         48
        .size:           8
        .value_kind:     global_buffer
      - .actual_access:  write_only
        .address_space:  global
        .offset:         56
        .size:           8
        .value_kind:     global_buffer
      - .offset:         64
        .size:           4
        .value_kind:     hidden_block_count_x
      - .offset:         68
        .size:           4
        .value_kind:     hidden_block_count_y
      - .offset:         72
        .size:           4
        .value_kind:     hidden_block_count_z
      - .offset:         76
        .size:           2
        .value_kind:     hidden_group_size_x
      - .offset:         78
        .size:           2
        .value_kind:     hidden_group_size_y
      - .offset:         80
        .size:           2
        .value_kind:     hidden_group_size_z
      - .offset:         82
        .size:           2
        .value_kind:     hidden_remainder_x
      - .offset:         84
        .size:           2
        .value_kind:     hidden_remainder_y
      - .offset:         86
        .size:           2
        .value_kind:     hidden_remainder_z
      - .offset:         104
        .size:           8
        .value_kind:     hidden_global_offset_x
      - .offset:         112
        .size:           8
        .value_kind:     hidden_global_offset_y
      - .offset:         120
        .size:           8
        .value_kind:     hidden_global_offset_z
      - .offset:         128
        .size:           2
        .value_kind:     hidden_grid_dims
      - .offset:         184
        .size:           4
        .value_kind:     hidden_dynamic_lds_size
    .group_segment_fixed_size: 0
    .kernarg_segment_align: 8
    .kernarg_segment_size: 320
    .language:       OpenCL C
    .language_version:
      - 2
      - 0
    .max_flat_workgroup_size: 1024
    .name:           _ZN2at6native12_GLOBAL__N_135GammaBetaBackwardCUDAKernelTemplateIN3c108BFloat16EfLj64ELj16ELj256ELb0ELb1ELb0EEEvllPKT_S7_PKT0_SA_PS5_SB_
    .private_segment_fixed_size: 0
    .sgpr_count:     36
    .sgpr_spill_count: 0
    .symbol:         _ZN2at6native12_GLOBAL__N_135GammaBetaBackwardCUDAKernelTemplateIN3c108BFloat16EfLj64ELj16ELj256ELb0ELb1ELb0EEEvllPKT_S7_PKT0_SA_PS5_SB_.kd
    .uniform_work_group_size: 1
    .uses_dynamic_stack: false
    .vgpr_count:     64
    .vgpr_spill_count: 0
    .wavefront_size: 64
  - .agpr_count:     0
    .args:
      - .offset:         0
        .size:           8
        .value_kind:     by_value
      - .offset:         8
        .size:           8
        .value_kind:     by_value
      - .actual_access:  read_only
        .address_space:  global
        .offset:         16
        .size:           8
        .value_kind:     global_buffer
      - .actual_access:  read_only
        .address_space:  global
        .offset:         24
        .size:           8
        .value_kind:     global_buffer
      - .actual_access:  read_only
        .address_space:  global
        .offset:         32
        .size:           8
        .value_kind:     global_buffer
      - .actual_access:  read_only
        .address_space:  global
        .offset:         40
        .size:           8
        .value_kind:     global_buffer
      - .actual_access:  write_only
        .address_space:  global
        .offset:         48
        .size:           8
        .value_kind:     global_buffer
      - .actual_access:  write_only
        .address_space:  global
        .offset:         56
        .size:           8
        .value_kind:     global_buffer
      - .offset:         64
        .size:           4
        .value_kind:     hidden_block_count_x
      - .offset:         68
        .size:           4
        .value_kind:     hidden_block_count_y
      - .offset:         72
        .size:           4
        .value_kind:     hidden_block_count_z
      - .offset:         76
        .size:           2
        .value_kind:     hidden_group_size_x
      - .offset:         78
        .size:           2
        .value_kind:     hidden_group_size_y
      - .offset:         80
        .size:           2
        .value_kind:     hidden_group_size_z
      - .offset:         82
        .size:           2
        .value_kind:     hidden_remainder_x
      - .offset:         84
        .size:           2
        .value_kind:     hidden_remainder_y
      - .offset:         86
        .size:           2
        .value_kind:     hidden_remainder_z
      - .offset:         104
        .size:           8
        .value_kind:     hidden_global_offset_x
      - .offset:         112
        .size:           8
        .value_kind:     hidden_global_offset_y
      - .offset:         120
        .size:           8
        .value_kind:     hidden_global_offset_z
      - .offset:         128
        .size:           2
        .value_kind:     hidden_grid_dims
      - .offset:         184
        .size:           4
        .value_kind:     hidden_dynamic_lds_size
    .group_segment_fixed_size: 0
    .kernarg_segment_align: 8
    .kernarg_segment_size: 320
    .language:       OpenCL C
    .language_version:
      - 2
      - 0
    .max_flat_workgroup_size: 1024
    .name:           _ZN2at6native12_GLOBAL__N_135GammaBetaBackwardCUDAKernelTemplateIN3c108BFloat16EfLj64ELj16ELj256ELb0ELb0ELb0EEEvllPKT_S7_PKT0_SA_PS5_SB_
    .private_segment_fixed_size: 232
    .sgpr_count:     88
    .sgpr_spill_count: 0
    .symbol:         _ZN2at6native12_GLOBAL__N_135GammaBetaBackwardCUDAKernelTemplateIN3c108BFloat16EfLj64ELj16ELj256ELb0ELb0ELb0EEEvllPKT_S7_PKT0_SA_PS5_SB_.kd
    .uniform_work_group_size: 1
    .uses_dynamic_stack: false
    .vgpr_count:     128
    .vgpr_spill_count: 109
    .wavefront_size: 64
  - .agpr_count:     0
    .args:
      - .offset:         0
        .size:           8
        .value_kind:     by_value
      - .offset:         8
        .size:           8
        .value_kind:     by_value
      - .actual_access:  read_only
        .address_space:  global
        .offset:         16
        .size:           8
        .value_kind:     global_buffer
      - .actual_access:  read_only
        .address_space:  global
        .offset:         24
        .size:           8
        .value_kind:     global_buffer
      - .actual_access:  read_only
        .address_space:  global
        .offset:         32
        .size:           8
        .value_kind:     global_buffer
      - .actual_access:  read_only
        .address_space:  global
        .offset:         40
        .size:           8
        .value_kind:     global_buffer
      - .actual_access:  write_only
        .address_space:  global
        .offset:         48
        .size:           8
        .value_kind:     global_buffer
      - .actual_access:  write_only
        .address_space:  global
        .offset:         56
        .size:           8
        .value_kind:     global_buffer
      - .offset:         64
        .size:           4
        .value_kind:     hidden_block_count_x
      - .offset:         68
        .size:           4
        .value_kind:     hidden_block_count_y
      - .offset:         72
        .size:           4
        .value_kind:     hidden_block_count_z
      - .offset:         76
        .size:           2
        .value_kind:     hidden_group_size_x
      - .offset:         78
        .size:           2
        .value_kind:     hidden_group_size_y
      - .offset:         80
        .size:           2
        .value_kind:     hidden_group_size_z
      - .offset:         82
        .size:           2
        .value_kind:     hidden_remainder_x
      - .offset:         84
        .size:           2
        .value_kind:     hidden_remainder_y
      - .offset:         86
        .size:           2
        .value_kind:     hidden_remainder_z
      - .offset:         104
        .size:           8
        .value_kind:     hidden_global_offset_x
      - .offset:         112
        .size:           8
        .value_kind:     hidden_global_offset_y
      - .offset:         120
        .size:           8
        .value_kind:     hidden_global_offset_z
      - .offset:         128
        .size:           2
        .value_kind:     hidden_grid_dims
    .group_segment_fixed_size: 0
    .kernarg_segment_align: 8
    .kernarg_segment_size: 320
    .language:       OpenCL C
    .language_version:
      - 2
      - 0
    .max_flat_workgroup_size: 32
    .name:           _ZN2at6native12_GLOBAL__N_135GammaBetaBackwardCUDAKernelTemplateIN3c108BFloat16EfLj32ELj1ELj32ELb1ELb1ELb0EEEvllPKT_S7_PKT0_SA_PS5_SB_
    .private_segment_fixed_size: 0
    .sgpr_count:     46
    .sgpr_spill_count: 0
    .symbol:         _ZN2at6native12_GLOBAL__N_135GammaBetaBackwardCUDAKernelTemplateIN3c108BFloat16EfLj32ELj1ELj32ELb1ELb1ELb0EEEvllPKT_S7_PKT0_SA_PS5_SB_.kd
    .uniform_work_group_size: 1
    .uses_dynamic_stack: false
    .vgpr_count:     84
    .vgpr_spill_count: 0
    .wavefront_size: 64
  - .agpr_count:     81
    .args:
      - .offset:         0
        .size:           8
        .value_kind:     by_value
      - .offset:         8
        .size:           8
        .value_kind:     by_value
      - .actual_access:  read_only
        .address_space:  global
        .offset:         16
        .size:           8
        .value_kind:     global_buffer
      - .actual_access:  read_only
        .address_space:  global
        .offset:         24
        .size:           8
        .value_kind:     global_buffer
      - .actual_access:  read_only
        .address_space:  global
        .offset:         32
        .size:           8
        .value_kind:     global_buffer
      - .actual_access:  read_only
        .address_space:  global
        .offset:         40
        .size:           8
        .value_kind:     global_buffer
      - .actual_access:  write_only
        .address_space:  global
        .offset:         48
        .size:           8
        .value_kind:     global_buffer
      - .actual_access:  write_only
        .address_space:  global
        .offset:         56
        .size:           8
        .value_kind:     global_buffer
      - .offset:         64
        .size:           4
        .value_kind:     hidden_block_count_x
      - .offset:         68
        .size:           4
        .value_kind:     hidden_block_count_y
      - .offset:         72
        .size:           4
        .value_kind:     hidden_block_count_z
      - .offset:         76
        .size:           2
        .value_kind:     hidden_group_size_x
      - .offset:         78
        .size:           2
        .value_kind:     hidden_group_size_y
      - .offset:         80
        .size:           2
        .value_kind:     hidden_group_size_z
      - .offset:         82
        .size:           2
        .value_kind:     hidden_remainder_x
      - .offset:         84
        .size:           2
        .value_kind:     hidden_remainder_y
      - .offset:         86
        .size:           2
        .value_kind:     hidden_remainder_z
      - .offset:         104
        .size:           8
        .value_kind:     hidden_global_offset_x
      - .offset:         112
        .size:           8
        .value_kind:     hidden_global_offset_y
      - .offset:         120
        .size:           8
        .value_kind:     hidden_global_offset_z
      - .offset:         128
        .size:           2
        .value_kind:     hidden_grid_dims
    .group_segment_fixed_size: 0
    .kernarg_segment_align: 8
    .kernarg_segment_size: 320
    .language:       OpenCL C
    .language_version:
      - 2
      - 0
    .max_flat_workgroup_size: 32
    .name:           _ZN2at6native12_GLOBAL__N_135GammaBetaBackwardCUDAKernelTemplateIN3c108BFloat16EfLj32ELj1ELj32ELb1ELb0ELb0EEEvllPKT_S7_PKT0_SA_PS5_SB_
    .private_segment_fixed_size: 0
    .sgpr_count:     46
    .sgpr_spill_count: 0
    .symbol:         _ZN2at6native12_GLOBAL__N_135GammaBetaBackwardCUDAKernelTemplateIN3c108BFloat16EfLj32ELj1ELj32ELb1ELb0ELb0EEEvllPKT_S7_PKT0_SA_PS5_SB_.kd
    .uniform_work_group_size: 1
    .uses_dynamic_stack: false
    .vgpr_count:     337
    .vgpr_spill_count: 0
    .wavefront_size: 64
  - .agpr_count:     0
    .args:
      - .offset:         0
        .size:           8
        .value_kind:     by_value
      - .offset:         8
        .size:           8
        .value_kind:     by_value
      - .actual_access:  read_only
        .address_space:  global
        .offset:         16
        .size:           8
        .value_kind:     global_buffer
      - .actual_access:  read_only
        .address_space:  global
        .offset:         24
        .size:           8
        .value_kind:     global_buffer
      - .actual_access:  read_only
        .address_space:  global
        .offset:         32
        .size:           8
        .value_kind:     global_buffer
      - .actual_access:  read_only
        .address_space:  global
        .offset:         40
        .size:           8
        .value_kind:     global_buffer
      - .actual_access:  write_only
        .address_space:  global
        .offset:         48
        .size:           8
        .value_kind:     global_buffer
      - .actual_access:  write_only
        .address_space:  global
        .offset:         56
        .size:           8
        .value_kind:     global_buffer
      - .offset:         64
        .size:           4
        .value_kind:     hidden_block_count_x
      - .offset:         68
        .size:           4
        .value_kind:     hidden_block_count_y
      - .offset:         72
        .size:           4
        .value_kind:     hidden_block_count_z
      - .offset:         76
        .size:           2
        .value_kind:     hidden_group_size_x
      - .offset:         78
        .size:           2
        .value_kind:     hidden_group_size_y
      - .offset:         80
        .size:           2
        .value_kind:     hidden_group_size_z
      - .offset:         82
        .size:           2
        .value_kind:     hidden_remainder_x
      - .offset:         84
        .size:           2
        .value_kind:     hidden_remainder_y
      - .offset:         86
        .size:           2
        .value_kind:     hidden_remainder_z
      - .offset:         104
        .size:           8
        .value_kind:     hidden_global_offset_x
      - .offset:         112
        .size:           8
        .value_kind:     hidden_global_offset_y
      - .offset:         120
        .size:           8
        .value_kind:     hidden_global_offset_z
      - .offset:         128
        .size:           2
        .value_kind:     hidden_grid_dims
    .group_segment_fixed_size: 0
    .kernarg_segment_align: 8
    .kernarg_segment_size: 320
    .language:       OpenCL C
    .language_version:
      - 2
      - 0
    .max_flat_workgroup_size: 32
    .name:           _ZN2at6native12_GLOBAL__N_135GammaBetaBackwardCUDAKernelTemplateIN3c108BFloat16EfLj32ELj1ELj8ELb1ELb1ELb0EEEvllPKT_S7_PKT0_SA_PS5_SB_
    .private_segment_fixed_size: 0
    .sgpr_count:     46
    .sgpr_spill_count: 0
    .symbol:         _ZN2at6native12_GLOBAL__N_135GammaBetaBackwardCUDAKernelTemplateIN3c108BFloat16EfLj32ELj1ELj8ELb1ELb1ELb0EEEvllPKT_S7_PKT0_SA_PS5_SB_.kd
    .uniform_work_group_size: 1
    .uses_dynamic_stack: false
    .vgpr_count:     55
    .vgpr_spill_count: 0
    .wavefront_size: 64
  - .agpr_count:     0
    .args:
      - .offset:         0
        .size:           8
        .value_kind:     by_value
      - .offset:         8
        .size:           8
        .value_kind:     by_value
      - .actual_access:  read_only
        .address_space:  global
        .offset:         16
        .size:           8
        .value_kind:     global_buffer
      - .actual_access:  read_only
        .address_space:  global
        .offset:         24
        .size:           8
        .value_kind:     global_buffer
      - .actual_access:  read_only
        .address_space:  global
        .offset:         32
        .size:           8
        .value_kind:     global_buffer
      - .actual_access:  read_only
        .address_space:  global
        .offset:         40
        .size:           8
        .value_kind:     global_buffer
      - .actual_access:  write_only
        .address_space:  global
        .offset:         48
        .size:           8
        .value_kind:     global_buffer
      - .actual_access:  write_only
        .address_space:  global
        .offset:         56
        .size:           8
        .value_kind:     global_buffer
      - .offset:         64
        .size:           4
        .value_kind:     hidden_block_count_x
      - .offset:         68
        .size:           4
        .value_kind:     hidden_block_count_y
      - .offset:         72
        .size:           4
        .value_kind:     hidden_block_count_z
      - .offset:         76
        .size:           2
        .value_kind:     hidden_group_size_x
      - .offset:         78
        .size:           2
        .value_kind:     hidden_group_size_y
      - .offset:         80
        .size:           2
        .value_kind:     hidden_group_size_z
      - .offset:         82
        .size:           2
        .value_kind:     hidden_remainder_x
      - .offset:         84
        .size:           2
        .value_kind:     hidden_remainder_y
      - .offset:         86
        .size:           2
        .value_kind:     hidden_remainder_z
      - .offset:         104
        .size:           8
        .value_kind:     hidden_global_offset_x
      - .offset:         112
        .size:           8
        .value_kind:     hidden_global_offset_y
      - .offset:         120
        .size:           8
        .value_kind:     hidden_global_offset_z
      - .offset:         128
        .size:           2
        .value_kind:     hidden_grid_dims
    .group_segment_fixed_size: 0
    .kernarg_segment_align: 8
    .kernarg_segment_size: 320
    .language:       OpenCL C
    .language_version:
      - 2
      - 0
    .max_flat_workgroup_size: 32
    .name:           _ZN2at6native12_GLOBAL__N_135GammaBetaBackwardCUDAKernelTemplateIN3c108BFloat16EfLj32ELj1ELj8ELb1ELb0ELb0EEEvllPKT_S7_PKT0_SA_PS5_SB_
    .private_segment_fixed_size: 0
    .sgpr_count:     52
    .sgpr_spill_count: 0
    .symbol:         _ZN2at6native12_GLOBAL__N_135GammaBetaBackwardCUDAKernelTemplateIN3c108BFloat16EfLj32ELj1ELj8ELb1ELb0ELb0EEEvllPKT_S7_PKT0_SA_PS5_SB_.kd
    .uniform_work_group_size: 1
    .uses_dynamic_stack: false
    .vgpr_count:     106
    .vgpr_spill_count: 0
    .wavefront_size: 64
  - .agpr_count:     0
    .args:
      - .offset:         0
        .size:           8
        .value_kind:     by_value
      - .offset:         8
        .size:           8
        .value_kind:     by_value
      - .actual_access:  read_only
        .address_space:  global
        .offset:         16
        .size:           8
        .value_kind:     global_buffer
      - .actual_access:  read_only
        .address_space:  global
        .offset:         24
        .size:           8
        .value_kind:     global_buffer
      - .actual_access:  read_only
        .address_space:  global
        .offset:         32
        .size:           8
        .value_kind:     global_buffer
      - .actual_access:  read_only
        .address_space:  global
        .offset:         40
        .size:           8
        .value_kind:     global_buffer
      - .actual_access:  write_only
        .address_space:  global
        .offset:         48
        .size:           8
        .value_kind:     global_buffer
      - .actual_access:  write_only
        .address_space:  global
        .offset:         56
        .size:           8
        .value_kind:     global_buffer
      - .offset:         64
        .size:           4
        .value_kind:     hidden_block_count_x
      - .offset:         68
        .size:           4
        .value_kind:     hidden_block_count_y
      - .offset:         72
        .size:           4
        .value_kind:     hidden_block_count_z
      - .offset:         76
        .size:           2
        .value_kind:     hidden_group_size_x
      - .offset:         78
        .size:           2
        .value_kind:     hidden_group_size_y
      - .offset:         80
        .size:           2
        .value_kind:     hidden_group_size_z
      - .offset:         82
        .size:           2
        .value_kind:     hidden_remainder_x
      - .offset:         84
        .size:           2
        .value_kind:     hidden_remainder_y
      - .offset:         86
        .size:           2
        .value_kind:     hidden_remainder_z
      - .offset:         104
        .size:           8
        .value_kind:     hidden_global_offset_x
      - .offset:         112
        .size:           8
        .value_kind:     hidden_global_offset_y
      - .offset:         120
        .size:           8
        .value_kind:     hidden_global_offset_z
      - .offset:         128
        .size:           2
        .value_kind:     hidden_grid_dims
      - .offset:         184
        .size:           4
        .value_kind:     hidden_dynamic_lds_size
    .group_segment_fixed_size: 0
    .kernarg_segment_align: 8
    .kernarg_segment_size: 320
    .language:       OpenCL C
    .language_version:
      - 2
      - 0
    .max_flat_workgroup_size: 256
    .name:           _ZN2at6native12_GLOBAL__N_135GammaBetaBackwardCUDAKernelTemplateIN3c108BFloat16EfLj32ELj8ELj64ELb0ELb1ELb0EEEvllPKT_S7_PKT0_SA_PS5_SB_
    .private_segment_fixed_size: 0
    .sgpr_count:     36
    .sgpr_spill_count: 0
    .symbol:         _ZN2at6native12_GLOBAL__N_135GammaBetaBackwardCUDAKernelTemplateIN3c108BFloat16EfLj32ELj8ELj64ELb0ELb1ELb0EEEvllPKT_S7_PKT0_SA_PS5_SB_.kd
    .uniform_work_group_size: 1
    .uses_dynamic_stack: false
    .vgpr_count:     55
    .vgpr_spill_count: 0
    .wavefront_size: 64
  - .agpr_count:     0
    .args:
      - .offset:         0
        .size:           8
        .value_kind:     by_value
      - .offset:         8
        .size:           8
        .value_kind:     by_value
      - .actual_access:  read_only
        .address_space:  global
        .offset:         16
        .size:           8
        .value_kind:     global_buffer
      - .actual_access:  read_only
        .address_space:  global
        .offset:         24
        .size:           8
        .value_kind:     global_buffer
      - .actual_access:  read_only
        .address_space:  global
        .offset:         32
        .size:           8
        .value_kind:     global_buffer
      - .actual_access:  read_only
        .address_space:  global
        .offset:         40
        .size:           8
        .value_kind:     global_buffer
      - .actual_access:  write_only
        .address_space:  global
        .offset:         48
        .size:           8
        .value_kind:     global_buffer
      - .actual_access:  write_only
        .address_space:  global
        .offset:         56
        .size:           8
        .value_kind:     global_buffer
      - .offset:         64
        .size:           4
        .value_kind:     hidden_block_count_x
      - .offset:         68
        .size:           4
        .value_kind:     hidden_block_count_y
      - .offset:         72
        .size:           4
        .value_kind:     hidden_block_count_z
      - .offset:         76
        .size:           2
        .value_kind:     hidden_group_size_x
      - .offset:         78
        .size:           2
        .value_kind:     hidden_group_size_y
      - .offset:         80
        .size:           2
        .value_kind:     hidden_group_size_z
      - .offset:         82
        .size:           2
        .value_kind:     hidden_remainder_x
      - .offset:         84
        .size:           2
        .value_kind:     hidden_remainder_y
      - .offset:         86
        .size:           2
        .value_kind:     hidden_remainder_z
      - .offset:         104
        .size:           8
        .value_kind:     hidden_global_offset_x
      - .offset:         112
        .size:           8
        .value_kind:     hidden_global_offset_y
      - .offset:         120
        .size:           8
        .value_kind:     hidden_global_offset_z
      - .offset:         128
        .size:           2
        .value_kind:     hidden_grid_dims
      - .offset:         184
        .size:           4
        .value_kind:     hidden_dynamic_lds_size
    .group_segment_fixed_size: 0
    .kernarg_segment_align: 8
    .kernarg_segment_size: 320
    .language:       OpenCL C
    .language_version:
      - 2
      - 0
    .max_flat_workgroup_size: 256
    .name:           _ZN2at6native12_GLOBAL__N_135GammaBetaBackwardCUDAKernelTemplateIN3c108BFloat16EfLj32ELj8ELj64ELb0ELb0ELb0EEEvllPKT_S7_PKT0_SA_PS5_SB_
    .private_segment_fixed_size: 0
    .sgpr_count:     64
    .sgpr_spill_count: 0
    .symbol:         _ZN2at6native12_GLOBAL__N_135GammaBetaBackwardCUDAKernelTemplateIN3c108BFloat16EfLj32ELj8ELj64ELb0ELb0ELb0EEEvllPKT_S7_PKT0_SA_PS5_SB_.kd
    .uniform_work_group_size: 1
    .uses_dynamic_stack: false
    .vgpr_count:     106
    .vgpr_spill_count: 0
    .wavefront_size: 64
  - .agpr_count:     0
    .args:
      - .offset:         0
        .size:           8
        .value_kind:     by_value
      - .offset:         8
        .size:           8
        .value_kind:     by_value
      - .actual_access:  read_only
        .address_space:  global
        .offset:         16
        .size:           8
        .value_kind:     global_buffer
      - .actual_access:  read_only
        .address_space:  global
        .offset:         24
        .size:           8
        .value_kind:     global_buffer
      - .actual_access:  read_only
        .address_space:  global
        .offset:         32
        .size:           8
        .value_kind:     global_buffer
      - .actual_access:  read_only
        .address_space:  global
        .offset:         40
        .size:           8
        .value_kind:     global_buffer
      - .actual_access:  write_only
        .address_space:  global
        .offset:         48
        .size:           8
        .value_kind:     global_buffer
      - .actual_access:  write_only
        .address_space:  global
        .offset:         56
        .size:           8
        .value_kind:     global_buffer
      - .offset:         64
        .size:           4
        .value_kind:     hidden_block_count_x
      - .offset:         68
        .size:           4
        .value_kind:     hidden_block_count_y
      - .offset:         72
        .size:           4
        .value_kind:     hidden_block_count_z
      - .offset:         76
        .size:           2
        .value_kind:     hidden_group_size_x
      - .offset:         78
        .size:           2
        .value_kind:     hidden_group_size_y
      - .offset:         80
        .size:           2
        .value_kind:     hidden_group_size_z
      - .offset:         82
        .size:           2
        .value_kind:     hidden_remainder_x
      - .offset:         84
        .size:           2
        .value_kind:     hidden_remainder_y
      - .offset:         86
        .size:           2
        .value_kind:     hidden_remainder_z
      - .offset:         104
        .size:           8
        .value_kind:     hidden_global_offset_x
      - .offset:         112
        .size:           8
        .value_kind:     hidden_global_offset_y
      - .offset:         120
        .size:           8
        .value_kind:     hidden_global_offset_z
      - .offset:         128
        .size:           2
        .value_kind:     hidden_grid_dims
      - .offset:         184
        .size:           4
        .value_kind:     hidden_dynamic_lds_size
    .group_segment_fixed_size: 0
    .kernarg_segment_align: 8
    .kernarg_segment_size: 320
    .language:       OpenCL C
    .language_version:
      - 2
      - 0
    .max_flat_workgroup_size: 512
    .name:           _ZN2at6native12_GLOBAL__N_135GammaBetaBackwardCUDAKernelTemplateIN3c108BFloat16EfLj32ELj16ELj128ELb0ELb1ELb0EEEvllPKT_S7_PKT0_SA_PS5_SB_
    .private_segment_fixed_size: 0
    .sgpr_count:     36
    .sgpr_spill_count: 0
    .symbol:         _ZN2at6native12_GLOBAL__N_135GammaBetaBackwardCUDAKernelTemplateIN3c108BFloat16EfLj32ELj16ELj128ELb0ELb1ELb0EEEvllPKT_S7_PKT0_SA_PS5_SB_.kd
    .uniform_work_group_size: 1
    .uses_dynamic_stack: false
    .vgpr_count:     55
    .vgpr_spill_count: 0
    .wavefront_size: 64
  - .agpr_count:     0
    .args:
      - .offset:         0
        .size:           8
        .value_kind:     by_value
      - .offset:         8
        .size:           8
        .value_kind:     by_value
      - .actual_access:  read_only
        .address_space:  global
        .offset:         16
        .size:           8
        .value_kind:     global_buffer
      - .actual_access:  read_only
        .address_space:  global
        .offset:         24
        .size:           8
        .value_kind:     global_buffer
      - .actual_access:  read_only
        .address_space:  global
        .offset:         32
        .size:           8
        .value_kind:     global_buffer
      - .actual_access:  read_only
        .address_space:  global
        .offset:         40
        .size:           8
        .value_kind:     global_buffer
      - .actual_access:  write_only
        .address_space:  global
        .offset:         48
        .size:           8
        .value_kind:     global_buffer
      - .actual_access:  write_only
        .address_space:  global
        .offset:         56
        .size:           8
        .value_kind:     global_buffer
      - .offset:         64
        .size:           4
        .value_kind:     hidden_block_count_x
      - .offset:         68
        .size:           4
        .value_kind:     hidden_block_count_y
      - .offset:         72
        .size:           4
        .value_kind:     hidden_block_count_z
      - .offset:         76
        .size:           2
        .value_kind:     hidden_group_size_x
      - .offset:         78
        .size:           2
        .value_kind:     hidden_group_size_y
      - .offset:         80
        .size:           2
        .value_kind:     hidden_group_size_z
      - .offset:         82
        .size:           2
        .value_kind:     hidden_remainder_x
      - .offset:         84
        .size:           2
        .value_kind:     hidden_remainder_y
      - .offset:         86
        .size:           2
        .value_kind:     hidden_remainder_z
      - .offset:         104
        .size:           8
        .value_kind:     hidden_global_offset_x
      - .offset:         112
        .size:           8
        .value_kind:     hidden_global_offset_y
      - .offset:         120
        .size:           8
        .value_kind:     hidden_global_offset_z
      - .offset:         128
        .size:           2
        .value_kind:     hidden_grid_dims
      - .offset:         184
        .size:           4
        .value_kind:     hidden_dynamic_lds_size
    .group_segment_fixed_size: 0
    .kernarg_segment_align: 8
    .kernarg_segment_size: 320
    .language:       OpenCL C
    .language_version:
      - 2
      - 0
    .max_flat_workgroup_size: 512
    .name:           _ZN2at6native12_GLOBAL__N_135GammaBetaBackwardCUDAKernelTemplateIN3c108BFloat16EfLj32ELj16ELj128ELb0ELb0ELb0EEEvllPKT_S7_PKT0_SA_PS5_SB_
    .private_segment_fixed_size: 0
    .sgpr_count:     64
    .sgpr_spill_count: 0
    .symbol:         _ZN2at6native12_GLOBAL__N_135GammaBetaBackwardCUDAKernelTemplateIN3c108BFloat16EfLj32ELj16ELj128ELb0ELb0ELb0EEEvllPKT_S7_PKT0_SA_PS5_SB_.kd
    .uniform_work_group_size: 1
    .uses_dynamic_stack: false
    .vgpr_count:     106
    .vgpr_spill_count: 0
    .wavefront_size: 64
  - .agpr_count:     0
    .args:
      - .offset:         0
        .size:           8
        .value_kind:     by_value
      - .offset:         8
        .size:           8
        .value_kind:     by_value
      - .actual_access:  read_only
        .address_space:  global
        .offset:         16
        .size:           8
        .value_kind:     global_buffer
      - .actual_access:  read_only
        .address_space:  global
        .offset:         24
        .size:           8
        .value_kind:     global_buffer
      - .actual_access:  read_only
        .address_space:  global
        .offset:         32
        .size:           8
        .value_kind:     global_buffer
      - .actual_access:  read_only
        .address_space:  global
        .offset:         40
        .size:           8
        .value_kind:     global_buffer
      - .actual_access:  write_only
        .address_space:  global
        .offset:         48
        .size:           8
        .value_kind:     global_buffer
      - .actual_access:  write_only
        .address_space:  global
        .offset:         56
        .size:           8
        .value_kind:     global_buffer
      - .offset:         64
        .size:           4
        .value_kind:     hidden_block_count_x
      - .offset:         68
        .size:           4
        .value_kind:     hidden_block_count_y
      - .offset:         72
        .size:           4
        .value_kind:     hidden_block_count_z
      - .offset:         76
        .size:           2
        .value_kind:     hidden_group_size_x
      - .offset:         78
        .size:           2
        .value_kind:     hidden_group_size_y
      - .offset:         80
        .size:           2
        .value_kind:     hidden_group_size_z
      - .offset:         82
        .size:           2
        .value_kind:     hidden_remainder_x
      - .offset:         84
        .size:           2
        .value_kind:     hidden_remainder_y
      - .offset:         86
        .size:           2
        .value_kind:     hidden_remainder_z
      - .offset:         104
        .size:           8
        .value_kind:     hidden_global_offset_x
      - .offset:         112
        .size:           8
        .value_kind:     hidden_global_offset_y
      - .offset:         120
        .size:           8
        .value_kind:     hidden_global_offset_z
      - .offset:         128
        .size:           2
        .value_kind:     hidden_grid_dims
      - .offset:         184
        .size:           4
        .value_kind:     hidden_dynamic_lds_size
    .group_segment_fixed_size: 0
    .kernarg_segment_align: 8
    .kernarg_segment_size: 320
    .language:       OpenCL C
    .language_version:
      - 2
      - 0
    .max_flat_workgroup_size: 1024
    .name:           _ZN2at6native12_GLOBAL__N_135GammaBetaBackwardCUDAKernelTemplateIN3c108BFloat16EfLj32ELj32ELj256ELb0ELb1ELb0EEEvllPKT_S7_PKT0_SA_PS5_SB_
    .private_segment_fixed_size: 0
    .sgpr_count:     36
    .sgpr_spill_count: 0
    .symbol:         _ZN2at6native12_GLOBAL__N_135GammaBetaBackwardCUDAKernelTemplateIN3c108BFloat16EfLj32ELj32ELj256ELb0ELb1ELb0EEEvllPKT_S7_PKT0_SA_PS5_SB_.kd
    .uniform_work_group_size: 1
    .uses_dynamic_stack: false
    .vgpr_count:     55
    .vgpr_spill_count: 0
    .wavefront_size: 64
  - .agpr_count:     0
    .args:
      - .offset:         0
        .size:           8
        .value_kind:     by_value
      - .offset:         8
        .size:           8
        .value_kind:     by_value
      - .actual_access:  read_only
        .address_space:  global
        .offset:         16
        .size:           8
        .value_kind:     global_buffer
      - .actual_access:  read_only
        .address_space:  global
        .offset:         24
        .size:           8
        .value_kind:     global_buffer
      - .actual_access:  read_only
        .address_space:  global
        .offset:         32
        .size:           8
        .value_kind:     global_buffer
      - .actual_access:  read_only
        .address_space:  global
        .offset:         40
        .size:           8
        .value_kind:     global_buffer
      - .actual_access:  write_only
        .address_space:  global
        .offset:         48
        .size:           8
        .value_kind:     global_buffer
      - .actual_access:  write_only
        .address_space:  global
        .offset:         56
        .size:           8
        .value_kind:     global_buffer
      - .offset:         64
        .size:           4
        .value_kind:     hidden_block_count_x
      - .offset:         68
        .size:           4
        .value_kind:     hidden_block_count_y
      - .offset:         72
        .size:           4
        .value_kind:     hidden_block_count_z
      - .offset:         76
        .size:           2
        .value_kind:     hidden_group_size_x
      - .offset:         78
        .size:           2
        .value_kind:     hidden_group_size_y
      - .offset:         80
        .size:           2
        .value_kind:     hidden_group_size_z
      - .offset:         82
        .size:           2
        .value_kind:     hidden_remainder_x
      - .offset:         84
        .size:           2
        .value_kind:     hidden_remainder_y
      - .offset:         86
        .size:           2
        .value_kind:     hidden_remainder_z
      - .offset:         104
        .size:           8
        .value_kind:     hidden_global_offset_x
      - .offset:         112
        .size:           8
        .value_kind:     hidden_global_offset_y
      - .offset:         120
        .size:           8
        .value_kind:     hidden_global_offset_z
      - .offset:         128
        .size:           2
        .value_kind:     hidden_grid_dims
      - .offset:         184
        .size:           4
        .value_kind:     hidden_dynamic_lds_size
    .group_segment_fixed_size: 0
    .kernarg_segment_align: 8
    .kernarg_segment_size: 320
    .language:       OpenCL C
    .language_version:
      - 2
      - 0
    .max_flat_workgroup_size: 1024
    .name:           _ZN2at6native12_GLOBAL__N_135GammaBetaBackwardCUDAKernelTemplateIN3c108BFloat16EfLj32ELj32ELj256ELb0ELb0ELb0EEEvllPKT_S7_PKT0_SA_PS5_SB_
    .private_segment_fixed_size: 0
    .sgpr_count:     64
    .sgpr_spill_count: 0
    .symbol:         _ZN2at6native12_GLOBAL__N_135GammaBetaBackwardCUDAKernelTemplateIN3c108BFloat16EfLj32ELj32ELj256ELb0ELb0ELb0EEEvllPKT_S7_PKT0_SA_PS5_SB_.kd
    .uniform_work_group_size: 1
    .uses_dynamic_stack: false
    .vgpr_count:     106
    .vgpr_spill_count: 0
    .wavefront_size: 64
  - .agpr_count:     0
    .args:
      - .actual_access:  read_only
        .address_space:  global
        .offset:         0
        .size:           8
        .value_kind:     global_buffer
      - .actual_access:  read_only
        .address_space:  global
        .offset:         8
        .size:           8
        .value_kind:     global_buffer
      - .offset:         16
        .size:           8
        .value_kind:     by_value
      - .offset:         24
        .size:           8
        .value_kind:     by_value
      - .actual_access:  read_only
        .address_space:  global
        .offset:         32
        .size:           8
        .value_kind:     global_buffer
      - .actual_access:  read_only
        .address_space:  global
        .offset:         40
        .size:           8
        .value_kind:     global_buffer
      - .address_space:  global
        .offset:         48
        .size:           8
        .value_kind:     global_buffer
      - .address_space:  global
        .offset:         56
        .size:           8
        .value_kind:     global_buffer
      - .offset:         64
        .size:           4
        .value_kind:     hidden_block_count_x
      - .offset:         68
        .size:           4
        .value_kind:     hidden_block_count_y
      - .offset:         72
        .size:           4
        .value_kind:     hidden_block_count_z
      - .offset:         76
        .size:           2
        .value_kind:     hidden_group_size_x
      - .offset:         78
        .size:           2
        .value_kind:     hidden_group_size_y
      - .offset:         80
        .size:           2
        .value_kind:     hidden_group_size_z
      - .offset:         82
        .size:           2
        .value_kind:     hidden_remainder_x
      - .offset:         84
        .size:           2
        .value_kind:     hidden_remainder_y
      - .offset:         86
        .size:           2
        .value_kind:     hidden_remainder_z
      - .offset:         104
        .size:           8
        .value_kind:     hidden_global_offset_x
      - .offset:         112
        .size:           8
        .value_kind:     hidden_global_offset_y
      - .offset:         120
        .size:           8
        .value_kind:     hidden_global_offset_z
      - .offset:         128
        .size:           2
        .value_kind:     hidden_grid_dims
      - .offset:         184
        .size:           4
        .value_kind:     hidden_dynamic_lds_size
    .group_segment_fixed_size: 0
    .kernarg_segment_align: 8
    .kernarg_segment_size: 320
    .language:       OpenCL C
    .language_version:
      - 2
      - 0
    .max_flat_workgroup_size: 1024
    .name:           _ZN2at6native12_GLOBAL__N_118cuComputeGradInputIddLb1EEEvPKT_S5_llPKT0_S8_S5_PS3_
    .private_segment_fixed_size: 0
    .sgpr_count:     54
    .sgpr_spill_count: 0
    .symbol:         _ZN2at6native12_GLOBAL__N_118cuComputeGradInputIddLb1EEEvPKT_S5_llPKT0_S8_S5_PS3_.kd
    .uniform_work_group_size: 1
    .uses_dynamic_stack: false
    .vgpr_count:     36
    .vgpr_spill_count: 0
    .wavefront_size: 64
  - .agpr_count:     0
    .args:
      - .actual_access:  read_only
        .address_space:  global
        .offset:         0
        .size:           8
        .value_kind:     global_buffer
      - .actual_access:  read_only
        .address_space:  global
        .offset:         8
        .size:           8
        .value_kind:     global_buffer
      - .actual_access:  read_only
        .address_space:  global
        .offset:         16
        .size:           8
        .value_kind:     global_buffer
      - .actual_access:  read_only
        .address_space:  global
        .offset:         24
        .size:           8
        .value_kind:     global_buffer
      - .actual_access:  read_only
        .address_space:  global
        .offset:         32
        .size:           8
        .value_kind:     global_buffer
      - .address_space:  global
        .offset:         40
        .size:           8
        .value_kind:     global_buffer
      - .offset:         48
        .size:           4
        .value_kind:     by_value
      - .offset:         56
        .size:           4
        .value_kind:     hidden_block_count_x
      - .offset:         60
        .size:           4
        .value_kind:     hidden_block_count_y
      - .offset:         64
        .size:           4
        .value_kind:     hidden_block_count_z
      - .offset:         68
        .size:           2
        .value_kind:     hidden_group_size_x
      - .offset:         70
        .size:           2
        .value_kind:     hidden_group_size_y
      - .offset:         72
        .size:           2
        .value_kind:     hidden_group_size_z
      - .offset:         74
        .size:           2
        .value_kind:     hidden_remainder_x
      - .offset:         76
        .size:           2
        .value_kind:     hidden_remainder_y
      - .offset:         78
        .size:           2
        .value_kind:     hidden_remainder_z
      - .offset:         96
        .size:           8
        .value_kind:     hidden_global_offset_x
      - .offset:         104
        .size:           8
        .value_kind:     hidden_global_offset_y
      - .offset:         112
        .size:           8
        .value_kind:     hidden_global_offset_z
      - .offset:         120
        .size:           2
        .value_kind:     hidden_grid_dims
      - .offset:         176
        .size:           4
        .value_kind:     hidden_dynamic_lds_size
    .group_segment_fixed_size: 0
    .kernarg_segment_align: 8
    .kernarg_segment_size: 312
    .language:       OpenCL C
    .language_version:
      - 2
      - 0
    .max_flat_workgroup_size: 1024
    .name:           _ZN2at6native12_GLOBAL__N_128layer_norm_grad_input_kernelIddLb1EEEvPKT_S5_PKT0_S8_S5_PS3_i
    .private_segment_fixed_size: 0
    .sgpr_count:     41
    .sgpr_spill_count: 0
    .symbol:         _ZN2at6native12_GLOBAL__N_128layer_norm_grad_input_kernelIddLb1EEEvPKT_S5_PKT0_S8_S5_PS3_i.kd
    .uniform_work_group_size: 1
    .uses_dynamic_stack: false
    .vgpr_count:     34
    .vgpr_spill_count: 0
    .wavefront_size: 64
  - .agpr_count:     0
    .args:
      - .offset:         0
        .size:           8
        .value_kind:     by_value
      - .offset:         8
        .size:           8
        .value_kind:     by_value
      - .address_space:  global
        .offset:         16
        .size:           8
        .value_kind:     global_buffer
      - .address_space:  global
        .offset:         24
        .size:           8
        .value_kind:     global_buffer
      - .address_space:  global
        .offset:         32
        .size:           8
        .value_kind:     global_buffer
      - .address_space:  global
        .offset:         40
        .size:           8
        .value_kind:     global_buffer
      - .address_space:  global
        .offset:         48
        .size:           8
        .value_kind:     global_buffer
      - .address_space:  global
        .offset:         56
        .size:           8
        .value_kind:     global_buffer
      - .offset:         64
        .size:           4
        .value_kind:     hidden_block_count_x
      - .offset:         68
        .size:           4
        .value_kind:     hidden_block_count_y
      - .offset:         72
        .size:           4
        .value_kind:     hidden_block_count_z
      - .offset:         76
        .size:           2
        .value_kind:     hidden_group_size_x
      - .offset:         78
        .size:           2
        .value_kind:     hidden_group_size_y
      - .offset:         80
        .size:           2
        .value_kind:     hidden_group_size_z
      - .offset:         82
        .size:           2
        .value_kind:     hidden_remainder_x
      - .offset:         84
        .size:           2
        .value_kind:     hidden_remainder_y
      - .offset:         86
        .size:           2
        .value_kind:     hidden_remainder_z
      - .offset:         104
        .size:           8
        .value_kind:     hidden_global_offset_x
      - .offset:         112
        .size:           8
        .value_kind:     hidden_global_offset_y
      - .offset:         120
        .size:           8
        .value_kind:     hidden_global_offset_z
      - .offset:         128
        .size:           2
        .value_kind:     hidden_grid_dims
    .group_segment_fixed_size: 0
    .kernarg_segment_align: 8
    .kernarg_segment_size: 320
    .language:       OpenCL C
    .language_version:
      - 2
      - 0
    .max_flat_workgroup_size: 1024
    .name:           _ZN2at6native12_GLOBAL__N_133GammaBetaBackwardSimpleCUDAKernelIddLb1EEEvllPKT_S5_PKT0_S8_PS3_S9_
    .private_segment_fixed_size: 0
    .sgpr_count:     22
    .sgpr_spill_count: 0
    .symbol:         _ZN2at6native12_GLOBAL__N_133GammaBetaBackwardSimpleCUDAKernelIddLb1EEEvllPKT_S5_PKT0_S8_PS3_S9_.kd
    .uniform_work_group_size: 1
    .uses_dynamic_stack: false
    .vgpr_count:     12
    .vgpr_spill_count: 0
    .wavefront_size: 64
  - .agpr_count:     0
    .args:
      - .offset:         0
        .size:           8
        .value_kind:     by_value
      - .offset:         8
        .size:           8
        .value_kind:     by_value
      - .actual_access:  read_only
        .address_space:  global
        .offset:         16
        .size:           8
        .value_kind:     global_buffer
      - .actual_access:  read_only
        .address_space:  global
        .offset:         24
        .size:           8
        .value_kind:     global_buffer
      - .actual_access:  read_only
        .address_space:  global
        .offset:         32
        .size:           8
        .value_kind:     global_buffer
      - .actual_access:  read_only
        .address_space:  global
        .offset:         40
        .size:           8
        .value_kind:     global_buffer
      - .actual_access:  write_only
        .address_space:  global
        .offset:         48
        .size:           8
        .value_kind:     global_buffer
      - .actual_access:  read_only
        .address_space:  global
        .offset:         56
        .size:           8
        .value_kind:     global_buffer
      - .offset:         64
        .size:           4
        .value_kind:     hidden_block_count_x
      - .offset:         68
        .size:           4
        .value_kind:     hidden_block_count_y
      - .offset:         72
        .size:           4
        .value_kind:     hidden_block_count_z
      - .offset:         76
        .size:           2
        .value_kind:     hidden_group_size_x
      - .offset:         78
        .size:           2
        .value_kind:     hidden_group_size_y
      - .offset:         80
        .size:           2
        .value_kind:     hidden_group_size_z
      - .offset:         82
        .size:           2
        .value_kind:     hidden_remainder_x
      - .offset:         84
        .size:           2
        .value_kind:     hidden_remainder_y
      - .offset:         86
        .size:           2
        .value_kind:     hidden_remainder_z
      - .offset:         104
        .size:           8
        .value_kind:     hidden_global_offset_x
      - .offset:         112
        .size:           8
        .value_kind:     hidden_global_offset_y
      - .offset:         120
        .size:           8
        .value_kind:     hidden_global_offset_z
      - .offset:         128
        .size:           2
        .value_kind:     hidden_grid_dims
    .group_segment_fixed_size: 0
    .kernarg_segment_align: 8
    .kernarg_segment_size: 320
    .language:       OpenCL C
    .language_version:
      - 2
      - 0
    .max_flat_workgroup_size: 64
    .name:           _ZN2at6native12_GLOBAL__N_135GammaBetaBackwardCUDAKernelTemplateIddLj64ELj1ELj32ELb1ELb1ELb1EEEvllPKT_S5_PKT0_S8_PS3_S9_
    .private_segment_fixed_size: 0
    .sgpr_count:     38
    .sgpr_spill_count: 0
    .symbol:         _ZN2at6native12_GLOBAL__N_135GammaBetaBackwardCUDAKernelTemplateIddLj64ELj1ELj32ELb1ELb1ELb1EEEvllPKT_S5_PKT0_S8_PS3_S9_.kd
    .uniform_work_group_size: 1
    .uses_dynamic_stack: false
    .vgpr_count:     56
    .vgpr_spill_count: 0
    .wavefront_size: 64
  - .agpr_count:     144
    .args:
      - .offset:         0
        .size:           8
        .value_kind:     by_value
      - .offset:         8
        .size:           8
        .value_kind:     by_value
      - .actual_access:  read_only
        .address_space:  global
        .offset:         16
        .size:           8
        .value_kind:     global_buffer
      - .actual_access:  read_only
        .address_space:  global
        .offset:         24
        .size:           8
        .value_kind:     global_buffer
      - .actual_access:  read_only
        .address_space:  global
        .offset:         32
        .size:           8
        .value_kind:     global_buffer
      - .actual_access:  read_only
        .address_space:  global
        .offset:         40
        .size:           8
        .value_kind:     global_buffer
      - .actual_access:  write_only
        .address_space:  global
        .offset:         48
        .size:           8
        .value_kind:     global_buffer
      - .actual_access:  read_only
        .address_space:  global
        .offset:         56
        .size:           8
        .value_kind:     global_buffer
      - .offset:         64
        .size:           4
        .value_kind:     hidden_block_count_x
      - .offset:         68
        .size:           4
        .value_kind:     hidden_block_count_y
      - .offset:         72
        .size:           4
        .value_kind:     hidden_block_count_z
      - .offset:         76
        .size:           2
        .value_kind:     hidden_group_size_x
      - .offset:         78
        .size:           2
        .value_kind:     hidden_group_size_y
      - .offset:         80
        .size:           2
        .value_kind:     hidden_group_size_z
      - .offset:         82
        .size:           2
        .value_kind:     hidden_remainder_x
      - .offset:         84
        .size:           2
        .value_kind:     hidden_remainder_y
      - .offset:         86
        .size:           2
        .value_kind:     hidden_remainder_z
      - .offset:         104
        .size:           8
        .value_kind:     hidden_global_offset_x
      - .offset:         112
        .size:           8
        .value_kind:     hidden_global_offset_y
      - .offset:         120
        .size:           8
        .value_kind:     hidden_global_offset_z
      - .offset:         128
        .size:           2
        .value_kind:     hidden_grid_dims
    .group_segment_fixed_size: 0
    .kernarg_segment_align: 8
    .kernarg_segment_size: 320
    .language:       OpenCL C
    .language_version:
      - 2
      - 0
    .max_flat_workgroup_size: 64
    .name:           _ZN2at6native12_GLOBAL__N_135GammaBetaBackwardCUDAKernelTemplateIddLj64ELj1ELj32ELb1ELb0ELb1EEEvllPKT_S5_PKT0_S8_PS3_S9_
    .private_segment_fixed_size: 0
    .sgpr_count:     44
    .sgpr_spill_count: 0
    .symbol:         _ZN2at6native12_GLOBAL__N_135GammaBetaBackwardCUDAKernelTemplateIddLj64ELj1ELj32ELb1ELb0ELb1EEEvllPKT_S5_PKT0_S8_PS3_S9_.kd
    .uniform_work_group_size: 1
    .uses_dynamic_stack: false
    .vgpr_count:     400
    .vgpr_spill_count: 0
    .wavefront_size: 64
  - .agpr_count:     0
    .args:
      - .offset:         0
        .size:           8
        .value_kind:     by_value
      - .offset:         8
        .size:           8
        .value_kind:     by_value
      - .actual_access:  read_only
        .address_space:  global
        .offset:         16
        .size:           8
        .value_kind:     global_buffer
      - .actual_access:  read_only
        .address_space:  global
        .offset:         24
        .size:           8
        .value_kind:     global_buffer
      - .actual_access:  read_only
        .address_space:  global
        .offset:         32
        .size:           8
        .value_kind:     global_buffer
      - .actual_access:  read_only
        .address_space:  global
        .offset:         40
        .size:           8
        .value_kind:     global_buffer
      - .actual_access:  write_only
        .address_space:  global
        .offset:         48
        .size:           8
        .value_kind:     global_buffer
      - .actual_access:  read_only
        .address_space:  global
        .offset:         56
        .size:           8
        .value_kind:     global_buffer
      - .offset:         64
        .size:           4
        .value_kind:     hidden_block_count_x
      - .offset:         68
        .size:           4
        .value_kind:     hidden_block_count_y
      - .offset:         72
        .size:           4
        .value_kind:     hidden_block_count_z
      - .offset:         76
        .size:           2
        .value_kind:     hidden_group_size_x
      - .offset:         78
        .size:           2
        .value_kind:     hidden_group_size_y
      - .offset:         80
        .size:           2
        .value_kind:     hidden_group_size_z
      - .offset:         82
        .size:           2
        .value_kind:     hidden_remainder_x
      - .offset:         84
        .size:           2
        .value_kind:     hidden_remainder_y
      - .offset:         86
        .size:           2
        .value_kind:     hidden_remainder_z
      - .offset:         104
        .size:           8
        .value_kind:     hidden_global_offset_x
      - .offset:         112
        .size:           8
        .value_kind:     hidden_global_offset_y
      - .offset:         120
        .size:           8
        .value_kind:     hidden_global_offset_z
      - .offset:         128
        .size:           2
        .value_kind:     hidden_grid_dims
    .group_segment_fixed_size: 0
    .kernarg_segment_align: 8
    .kernarg_segment_size: 320
    .language:       OpenCL C
    .language_version:
      - 2
      - 0
    .max_flat_workgroup_size: 64
    .name:           _ZN2at6native12_GLOBAL__N_135GammaBetaBackwardCUDAKernelTemplateIddLj64ELj1ELj8ELb1ELb1ELb1EEEvllPKT_S5_PKT0_S8_PS3_S9_
    .private_segment_fixed_size: 0
    .sgpr_count:     38
    .sgpr_spill_count: 0
    .symbol:         _ZN2at6native12_GLOBAL__N_135GammaBetaBackwardCUDAKernelTemplateIddLj64ELj1ELj8ELb1ELb1ELb1EEEvllPKT_S5_PKT0_S8_PS3_S9_.kd
    .uniform_work_group_size: 1
    .uses_dynamic_stack: false
    .vgpr_count:     58
    .vgpr_spill_count: 0
    .wavefront_size: 64
  - .agpr_count:     0
    .args:
      - .offset:         0
        .size:           8
        .value_kind:     by_value
      - .offset:         8
        .size:           8
        .value_kind:     by_value
      - .actual_access:  read_only
        .address_space:  global
        .offset:         16
        .size:           8
        .value_kind:     global_buffer
      - .actual_access:  read_only
        .address_space:  global
        .offset:         24
        .size:           8
        .value_kind:     global_buffer
      - .actual_access:  read_only
        .address_space:  global
        .offset:         32
        .size:           8
        .value_kind:     global_buffer
      - .actual_access:  read_only
        .address_space:  global
        .offset:         40
        .size:           8
        .value_kind:     global_buffer
      - .actual_access:  write_only
        .address_space:  global
        .offset:         48
        .size:           8
        .value_kind:     global_buffer
      - .actual_access:  read_only
        .address_space:  global
        .offset:         56
        .size:           8
        .value_kind:     global_buffer
      - .offset:         64
        .size:           4
        .value_kind:     hidden_block_count_x
      - .offset:         68
        .size:           4
        .value_kind:     hidden_block_count_y
      - .offset:         72
        .size:           4
        .value_kind:     hidden_block_count_z
      - .offset:         76
        .size:           2
        .value_kind:     hidden_group_size_x
      - .offset:         78
        .size:           2
        .value_kind:     hidden_group_size_y
      - .offset:         80
        .size:           2
        .value_kind:     hidden_group_size_z
      - .offset:         82
        .size:           2
        .value_kind:     hidden_remainder_x
      - .offset:         84
        .size:           2
        .value_kind:     hidden_remainder_y
      - .offset:         86
        .size:           2
        .value_kind:     hidden_remainder_z
      - .offset:         104
        .size:           8
        .value_kind:     hidden_global_offset_x
      - .offset:         112
        .size:           8
        .value_kind:     hidden_global_offset_y
      - .offset:         120
        .size:           8
        .value_kind:     hidden_global_offset_z
      - .offset:         128
        .size:           2
        .value_kind:     hidden_grid_dims
    .group_segment_fixed_size: 0
    .kernarg_segment_align: 8
    .kernarg_segment_size: 320
    .language:       OpenCL C
    .language_version:
      - 2
      - 0
    .max_flat_workgroup_size: 64
    .name:           _ZN2at6native12_GLOBAL__N_135GammaBetaBackwardCUDAKernelTemplateIddLj64ELj1ELj8ELb1ELb0ELb1EEEvllPKT_S5_PKT0_S8_PS3_S9_
    .private_segment_fixed_size: 0
    .sgpr_count:     58
    .sgpr_spill_count: 0
    .symbol:         _ZN2at6native12_GLOBAL__N_135GammaBetaBackwardCUDAKernelTemplateIddLj64ELj1ELj8ELb1ELb0ELb1EEEvllPKT_S5_PKT0_S8_PS3_S9_.kd
    .uniform_work_group_size: 1
    .uses_dynamic_stack: false
    .vgpr_count:     122
    .vgpr_spill_count: 0
    .wavefront_size: 64
  - .agpr_count:     0
    .args:
      - .offset:         0
        .size:           8
        .value_kind:     by_value
      - .offset:         8
        .size:           8
        .value_kind:     by_value
      - .actual_access:  read_only
        .address_space:  global
        .offset:         16
        .size:           8
        .value_kind:     global_buffer
      - .actual_access:  read_only
        .address_space:  global
        .offset:         24
        .size:           8
        .value_kind:     global_buffer
      - .actual_access:  read_only
        .address_space:  global
        .offset:         32
        .size:           8
        .value_kind:     global_buffer
      - .actual_access:  read_only
        .address_space:  global
        .offset:         40
        .size:           8
        .value_kind:     global_buffer
      - .actual_access:  write_only
        .address_space:  global
        .offset:         48
        .size:           8
        .value_kind:     global_buffer
      - .actual_access:  read_only
        .address_space:  global
        .offset:         56
        .size:           8
        .value_kind:     global_buffer
      - .offset:         64
        .size:           4
        .value_kind:     hidden_block_count_x
      - .offset:         68
        .size:           4
        .value_kind:     hidden_block_count_y
      - .offset:         72
        .size:           4
        .value_kind:     hidden_block_count_z
      - .offset:         76
        .size:           2
        .value_kind:     hidden_group_size_x
      - .offset:         78
        .size:           2
        .value_kind:     hidden_group_size_y
      - .offset:         80
        .size:           2
        .value_kind:     hidden_group_size_z
      - .offset:         82
        .size:           2
        .value_kind:     hidden_remainder_x
      - .offset:         84
        .size:           2
        .value_kind:     hidden_remainder_y
      - .offset:         86
        .size:           2
        .value_kind:     hidden_remainder_z
      - .offset:         104
        .size:           8
        .value_kind:     hidden_global_offset_x
      - .offset:         112
        .size:           8
        .value_kind:     hidden_global_offset_y
      - .offset:         120
        .size:           8
        .value_kind:     hidden_global_offset_z
      - .offset:         128
        .size:           2
        .value_kind:     hidden_grid_dims
      - .offset:         184
        .size:           4
        .value_kind:     hidden_dynamic_lds_size
    .group_segment_fixed_size: 0
    .kernarg_segment_align: 8
    .kernarg_segment_size: 320
    .language:       OpenCL C
    .language_version:
      - 2
      - 0
    .max_flat_workgroup_size: 512
    .name:           _ZN2at6native12_GLOBAL__N_135GammaBetaBackwardCUDAKernelTemplateIddLj64ELj8ELj64ELb0ELb1ELb1EEEvllPKT_S5_PKT0_S8_PS3_S9_
    .private_segment_fixed_size: 0
    .sgpr_count:     32
    .sgpr_spill_count: 0
    .symbol:         _ZN2at6native12_GLOBAL__N_135GammaBetaBackwardCUDAKernelTemplateIddLj64ELj8ELj64ELb0ELb1ELb1EEEvllPKT_S5_PKT0_S8_PS3_S9_.kd
    .uniform_work_group_size: 1
    .uses_dynamic_stack: false
    .vgpr_count:     60
    .vgpr_spill_count: 0
    .wavefront_size: 64
  - .agpr_count:     0
    .args:
      - .offset:         0
        .size:           8
        .value_kind:     by_value
      - .offset:         8
        .size:           8
        .value_kind:     by_value
      - .actual_access:  read_only
        .address_space:  global
        .offset:         16
        .size:           8
        .value_kind:     global_buffer
      - .actual_access:  read_only
        .address_space:  global
        .offset:         24
        .size:           8
        .value_kind:     global_buffer
      - .actual_access:  read_only
        .address_space:  global
        .offset:         32
        .size:           8
        .value_kind:     global_buffer
      - .actual_access:  read_only
        .address_space:  global
        .offset:         40
        .size:           8
        .value_kind:     global_buffer
      - .actual_access:  write_only
        .address_space:  global
        .offset:         48
        .size:           8
        .value_kind:     global_buffer
      - .actual_access:  read_only
        .address_space:  global
        .offset:         56
        .size:           8
        .value_kind:     global_buffer
      - .offset:         64
        .size:           4
        .value_kind:     hidden_block_count_x
      - .offset:         68
        .size:           4
        .value_kind:     hidden_block_count_y
      - .offset:         72
        .size:           4
        .value_kind:     hidden_block_count_z
      - .offset:         76
        .size:           2
        .value_kind:     hidden_group_size_x
      - .offset:         78
        .size:           2
        .value_kind:     hidden_group_size_y
      - .offset:         80
        .size:           2
        .value_kind:     hidden_group_size_z
      - .offset:         82
        .size:           2
        .value_kind:     hidden_remainder_x
      - .offset:         84
        .size:           2
        .value_kind:     hidden_remainder_y
      - .offset:         86
        .size:           2
        .value_kind:     hidden_remainder_z
      - .offset:         104
        .size:           8
        .value_kind:     hidden_global_offset_x
      - .offset:         112
        .size:           8
        .value_kind:     hidden_global_offset_y
      - .offset:         120
        .size:           8
        .value_kind:     hidden_global_offset_z
      - .offset:         128
        .size:           2
        .value_kind:     hidden_grid_dims
      - .offset:         184
        .size:           4
        .value_kind:     hidden_dynamic_lds_size
    .group_segment_fixed_size: 0
    .kernarg_segment_align: 8
    .kernarg_segment_size: 320
    .language:       OpenCL C
    .language_version:
      - 2
      - 0
    .max_flat_workgroup_size: 512
    .name:           _ZN2at6native12_GLOBAL__N_135GammaBetaBackwardCUDAKernelTemplateIddLj64ELj8ELj64ELb0ELb0ELb1EEEvllPKT_S5_PKT0_S8_PS3_S9_
    .private_segment_fixed_size: 0
    .sgpr_count:     70
    .sgpr_spill_count: 0
    .symbol:         _ZN2at6native12_GLOBAL__N_135GammaBetaBackwardCUDAKernelTemplateIddLj64ELj8ELj64ELb0ELb0ELb1EEEvllPKT_S5_PKT0_S8_PS3_S9_.kd
    .uniform_work_group_size: 1
    .uses_dynamic_stack: false
    .vgpr_count:     122
    .vgpr_spill_count: 0
    .wavefront_size: 64
  - .agpr_count:     0
    .args:
      - .offset:         0
        .size:           8
        .value_kind:     by_value
      - .offset:         8
        .size:           8
        .value_kind:     by_value
      - .actual_access:  read_only
        .address_space:  global
        .offset:         16
        .size:           8
        .value_kind:     global_buffer
      - .actual_access:  read_only
        .address_space:  global
        .offset:         24
        .size:           8
        .value_kind:     global_buffer
      - .actual_access:  read_only
        .address_space:  global
        .offset:         32
        .size:           8
        .value_kind:     global_buffer
      - .actual_access:  read_only
        .address_space:  global
        .offset:         40
        .size:           8
        .value_kind:     global_buffer
      - .actual_access:  write_only
        .address_space:  global
        .offset:         48
        .size:           8
        .value_kind:     global_buffer
      - .actual_access:  read_only
        .address_space:  global
        .offset:         56
        .size:           8
        .value_kind:     global_buffer
      - .offset:         64
        .size:           4
        .value_kind:     hidden_block_count_x
      - .offset:         68
        .size:           4
        .value_kind:     hidden_block_count_y
      - .offset:         72
        .size:           4
        .value_kind:     hidden_block_count_z
      - .offset:         76
        .size:           2
        .value_kind:     hidden_group_size_x
      - .offset:         78
        .size:           2
        .value_kind:     hidden_group_size_y
      - .offset:         80
        .size:           2
        .value_kind:     hidden_group_size_z
      - .offset:         82
        .size:           2
        .value_kind:     hidden_remainder_x
      - .offset:         84
        .size:           2
        .value_kind:     hidden_remainder_y
      - .offset:         86
        .size:           2
        .value_kind:     hidden_remainder_z
      - .offset:         104
        .size:           8
        .value_kind:     hidden_global_offset_x
      - .offset:         112
        .size:           8
        .value_kind:     hidden_global_offset_y
      - .offset:         120
        .size:           8
        .value_kind:     hidden_global_offset_z
      - .offset:         128
        .size:           2
        .value_kind:     hidden_grid_dims
      - .offset:         184
        .size:           4
        .value_kind:     hidden_dynamic_lds_size
    .group_segment_fixed_size: 0
    .kernarg_segment_align: 8
    .kernarg_segment_size: 320
    .language:       OpenCL C
    .language_version:
      - 2
      - 0
    .max_flat_workgroup_size: 1024
    .name:           _ZN2at6native12_GLOBAL__N_135GammaBetaBackwardCUDAKernelTemplateIddLj64ELj16ELj128ELb0ELb1ELb1EEEvllPKT_S5_PKT0_S8_PS3_S9_
    .private_segment_fixed_size: 0
    .sgpr_count:     32
    .sgpr_spill_count: 0
    .symbol:         _ZN2at6native12_GLOBAL__N_135GammaBetaBackwardCUDAKernelTemplateIddLj64ELj16ELj128ELb0ELb1ELb1EEEvllPKT_S5_PKT0_S8_PS3_S9_.kd
    .uniform_work_group_size: 1
    .uses_dynamic_stack: false
    .vgpr_count:     60
    .vgpr_spill_count: 0
    .wavefront_size: 64
  - .agpr_count:     0
    .args:
      - .offset:         0
        .size:           8
        .value_kind:     by_value
      - .offset:         8
        .size:           8
        .value_kind:     by_value
      - .actual_access:  read_only
        .address_space:  global
        .offset:         16
        .size:           8
        .value_kind:     global_buffer
      - .actual_access:  read_only
        .address_space:  global
        .offset:         24
        .size:           8
        .value_kind:     global_buffer
      - .actual_access:  read_only
        .address_space:  global
        .offset:         32
        .size:           8
        .value_kind:     global_buffer
      - .actual_access:  read_only
        .address_space:  global
        .offset:         40
        .size:           8
        .value_kind:     global_buffer
      - .actual_access:  write_only
        .address_space:  global
        .offset:         48
        .size:           8
        .value_kind:     global_buffer
      - .actual_access:  read_only
        .address_space:  global
        .offset:         56
        .size:           8
        .value_kind:     global_buffer
      - .offset:         64
        .size:           4
        .value_kind:     hidden_block_count_x
      - .offset:         68
        .size:           4
        .value_kind:     hidden_block_count_y
      - .offset:         72
        .size:           4
        .value_kind:     hidden_block_count_z
      - .offset:         76
        .size:           2
        .value_kind:     hidden_group_size_x
      - .offset:         78
        .size:           2
        .value_kind:     hidden_group_size_y
      - .offset:         80
        .size:           2
        .value_kind:     hidden_group_size_z
      - .offset:         82
        .size:           2
        .value_kind:     hidden_remainder_x
      - .offset:         84
        .size:           2
        .value_kind:     hidden_remainder_y
      - .offset:         86
        .size:           2
        .value_kind:     hidden_remainder_z
      - .offset:         104
        .size:           8
        .value_kind:     hidden_global_offset_x
      - .offset:         112
        .size:           8
        .value_kind:     hidden_global_offset_y
      - .offset:         120
        .size:           8
        .value_kind:     hidden_global_offset_z
      - .offset:         128
        .size:           2
        .value_kind:     hidden_grid_dims
      - .offset:         184
        .size:           4
        .value_kind:     hidden_dynamic_lds_size
    .group_segment_fixed_size: 0
    .kernarg_segment_align: 8
    .kernarg_segment_size: 320
    .language:       OpenCL C
    .language_version:
      - 2
      - 0
    .max_flat_workgroup_size: 1024
    .name:           _ZN2at6native12_GLOBAL__N_135GammaBetaBackwardCUDAKernelTemplateIddLj64ELj16ELj128ELb0ELb0ELb1EEEvllPKT_S5_PKT0_S8_PS3_S9_
    .private_segment_fixed_size: 0
    .sgpr_count:     70
    .sgpr_spill_count: 0
    .symbol:         _ZN2at6native12_GLOBAL__N_135GammaBetaBackwardCUDAKernelTemplateIddLj64ELj16ELj128ELb0ELb0ELb1EEEvllPKT_S5_PKT0_S8_PS3_S9_.kd
    .uniform_work_group_size: 1
    .uses_dynamic_stack: false
    .vgpr_count:     122
    .vgpr_spill_count: 0
    .wavefront_size: 64
  - .agpr_count:     0
    .args:
      - .offset:         0
        .size:           8
        .value_kind:     by_value
      - .offset:         8
        .size:           8
        .value_kind:     by_value
      - .actual_access:  read_only
        .address_space:  global
        .offset:         16
        .size:           8
        .value_kind:     global_buffer
      - .actual_access:  read_only
        .address_space:  global
        .offset:         24
        .size:           8
        .value_kind:     global_buffer
      - .actual_access:  read_only
        .address_space:  global
        .offset:         32
        .size:           8
        .value_kind:     global_buffer
      - .actual_access:  read_only
        .address_space:  global
        .offset:         40
        .size:           8
        .value_kind:     global_buffer
      - .actual_access:  write_only
        .address_space:  global
        .offset:         48
        .size:           8
        .value_kind:     global_buffer
      - .actual_access:  read_only
        .address_space:  global
        .offset:         56
        .size:           8
        .value_kind:     global_buffer
      - .offset:         64
        .size:           4
        .value_kind:     hidden_block_count_x
      - .offset:         68
        .size:           4
        .value_kind:     hidden_block_count_y
      - .offset:         72
        .size:           4
        .value_kind:     hidden_block_count_z
      - .offset:         76
        .size:           2
        .value_kind:     hidden_group_size_x
      - .offset:         78
        .size:           2
        .value_kind:     hidden_group_size_y
      - .offset:         80
        .size:           2
        .value_kind:     hidden_group_size_z
      - .offset:         82
        .size:           2
        .value_kind:     hidden_remainder_x
      - .offset:         84
        .size:           2
        .value_kind:     hidden_remainder_y
      - .offset:         86
        .size:           2
        .value_kind:     hidden_remainder_z
      - .offset:         104
        .size:           8
        .value_kind:     hidden_global_offset_x
      - .offset:         112
        .size:           8
        .value_kind:     hidden_global_offset_y
      - .offset:         120
        .size:           8
        .value_kind:     hidden_global_offset_z
      - .offset:         128
        .size:           2
        .value_kind:     hidden_grid_dims
      - .offset:         184
        .size:           4
        .value_kind:     hidden_dynamic_lds_size
    .group_segment_fixed_size: 0
    .kernarg_segment_align: 8
    .kernarg_segment_size: 320
    .language:       OpenCL C
    .language_version:
      - 2
      - 0
    .max_flat_workgroup_size: 1024
    .name:           _ZN2at6native12_GLOBAL__N_135GammaBetaBackwardCUDAKernelTemplateIddLj64ELj16ELj256ELb0ELb1ELb1EEEvllPKT_S5_PKT0_S8_PS3_S9_
    .private_segment_fixed_size: 0
    .sgpr_count:     32
    .sgpr_spill_count: 0
    .symbol:         _ZN2at6native12_GLOBAL__N_135GammaBetaBackwardCUDAKernelTemplateIddLj64ELj16ELj256ELb0ELb1ELb1EEEvllPKT_S5_PKT0_S8_PS3_S9_.kd
    .uniform_work_group_size: 1
    .uses_dynamic_stack: false
    .vgpr_count:     58
    .vgpr_spill_count: 0
    .wavefront_size: 64
  - .agpr_count:     0
    .args:
      - .offset:         0
        .size:           8
        .value_kind:     by_value
      - .offset:         8
        .size:           8
        .value_kind:     by_value
      - .actual_access:  read_only
        .address_space:  global
        .offset:         16
        .size:           8
        .value_kind:     global_buffer
      - .actual_access:  read_only
        .address_space:  global
        .offset:         24
        .size:           8
        .value_kind:     global_buffer
      - .actual_access:  read_only
        .address_space:  global
        .offset:         32
        .size:           8
        .value_kind:     global_buffer
      - .actual_access:  read_only
        .address_space:  global
        .offset:         40
        .size:           8
        .value_kind:     global_buffer
      - .actual_access:  write_only
        .address_space:  global
        .offset:         48
        .size:           8
        .value_kind:     global_buffer
      - .actual_access:  read_only
        .address_space:  global
        .offset:         56
        .size:           8
        .value_kind:     global_buffer
      - .offset:         64
        .size:           4
        .value_kind:     hidden_block_count_x
      - .offset:         68
        .size:           4
        .value_kind:     hidden_block_count_y
      - .offset:         72
        .size:           4
        .value_kind:     hidden_block_count_z
      - .offset:         76
        .size:           2
        .value_kind:     hidden_group_size_x
      - .offset:         78
        .size:           2
        .value_kind:     hidden_group_size_y
      - .offset:         80
        .size:           2
        .value_kind:     hidden_group_size_z
      - .offset:         82
        .size:           2
        .value_kind:     hidden_remainder_x
      - .offset:         84
        .size:           2
        .value_kind:     hidden_remainder_y
      - .offset:         86
        .size:           2
        .value_kind:     hidden_remainder_z
      - .offset:         104
        .size:           8
        .value_kind:     hidden_global_offset_x
      - .offset:         112
        .size:           8
        .value_kind:     hidden_global_offset_y
      - .offset:         120
        .size:           8
        .value_kind:     hidden_global_offset_z
      - .offset:         128
        .size:           2
        .value_kind:     hidden_grid_dims
      - .offset:         184
        .size:           4
        .value_kind:     hidden_dynamic_lds_size
    .group_segment_fixed_size: 0
    .kernarg_segment_align: 8
    .kernarg_segment_size: 320
    .language:       OpenCL C
    .language_version:
      - 2
      - 0
    .max_flat_workgroup_size: 1024
    .name:           _ZN2at6native12_GLOBAL__N_135GammaBetaBackwardCUDAKernelTemplateIddLj64ELj16ELj256ELb0ELb0ELb1EEEvllPKT_S5_PKT0_S8_PS3_S9_
    .private_segment_fixed_size: 324
    .sgpr_count:     102
    .sgpr_spill_count: 0
    .symbol:         _ZN2at6native12_GLOBAL__N_135GammaBetaBackwardCUDAKernelTemplateIddLj64ELj16ELj256ELb0ELb0ELb1EEEvllPKT_S5_PKT0_S8_PS3_S9_.kd
    .uniform_work_group_size: 1
    .uses_dynamic_stack: false
    .vgpr_count:     128
    .vgpr_spill_count: 190
    .wavefront_size: 64
  - .agpr_count:     0
    .args:
      - .offset:         0
        .size:           8
        .value_kind:     by_value
      - .offset:         8
        .size:           8
        .value_kind:     by_value
      - .actual_access:  read_only
        .address_space:  global
        .offset:         16
        .size:           8
        .value_kind:     global_buffer
      - .actual_access:  read_only
        .address_space:  global
        .offset:         24
        .size:           8
        .value_kind:     global_buffer
      - .actual_access:  read_only
        .address_space:  global
        .offset:         32
        .size:           8
        .value_kind:     global_buffer
      - .actual_access:  read_only
        .address_space:  global
        .offset:         40
        .size:           8
        .value_kind:     global_buffer
      - .actual_access:  write_only
        .address_space:  global
        .offset:         48
        .size:           8
        .value_kind:     global_buffer
      - .actual_access:  read_only
        .address_space:  global
        .offset:         56
        .size:           8
        .value_kind:     global_buffer
      - .offset:         64
        .size:           4
        .value_kind:     hidden_block_count_x
      - .offset:         68
        .size:           4
        .value_kind:     hidden_block_count_y
      - .offset:         72
        .size:           4
        .value_kind:     hidden_block_count_z
      - .offset:         76
        .size:           2
        .value_kind:     hidden_group_size_x
      - .offset:         78
        .size:           2
        .value_kind:     hidden_group_size_y
      - .offset:         80
        .size:           2
        .value_kind:     hidden_group_size_z
      - .offset:         82
        .size:           2
        .value_kind:     hidden_remainder_x
      - .offset:         84
        .size:           2
        .value_kind:     hidden_remainder_y
      - .offset:         86
        .size:           2
        .value_kind:     hidden_remainder_z
      - .offset:         104
        .size:           8
        .value_kind:     hidden_global_offset_x
      - .offset:         112
        .size:           8
        .value_kind:     hidden_global_offset_y
      - .offset:         120
        .size:           8
        .value_kind:     hidden_global_offset_z
      - .offset:         128
        .size:           2
        .value_kind:     hidden_grid_dims
    .group_segment_fixed_size: 0
    .kernarg_segment_align: 8
    .kernarg_segment_size: 320
    .language:       OpenCL C
    .language_version:
      - 2
      - 0
    .max_flat_workgroup_size: 32
    .name:           _ZN2at6native12_GLOBAL__N_135GammaBetaBackwardCUDAKernelTemplateIddLj32ELj1ELj32ELb1ELb1ELb1EEEvllPKT_S5_PKT0_S8_PS3_S9_
    .private_segment_fixed_size: 0
    .sgpr_count:     38
    .sgpr_spill_count: 0
    .symbol:         _ZN2at6native12_GLOBAL__N_135GammaBetaBackwardCUDAKernelTemplateIddLj32ELj1ELj32ELb1ELb1ELb1EEEvllPKT_S5_PKT0_S8_PS3_S9_.kd
    .uniform_work_group_size: 1
    .uses_dynamic_stack: false
    .vgpr_count:     56
    .vgpr_spill_count: 0
    .wavefront_size: 64
  - .agpr_count:     144
    .args:
      - .offset:         0
        .size:           8
        .value_kind:     by_value
      - .offset:         8
        .size:           8
        .value_kind:     by_value
      - .actual_access:  read_only
        .address_space:  global
        .offset:         16
        .size:           8
        .value_kind:     global_buffer
      - .actual_access:  read_only
        .address_space:  global
        .offset:         24
        .size:           8
        .value_kind:     global_buffer
      - .actual_access:  read_only
        .address_space:  global
        .offset:         32
        .size:           8
        .value_kind:     global_buffer
      - .actual_access:  read_only
        .address_space:  global
        .offset:         40
        .size:           8
        .value_kind:     global_buffer
      - .actual_access:  write_only
        .address_space:  global
        .offset:         48
        .size:           8
        .value_kind:     global_buffer
      - .actual_access:  read_only
        .address_space:  global
        .offset:         56
        .size:           8
        .value_kind:     global_buffer
      - .offset:         64
        .size:           4
        .value_kind:     hidden_block_count_x
      - .offset:         68
        .size:           4
        .value_kind:     hidden_block_count_y
      - .offset:         72
        .size:           4
        .value_kind:     hidden_block_count_z
      - .offset:         76
        .size:           2
        .value_kind:     hidden_group_size_x
      - .offset:         78
        .size:           2
        .value_kind:     hidden_group_size_y
      - .offset:         80
        .size:           2
        .value_kind:     hidden_group_size_z
      - .offset:         82
        .size:           2
        .value_kind:     hidden_remainder_x
      - .offset:         84
        .size:           2
        .value_kind:     hidden_remainder_y
      - .offset:         86
        .size:           2
        .value_kind:     hidden_remainder_z
      - .offset:         104
        .size:           8
        .value_kind:     hidden_global_offset_x
      - .offset:         112
        .size:           8
        .value_kind:     hidden_global_offset_y
      - .offset:         120
        .size:           8
        .value_kind:     hidden_global_offset_z
      - .offset:         128
        .size:           2
        .value_kind:     hidden_grid_dims
    .group_segment_fixed_size: 0
    .kernarg_segment_align: 8
    .kernarg_segment_size: 320
    .language:       OpenCL C
    .language_version:
      - 2
      - 0
    .max_flat_workgroup_size: 32
    .name:           _ZN2at6native12_GLOBAL__N_135GammaBetaBackwardCUDAKernelTemplateIddLj32ELj1ELj32ELb1ELb0ELb1EEEvllPKT_S5_PKT0_S8_PS3_S9_
    .private_segment_fixed_size: 0
    .sgpr_count:     44
    .sgpr_spill_count: 0
    .symbol:         _ZN2at6native12_GLOBAL__N_135GammaBetaBackwardCUDAKernelTemplateIddLj32ELj1ELj32ELb1ELb0ELb1EEEvllPKT_S5_PKT0_S8_PS3_S9_.kd
    .uniform_work_group_size: 1
    .uses_dynamic_stack: false
    .vgpr_count:     400
    .vgpr_spill_count: 0
    .wavefront_size: 64
  - .agpr_count:     0
    .args:
      - .offset:         0
        .size:           8
        .value_kind:     by_value
      - .offset:         8
        .size:           8
        .value_kind:     by_value
      - .actual_access:  read_only
        .address_space:  global
        .offset:         16
        .size:           8
        .value_kind:     global_buffer
      - .actual_access:  read_only
        .address_space:  global
        .offset:         24
        .size:           8
        .value_kind:     global_buffer
      - .actual_access:  read_only
        .address_space:  global
        .offset:         32
        .size:           8
        .value_kind:     global_buffer
      - .actual_access:  read_only
        .address_space:  global
        .offset:         40
        .size:           8
        .value_kind:     global_buffer
      - .actual_access:  write_only
        .address_space:  global
        .offset:         48
        .size:           8
        .value_kind:     global_buffer
      - .actual_access:  read_only
        .address_space:  global
        .offset:         56
        .size:           8
        .value_kind:     global_buffer
      - .offset:         64
        .size:           4
        .value_kind:     hidden_block_count_x
      - .offset:         68
        .size:           4
        .value_kind:     hidden_block_count_y
      - .offset:         72
        .size:           4
        .value_kind:     hidden_block_count_z
      - .offset:         76
        .size:           2
        .value_kind:     hidden_group_size_x
      - .offset:         78
        .size:           2
        .value_kind:     hidden_group_size_y
      - .offset:         80
        .size:           2
        .value_kind:     hidden_group_size_z
      - .offset:         82
        .size:           2
        .value_kind:     hidden_remainder_x
      - .offset:         84
        .size:           2
        .value_kind:     hidden_remainder_y
      - .offset:         86
        .size:           2
        .value_kind:     hidden_remainder_z
      - .offset:         104
        .size:           8
        .value_kind:     hidden_global_offset_x
      - .offset:         112
        .size:           8
        .value_kind:     hidden_global_offset_y
      - .offset:         120
        .size:           8
        .value_kind:     hidden_global_offset_z
      - .offset:         128
        .size:           2
        .value_kind:     hidden_grid_dims
    .group_segment_fixed_size: 0
    .kernarg_segment_align: 8
    .kernarg_segment_size: 320
    .language:       OpenCL C
    .language_version:
      - 2
      - 0
    .max_flat_workgroup_size: 32
    .name:           _ZN2at6native12_GLOBAL__N_135GammaBetaBackwardCUDAKernelTemplateIddLj32ELj1ELj8ELb1ELb1ELb1EEEvllPKT_S5_PKT0_S8_PS3_S9_
    .private_segment_fixed_size: 0
    .sgpr_count:     38
    .sgpr_spill_count: 0
    .symbol:         _ZN2at6native12_GLOBAL__N_135GammaBetaBackwardCUDAKernelTemplateIddLj32ELj1ELj8ELb1ELb1ELb1EEEvllPKT_S5_PKT0_S8_PS3_S9_.kd
    .uniform_work_group_size: 1
    .uses_dynamic_stack: false
    .vgpr_count:     58
    .vgpr_spill_count: 0
    .wavefront_size: 64
  - .agpr_count:     0
    .args:
      - .offset:         0
        .size:           8
        .value_kind:     by_value
      - .offset:         8
        .size:           8
        .value_kind:     by_value
      - .actual_access:  read_only
        .address_space:  global
        .offset:         16
        .size:           8
        .value_kind:     global_buffer
      - .actual_access:  read_only
        .address_space:  global
        .offset:         24
        .size:           8
        .value_kind:     global_buffer
      - .actual_access:  read_only
        .address_space:  global
        .offset:         32
        .size:           8
        .value_kind:     global_buffer
      - .actual_access:  read_only
        .address_space:  global
        .offset:         40
        .size:           8
        .value_kind:     global_buffer
      - .actual_access:  write_only
        .address_space:  global
        .offset:         48
        .size:           8
        .value_kind:     global_buffer
      - .actual_access:  read_only
        .address_space:  global
        .offset:         56
        .size:           8
        .value_kind:     global_buffer
      - .offset:         64
        .size:           4
        .value_kind:     hidden_block_count_x
      - .offset:         68
        .size:           4
        .value_kind:     hidden_block_count_y
      - .offset:         72
        .size:           4
        .value_kind:     hidden_block_count_z
      - .offset:         76
        .size:           2
        .value_kind:     hidden_group_size_x
      - .offset:         78
        .size:           2
        .value_kind:     hidden_group_size_y
      - .offset:         80
        .size:           2
        .value_kind:     hidden_group_size_z
      - .offset:         82
        .size:           2
        .value_kind:     hidden_remainder_x
      - .offset:         84
        .size:           2
        .value_kind:     hidden_remainder_y
      - .offset:         86
        .size:           2
        .value_kind:     hidden_remainder_z
      - .offset:         104
        .size:           8
        .value_kind:     hidden_global_offset_x
      - .offset:         112
        .size:           8
        .value_kind:     hidden_global_offset_y
      - .offset:         120
        .size:           8
        .value_kind:     hidden_global_offset_z
      - .offset:         128
        .size:           2
        .value_kind:     hidden_grid_dims
    .group_segment_fixed_size: 0
    .kernarg_segment_align: 8
    .kernarg_segment_size: 320
    .language:       OpenCL C
    .language_version:
      - 2
      - 0
    .max_flat_workgroup_size: 32
    .name:           _ZN2at6native12_GLOBAL__N_135GammaBetaBackwardCUDAKernelTemplateIddLj32ELj1ELj8ELb1ELb0ELb1EEEvllPKT_S5_PKT0_S8_PS3_S9_
    .private_segment_fixed_size: 0
    .sgpr_count:     58
    .sgpr_spill_count: 0
    .symbol:         _ZN2at6native12_GLOBAL__N_135GammaBetaBackwardCUDAKernelTemplateIddLj32ELj1ELj8ELb1ELb0ELb1EEEvllPKT_S5_PKT0_S8_PS3_S9_.kd
    .uniform_work_group_size: 1
    .uses_dynamic_stack: false
    .vgpr_count:     122
    .vgpr_spill_count: 0
    .wavefront_size: 64
  - .agpr_count:     0
    .args:
      - .offset:         0
        .size:           8
        .value_kind:     by_value
      - .offset:         8
        .size:           8
        .value_kind:     by_value
      - .actual_access:  read_only
        .address_space:  global
        .offset:         16
        .size:           8
        .value_kind:     global_buffer
      - .actual_access:  read_only
        .address_space:  global
        .offset:         24
        .size:           8
        .value_kind:     global_buffer
      - .actual_access:  read_only
        .address_space:  global
        .offset:         32
        .size:           8
        .value_kind:     global_buffer
      - .actual_access:  read_only
        .address_space:  global
        .offset:         40
        .size:           8
        .value_kind:     global_buffer
      - .actual_access:  write_only
        .address_space:  global
        .offset:         48
        .size:           8
        .value_kind:     global_buffer
      - .actual_access:  read_only
        .address_space:  global
        .offset:         56
        .size:           8
        .value_kind:     global_buffer
      - .offset:         64
        .size:           4
        .value_kind:     hidden_block_count_x
      - .offset:         68
        .size:           4
        .value_kind:     hidden_block_count_y
      - .offset:         72
        .size:           4
        .value_kind:     hidden_block_count_z
      - .offset:         76
        .size:           2
        .value_kind:     hidden_group_size_x
      - .offset:         78
        .size:           2
        .value_kind:     hidden_group_size_y
      - .offset:         80
        .size:           2
        .value_kind:     hidden_group_size_z
      - .offset:         82
        .size:           2
        .value_kind:     hidden_remainder_x
      - .offset:         84
        .size:           2
        .value_kind:     hidden_remainder_y
      - .offset:         86
        .size:           2
        .value_kind:     hidden_remainder_z
      - .offset:         104
        .size:           8
        .value_kind:     hidden_global_offset_x
      - .offset:         112
        .size:           8
        .value_kind:     hidden_global_offset_y
      - .offset:         120
        .size:           8
        .value_kind:     hidden_global_offset_z
      - .offset:         128
        .size:           2
        .value_kind:     hidden_grid_dims
      - .offset:         184
        .size:           4
        .value_kind:     hidden_dynamic_lds_size
    .group_segment_fixed_size: 0
    .kernarg_segment_align: 8
    .kernarg_segment_size: 320
    .language:       OpenCL C
    .language_version:
      - 2
      - 0
    .max_flat_workgroup_size: 256
    .name:           _ZN2at6native12_GLOBAL__N_135GammaBetaBackwardCUDAKernelTemplateIddLj32ELj8ELj64ELb0ELb1ELb1EEEvllPKT_S5_PKT0_S8_PS3_S9_
    .private_segment_fixed_size: 0
    .sgpr_count:     32
    .sgpr_spill_count: 0
    .symbol:         _ZN2at6native12_GLOBAL__N_135GammaBetaBackwardCUDAKernelTemplateIddLj32ELj8ELj64ELb0ELb1ELb1EEEvllPKT_S5_PKT0_S8_PS3_S9_.kd
    .uniform_work_group_size: 1
    .uses_dynamic_stack: false
    .vgpr_count:     60
    .vgpr_spill_count: 0
    .wavefront_size: 64
  - .agpr_count:     0
    .args:
      - .offset:         0
        .size:           8
        .value_kind:     by_value
      - .offset:         8
        .size:           8
        .value_kind:     by_value
      - .actual_access:  read_only
        .address_space:  global
        .offset:         16
        .size:           8
        .value_kind:     global_buffer
      - .actual_access:  read_only
        .address_space:  global
        .offset:         24
        .size:           8
        .value_kind:     global_buffer
      - .actual_access:  read_only
        .address_space:  global
        .offset:         32
        .size:           8
        .value_kind:     global_buffer
      - .actual_access:  read_only
        .address_space:  global
        .offset:         40
        .size:           8
        .value_kind:     global_buffer
      - .actual_access:  write_only
        .address_space:  global
        .offset:         48
        .size:           8
        .value_kind:     global_buffer
      - .actual_access:  read_only
        .address_space:  global
        .offset:         56
        .size:           8
        .value_kind:     global_buffer
      - .offset:         64
        .size:           4
        .value_kind:     hidden_block_count_x
      - .offset:         68
        .size:           4
        .value_kind:     hidden_block_count_y
      - .offset:         72
        .size:           4
        .value_kind:     hidden_block_count_z
      - .offset:         76
        .size:           2
        .value_kind:     hidden_group_size_x
      - .offset:         78
        .size:           2
        .value_kind:     hidden_group_size_y
      - .offset:         80
        .size:           2
        .value_kind:     hidden_group_size_z
      - .offset:         82
        .size:           2
        .value_kind:     hidden_remainder_x
      - .offset:         84
        .size:           2
        .value_kind:     hidden_remainder_y
      - .offset:         86
        .size:           2
        .value_kind:     hidden_remainder_z
      - .offset:         104
        .size:           8
        .value_kind:     hidden_global_offset_x
      - .offset:         112
        .size:           8
        .value_kind:     hidden_global_offset_y
      - .offset:         120
        .size:           8
        .value_kind:     hidden_global_offset_z
      - .offset:         128
        .size:           2
        .value_kind:     hidden_grid_dims
      - .offset:         184
        .size:           4
        .value_kind:     hidden_dynamic_lds_size
    .group_segment_fixed_size: 0
    .kernarg_segment_align: 8
    .kernarg_segment_size: 320
    .language:       OpenCL C
    .language_version:
      - 2
      - 0
    .max_flat_workgroup_size: 256
    .name:           _ZN2at6native12_GLOBAL__N_135GammaBetaBackwardCUDAKernelTemplateIddLj32ELj8ELj64ELb0ELb0ELb1EEEvllPKT_S5_PKT0_S8_PS3_S9_
    .private_segment_fixed_size: 0
    .sgpr_count:     70
    .sgpr_spill_count: 0
    .symbol:         _ZN2at6native12_GLOBAL__N_135GammaBetaBackwardCUDAKernelTemplateIddLj32ELj8ELj64ELb0ELb0ELb1EEEvllPKT_S5_PKT0_S8_PS3_S9_.kd
    .uniform_work_group_size: 1
    .uses_dynamic_stack: false
    .vgpr_count:     122
    .vgpr_spill_count: 0
    .wavefront_size: 64
  - .agpr_count:     0
    .args:
      - .offset:         0
        .size:           8
        .value_kind:     by_value
      - .offset:         8
        .size:           8
        .value_kind:     by_value
      - .actual_access:  read_only
        .address_space:  global
        .offset:         16
        .size:           8
        .value_kind:     global_buffer
      - .actual_access:  read_only
        .address_space:  global
        .offset:         24
        .size:           8
        .value_kind:     global_buffer
      - .actual_access:  read_only
        .address_space:  global
        .offset:         32
        .size:           8
        .value_kind:     global_buffer
      - .actual_access:  read_only
        .address_space:  global
        .offset:         40
        .size:           8
        .value_kind:     global_buffer
      - .actual_access:  write_only
        .address_space:  global
        .offset:         48
        .size:           8
        .value_kind:     global_buffer
      - .actual_access:  read_only
        .address_space:  global
        .offset:         56
        .size:           8
        .value_kind:     global_buffer
      - .offset:         64
        .size:           4
        .value_kind:     hidden_block_count_x
      - .offset:         68
        .size:           4
        .value_kind:     hidden_block_count_y
      - .offset:         72
        .size:           4
        .value_kind:     hidden_block_count_z
      - .offset:         76
        .size:           2
        .value_kind:     hidden_group_size_x
      - .offset:         78
        .size:           2
        .value_kind:     hidden_group_size_y
      - .offset:         80
        .size:           2
        .value_kind:     hidden_group_size_z
      - .offset:         82
        .size:           2
        .value_kind:     hidden_remainder_x
      - .offset:         84
        .size:           2
        .value_kind:     hidden_remainder_y
      - .offset:         86
        .size:           2
        .value_kind:     hidden_remainder_z
      - .offset:         104
        .size:           8
        .value_kind:     hidden_global_offset_x
      - .offset:         112
        .size:           8
        .value_kind:     hidden_global_offset_y
      - .offset:         120
        .size:           8
        .value_kind:     hidden_global_offset_z
      - .offset:         128
        .size:           2
        .value_kind:     hidden_grid_dims
      - .offset:         184
        .size:           4
        .value_kind:     hidden_dynamic_lds_size
    .group_segment_fixed_size: 0
    .kernarg_segment_align: 8
    .kernarg_segment_size: 320
    .language:       OpenCL C
    .language_version:
      - 2
      - 0
    .max_flat_workgroup_size: 512
    .name:           _ZN2at6native12_GLOBAL__N_135GammaBetaBackwardCUDAKernelTemplateIddLj32ELj16ELj128ELb0ELb1ELb1EEEvllPKT_S5_PKT0_S8_PS3_S9_
    .private_segment_fixed_size: 0
    .sgpr_count:     32
    .sgpr_spill_count: 0
    .symbol:         _ZN2at6native12_GLOBAL__N_135GammaBetaBackwardCUDAKernelTemplateIddLj32ELj16ELj128ELb0ELb1ELb1EEEvllPKT_S5_PKT0_S8_PS3_S9_.kd
    .uniform_work_group_size: 1
    .uses_dynamic_stack: false
    .vgpr_count:     60
    .vgpr_spill_count: 0
    .wavefront_size: 64
  - .agpr_count:     0
    .args:
      - .offset:         0
        .size:           8
        .value_kind:     by_value
      - .offset:         8
        .size:           8
        .value_kind:     by_value
      - .actual_access:  read_only
        .address_space:  global
        .offset:         16
        .size:           8
        .value_kind:     global_buffer
      - .actual_access:  read_only
        .address_space:  global
        .offset:         24
        .size:           8
        .value_kind:     global_buffer
      - .actual_access:  read_only
        .address_space:  global
        .offset:         32
        .size:           8
        .value_kind:     global_buffer
      - .actual_access:  read_only
        .address_space:  global
        .offset:         40
        .size:           8
        .value_kind:     global_buffer
      - .actual_access:  write_only
        .address_space:  global
        .offset:         48
        .size:           8
        .value_kind:     global_buffer
      - .actual_access:  read_only
        .address_space:  global
        .offset:         56
        .size:           8
        .value_kind:     global_buffer
      - .offset:         64
        .size:           4
        .value_kind:     hidden_block_count_x
      - .offset:         68
        .size:           4
        .value_kind:     hidden_block_count_y
      - .offset:         72
        .size:           4
        .value_kind:     hidden_block_count_z
      - .offset:         76
        .size:           2
        .value_kind:     hidden_group_size_x
      - .offset:         78
        .size:           2
        .value_kind:     hidden_group_size_y
      - .offset:         80
        .size:           2
        .value_kind:     hidden_group_size_z
      - .offset:         82
        .size:           2
        .value_kind:     hidden_remainder_x
      - .offset:         84
        .size:           2
        .value_kind:     hidden_remainder_y
      - .offset:         86
        .size:           2
        .value_kind:     hidden_remainder_z
      - .offset:         104
        .size:           8
        .value_kind:     hidden_global_offset_x
      - .offset:         112
        .size:           8
        .value_kind:     hidden_global_offset_y
      - .offset:         120
        .size:           8
        .value_kind:     hidden_global_offset_z
      - .offset:         128
        .size:           2
        .value_kind:     hidden_grid_dims
      - .offset:         184
        .size:           4
        .value_kind:     hidden_dynamic_lds_size
    .group_segment_fixed_size: 0
    .kernarg_segment_align: 8
    .kernarg_segment_size: 320
    .language:       OpenCL C
    .language_version:
      - 2
      - 0
    .max_flat_workgroup_size: 512
    .name:           _ZN2at6native12_GLOBAL__N_135GammaBetaBackwardCUDAKernelTemplateIddLj32ELj16ELj128ELb0ELb0ELb1EEEvllPKT_S5_PKT0_S8_PS3_S9_
    .private_segment_fixed_size: 0
    .sgpr_count:     70
    .sgpr_spill_count: 0
    .symbol:         _ZN2at6native12_GLOBAL__N_135GammaBetaBackwardCUDAKernelTemplateIddLj32ELj16ELj128ELb0ELb0ELb1EEEvllPKT_S5_PKT0_S8_PS3_S9_.kd
    .uniform_work_group_size: 1
    .uses_dynamic_stack: false
    .vgpr_count:     122
    .vgpr_spill_count: 0
    .wavefront_size: 64
  - .agpr_count:     0
    .args:
      - .offset:         0
        .size:           8
        .value_kind:     by_value
      - .offset:         8
        .size:           8
        .value_kind:     by_value
      - .actual_access:  read_only
        .address_space:  global
        .offset:         16
        .size:           8
        .value_kind:     global_buffer
      - .actual_access:  read_only
        .address_space:  global
        .offset:         24
        .size:           8
        .value_kind:     global_buffer
      - .actual_access:  read_only
        .address_space:  global
        .offset:         32
        .size:           8
        .value_kind:     global_buffer
      - .actual_access:  read_only
        .address_space:  global
        .offset:         40
        .size:           8
        .value_kind:     global_buffer
      - .actual_access:  write_only
        .address_space:  global
        .offset:         48
        .size:           8
        .value_kind:     global_buffer
      - .actual_access:  read_only
        .address_space:  global
        .offset:         56
        .size:           8
        .value_kind:     global_buffer
      - .offset:         64
        .size:           4
        .value_kind:     hidden_block_count_x
      - .offset:         68
        .size:           4
        .value_kind:     hidden_block_count_y
      - .offset:         72
        .size:           4
        .value_kind:     hidden_block_count_z
      - .offset:         76
        .size:           2
        .value_kind:     hidden_group_size_x
      - .offset:         78
        .size:           2
        .value_kind:     hidden_group_size_y
      - .offset:         80
        .size:           2
        .value_kind:     hidden_group_size_z
      - .offset:         82
        .size:           2
        .value_kind:     hidden_remainder_x
      - .offset:         84
        .size:           2
        .value_kind:     hidden_remainder_y
      - .offset:         86
        .size:           2
        .value_kind:     hidden_remainder_z
      - .offset:         104
        .size:           8
        .value_kind:     hidden_global_offset_x
      - .offset:         112
        .size:           8
        .value_kind:     hidden_global_offset_y
      - .offset:         120
        .size:           8
        .value_kind:     hidden_global_offset_z
      - .offset:         128
        .size:           2
        .value_kind:     hidden_grid_dims
      - .offset:         184
        .size:           4
        .value_kind:     hidden_dynamic_lds_size
    .group_segment_fixed_size: 0
    .kernarg_segment_align: 8
    .kernarg_segment_size: 320
    .language:       OpenCL C
    .language_version:
      - 2
      - 0
    .max_flat_workgroup_size: 1024
    .name:           _ZN2at6native12_GLOBAL__N_135GammaBetaBackwardCUDAKernelTemplateIddLj32ELj32ELj256ELb0ELb1ELb1EEEvllPKT_S5_PKT0_S8_PS3_S9_
    .private_segment_fixed_size: 0
    .sgpr_count:     32
    .sgpr_spill_count: 0
    .symbol:         _ZN2at6native12_GLOBAL__N_135GammaBetaBackwardCUDAKernelTemplateIddLj32ELj32ELj256ELb0ELb1ELb1EEEvllPKT_S5_PKT0_S8_PS3_S9_.kd
    .uniform_work_group_size: 1
    .uses_dynamic_stack: false
    .vgpr_count:     60
    .vgpr_spill_count: 0
    .wavefront_size: 64
  - .agpr_count:     0
    .args:
      - .offset:         0
        .size:           8
        .value_kind:     by_value
      - .offset:         8
        .size:           8
        .value_kind:     by_value
      - .actual_access:  read_only
        .address_space:  global
        .offset:         16
        .size:           8
        .value_kind:     global_buffer
      - .actual_access:  read_only
        .address_space:  global
        .offset:         24
        .size:           8
        .value_kind:     global_buffer
      - .actual_access:  read_only
        .address_space:  global
        .offset:         32
        .size:           8
        .value_kind:     global_buffer
      - .actual_access:  read_only
        .address_space:  global
        .offset:         40
        .size:           8
        .value_kind:     global_buffer
      - .actual_access:  write_only
        .address_space:  global
        .offset:         48
        .size:           8
        .value_kind:     global_buffer
      - .actual_access:  read_only
        .address_space:  global
        .offset:         56
        .size:           8
        .value_kind:     global_buffer
      - .offset:         64
        .size:           4
        .value_kind:     hidden_block_count_x
      - .offset:         68
        .size:           4
        .value_kind:     hidden_block_count_y
      - .offset:         72
        .size:           4
        .value_kind:     hidden_block_count_z
      - .offset:         76
        .size:           2
        .value_kind:     hidden_group_size_x
      - .offset:         78
        .size:           2
        .value_kind:     hidden_group_size_y
      - .offset:         80
        .size:           2
        .value_kind:     hidden_group_size_z
      - .offset:         82
        .size:           2
        .value_kind:     hidden_remainder_x
      - .offset:         84
        .size:           2
        .value_kind:     hidden_remainder_y
      - .offset:         86
        .size:           2
        .value_kind:     hidden_remainder_z
      - .offset:         104
        .size:           8
        .value_kind:     hidden_global_offset_x
      - .offset:         112
        .size:           8
        .value_kind:     hidden_global_offset_y
      - .offset:         120
        .size:           8
        .value_kind:     hidden_global_offset_z
      - .offset:         128
        .size:           2
        .value_kind:     hidden_grid_dims
      - .offset:         184
        .size:           4
        .value_kind:     hidden_dynamic_lds_size
    .group_segment_fixed_size: 0
    .kernarg_segment_align: 8
    .kernarg_segment_size: 320
    .language:       OpenCL C
    .language_version:
      - 2
      - 0
    .max_flat_workgroup_size: 1024
    .name:           _ZN2at6native12_GLOBAL__N_135GammaBetaBackwardCUDAKernelTemplateIddLj32ELj32ELj256ELb0ELb0ELb1EEEvllPKT_S5_PKT0_S8_PS3_S9_
    .private_segment_fixed_size: 0
    .sgpr_count:     70
    .sgpr_spill_count: 0
    .symbol:         _ZN2at6native12_GLOBAL__N_135GammaBetaBackwardCUDAKernelTemplateIddLj32ELj32ELj256ELb0ELb0ELb1EEEvllPKT_S5_PKT0_S8_PS3_S9_.kd
    .uniform_work_group_size: 1
    .uses_dynamic_stack: false
    .vgpr_count:     122
    .vgpr_spill_count: 0
    .wavefront_size: 64
  - .agpr_count:     0
    .args:
      - .actual_access:  read_only
        .address_space:  global
        .offset:         0
        .size:           8
        .value_kind:     global_buffer
      - .actual_access:  read_only
        .address_space:  global
        .offset:         8
        .size:           8
        .value_kind:     global_buffer
      - .offset:         16
        .size:           8
        .value_kind:     by_value
      - .offset:         24
        .size:           8
        .value_kind:     by_value
      - .actual_access:  read_only
        .address_space:  global
        .offset:         32
        .size:           8
        .value_kind:     global_buffer
      - .actual_access:  read_only
        .address_space:  global
        .offset:         40
        .size:           8
        .value_kind:     global_buffer
      - .address_space:  global
        .offset:         48
        .size:           8
        .value_kind:     global_buffer
      - .address_space:  global
        .offset:         56
        .size:           8
        .value_kind:     global_buffer
      - .offset:         64
        .size:           4
        .value_kind:     hidden_block_count_x
      - .offset:         68
        .size:           4
        .value_kind:     hidden_block_count_y
      - .offset:         72
        .size:           4
        .value_kind:     hidden_block_count_z
      - .offset:         76
        .size:           2
        .value_kind:     hidden_group_size_x
      - .offset:         78
        .size:           2
        .value_kind:     hidden_group_size_y
      - .offset:         80
        .size:           2
        .value_kind:     hidden_group_size_z
      - .offset:         82
        .size:           2
        .value_kind:     hidden_remainder_x
      - .offset:         84
        .size:           2
        .value_kind:     hidden_remainder_y
      - .offset:         86
        .size:           2
        .value_kind:     hidden_remainder_z
      - .offset:         104
        .size:           8
        .value_kind:     hidden_global_offset_x
      - .offset:         112
        .size:           8
        .value_kind:     hidden_global_offset_y
      - .offset:         120
        .size:           8
        .value_kind:     hidden_global_offset_z
      - .offset:         128
        .size:           2
        .value_kind:     hidden_grid_dims
      - .offset:         184
        .size:           4
        .value_kind:     hidden_dynamic_lds_size
    .group_segment_fixed_size: 0
    .kernarg_segment_align: 8
    .kernarg_segment_size: 320
    .language:       OpenCL C
    .language_version:
      - 2
      - 0
    .max_flat_workgroup_size: 1024
    .name:           _ZN2at6native12_GLOBAL__N_118cuComputeGradInputIffLb1EEEvPKT_S5_llPKT0_S8_S5_PS3_
    .private_segment_fixed_size: 0
    .sgpr_count:     54
    .sgpr_spill_count: 0
    .symbol:         _ZN2at6native12_GLOBAL__N_118cuComputeGradInputIffLb1EEEvPKT_S5_llPKT0_S8_S5_PS3_.kd
    .uniform_work_group_size: 1
    .uses_dynamic_stack: false
    .vgpr_count:     31
    .vgpr_spill_count: 0
    .wavefront_size: 64
  - .agpr_count:     0
    .args:
      - .actual_access:  read_only
        .address_space:  global
        .offset:         0
        .size:           8
        .value_kind:     global_buffer
      - .actual_access:  read_only
        .address_space:  global
        .offset:         8
        .size:           8
        .value_kind:     global_buffer
      - .actual_access:  read_only
        .address_space:  global
        .offset:         16
        .size:           8
        .value_kind:     global_buffer
      - .actual_access:  read_only
        .address_space:  global
        .offset:         24
        .size:           8
        .value_kind:     global_buffer
      - .actual_access:  read_only
        .address_space:  global
        .offset:         32
        .size:           8
        .value_kind:     global_buffer
      - .address_space:  global
        .offset:         40
        .size:           8
        .value_kind:     global_buffer
      - .offset:         48
        .size:           4
        .value_kind:     by_value
      - .offset:         56
        .size:           4
        .value_kind:     hidden_block_count_x
      - .offset:         60
        .size:           4
        .value_kind:     hidden_block_count_y
      - .offset:         64
        .size:           4
        .value_kind:     hidden_block_count_z
      - .offset:         68
        .size:           2
        .value_kind:     hidden_group_size_x
      - .offset:         70
        .size:           2
        .value_kind:     hidden_group_size_y
      - .offset:         72
        .size:           2
        .value_kind:     hidden_group_size_z
      - .offset:         74
        .size:           2
        .value_kind:     hidden_remainder_x
      - .offset:         76
        .size:           2
        .value_kind:     hidden_remainder_y
      - .offset:         78
        .size:           2
        .value_kind:     hidden_remainder_z
      - .offset:         96
        .size:           8
        .value_kind:     hidden_global_offset_x
      - .offset:         104
        .size:           8
        .value_kind:     hidden_global_offset_y
      - .offset:         112
        .size:           8
        .value_kind:     hidden_global_offset_z
      - .offset:         120
        .size:           2
        .value_kind:     hidden_grid_dims
      - .offset:         176
        .size:           4
        .value_kind:     hidden_dynamic_lds_size
    .group_segment_fixed_size: 0
    .kernarg_segment_align: 8
    .kernarg_segment_size: 312
    .language:       OpenCL C
    .language_version:
      - 2
      - 0
    .max_flat_workgroup_size: 1024
    .name:           _ZN2at6native12_GLOBAL__N_128layer_norm_grad_input_kernelIffLb1EEEvPKT_S5_PKT0_S8_S5_PS3_i
    .private_segment_fixed_size: 0
    .sgpr_count:     40
    .sgpr_spill_count: 0
    .symbol:         _ZN2at6native12_GLOBAL__N_128layer_norm_grad_input_kernelIffLb1EEEvPKT_S5_PKT0_S8_S5_PS3_i.kd
    .uniform_work_group_size: 1
    .uses_dynamic_stack: false
    .vgpr_count:     20
    .vgpr_spill_count: 0
    .wavefront_size: 64
  - .agpr_count:     0
    .args:
      - .offset:         0
        .size:           8
        .value_kind:     by_value
      - .offset:         8
        .size:           8
        .value_kind:     by_value
      - .address_space:  global
        .offset:         16
        .size:           8
        .value_kind:     global_buffer
      - .address_space:  global
        .offset:         24
        .size:           8
        .value_kind:     global_buffer
      - .address_space:  global
        .offset:         32
        .size:           8
        .value_kind:     global_buffer
      - .address_space:  global
        .offset:         40
        .size:           8
        .value_kind:     global_buffer
      - .address_space:  global
        .offset:         48
        .size:           8
        .value_kind:     global_buffer
      - .address_space:  global
        .offset:         56
        .size:           8
        .value_kind:     global_buffer
      - .offset:         64
        .size:           4
        .value_kind:     hidden_block_count_x
      - .offset:         68
        .size:           4
        .value_kind:     hidden_block_count_y
      - .offset:         72
        .size:           4
        .value_kind:     hidden_block_count_z
      - .offset:         76
        .size:           2
        .value_kind:     hidden_group_size_x
      - .offset:         78
        .size:           2
        .value_kind:     hidden_group_size_y
      - .offset:         80
        .size:           2
        .value_kind:     hidden_group_size_z
      - .offset:         82
        .size:           2
        .value_kind:     hidden_remainder_x
      - .offset:         84
        .size:           2
        .value_kind:     hidden_remainder_y
      - .offset:         86
        .size:           2
        .value_kind:     hidden_remainder_z
      - .offset:         104
        .size:           8
        .value_kind:     hidden_global_offset_x
      - .offset:         112
        .size:           8
        .value_kind:     hidden_global_offset_y
      - .offset:         120
        .size:           8
        .value_kind:     hidden_global_offset_z
      - .offset:         128
        .size:           2
        .value_kind:     hidden_grid_dims
    .group_segment_fixed_size: 0
    .kernarg_segment_align: 8
    .kernarg_segment_size: 320
    .language:       OpenCL C
    .language_version:
      - 2
      - 0
    .max_flat_workgroup_size: 1024
    .name:           _ZN2at6native12_GLOBAL__N_133GammaBetaBackwardSimpleCUDAKernelIffLb1EEEvllPKT_S5_PKT0_S8_PS3_S9_
    .private_segment_fixed_size: 0
    .sgpr_count:     22
    .sgpr_spill_count: 0
    .symbol:         _ZN2at6native12_GLOBAL__N_133GammaBetaBackwardSimpleCUDAKernelIffLb1EEEvllPKT_S5_PKT0_S8_PS3_S9_.kd
    .uniform_work_group_size: 1
    .uses_dynamic_stack: false
    .vgpr_count:     8
    .vgpr_spill_count: 0
    .wavefront_size: 64
  - .agpr_count:     0
    .args:
      - .offset:         0
        .size:           8
        .value_kind:     by_value
      - .offset:         8
        .size:           8
        .value_kind:     by_value
      - .actual_access:  read_only
        .address_space:  global
        .offset:         16
        .size:           8
        .value_kind:     global_buffer
      - .actual_access:  read_only
        .address_space:  global
        .offset:         24
        .size:           8
        .value_kind:     global_buffer
      - .actual_access:  read_only
        .address_space:  global
        .offset:         32
        .size:           8
        .value_kind:     global_buffer
      - .actual_access:  read_only
        .address_space:  global
        .offset:         40
        .size:           8
        .value_kind:     global_buffer
      - .actual_access:  write_only
        .address_space:  global
        .offset:         48
        .size:           8
        .value_kind:     global_buffer
      - .actual_access:  read_only
        .address_space:  global
        .offset:         56
        .size:           8
        .value_kind:     global_buffer
      - .offset:         64
        .size:           4
        .value_kind:     hidden_block_count_x
      - .offset:         68
        .size:           4
        .value_kind:     hidden_block_count_y
      - .offset:         72
        .size:           4
        .value_kind:     hidden_block_count_z
      - .offset:         76
        .size:           2
        .value_kind:     hidden_group_size_x
      - .offset:         78
        .size:           2
        .value_kind:     hidden_group_size_y
      - .offset:         80
        .size:           2
        .value_kind:     hidden_group_size_z
      - .offset:         82
        .size:           2
        .value_kind:     hidden_remainder_x
      - .offset:         84
        .size:           2
        .value_kind:     hidden_remainder_y
      - .offset:         86
        .size:           2
        .value_kind:     hidden_remainder_z
      - .offset:         104
        .size:           8
        .value_kind:     hidden_global_offset_x
      - .offset:         112
        .size:           8
        .value_kind:     hidden_global_offset_y
      - .offset:         120
        .size:           8
        .value_kind:     hidden_global_offset_z
      - .offset:         128
        .size:           2
        .value_kind:     hidden_grid_dims
    .group_segment_fixed_size: 0
    .kernarg_segment_align: 8
    .kernarg_segment_size: 320
    .language:       OpenCL C
    .language_version:
      - 2
      - 0
    .max_flat_workgroup_size: 64
    .name:           _ZN2at6native12_GLOBAL__N_135GammaBetaBackwardCUDAKernelTemplateIffLj64ELj1ELj32ELb1ELb1ELb1EEEvllPKT_S5_PKT0_S8_PS3_S9_
    .private_segment_fixed_size: 0
    .sgpr_count:     38
    .sgpr_spill_count: 0
    .symbol:         _ZN2at6native12_GLOBAL__N_135GammaBetaBackwardCUDAKernelTemplateIffLj64ELj1ELj32ELb1ELb1ELb1EEEvllPKT_S5_PKT0_S8_PS3_S9_.kd
    .uniform_work_group_size: 1
    .uses_dynamic_stack: false
    .vgpr_count:     113
    .vgpr_spill_count: 0
    .wavefront_size: 64
  - .agpr_count:     101
    .args:
      - .offset:         0
        .size:           8
        .value_kind:     by_value
      - .offset:         8
        .size:           8
        .value_kind:     by_value
      - .actual_access:  read_only
        .address_space:  global
        .offset:         16
        .size:           8
        .value_kind:     global_buffer
      - .actual_access:  read_only
        .address_space:  global
        .offset:         24
        .size:           8
        .value_kind:     global_buffer
      - .actual_access:  read_only
        .address_space:  global
        .offset:         32
        .size:           8
        .value_kind:     global_buffer
      - .actual_access:  read_only
        .address_space:  global
        .offset:         40
        .size:           8
        .value_kind:     global_buffer
      - .actual_access:  write_only
        .address_space:  global
        .offset:         48
        .size:           8
        .value_kind:     global_buffer
      - .actual_access:  read_only
        .address_space:  global
        .offset:         56
        .size:           8
        .value_kind:     global_buffer
      - .offset:         64
        .size:           4
        .value_kind:     hidden_block_count_x
      - .offset:         68
        .size:           4
        .value_kind:     hidden_block_count_y
      - .offset:         72
        .size:           4
        .value_kind:     hidden_block_count_z
      - .offset:         76
        .size:           2
        .value_kind:     hidden_group_size_x
      - .offset:         78
        .size:           2
        .value_kind:     hidden_group_size_y
      - .offset:         80
        .size:           2
        .value_kind:     hidden_group_size_z
      - .offset:         82
        .size:           2
        .value_kind:     hidden_remainder_x
      - .offset:         84
        .size:           2
        .value_kind:     hidden_remainder_y
      - .offset:         86
        .size:           2
        .value_kind:     hidden_remainder_z
      - .offset:         104
        .size:           8
        .value_kind:     hidden_global_offset_x
      - .offset:         112
        .size:           8
        .value_kind:     hidden_global_offset_y
      - .offset:         120
        .size:           8
        .value_kind:     hidden_global_offset_z
      - .offset:         128
        .size:           2
        .value_kind:     hidden_grid_dims
    .group_segment_fixed_size: 0
    .kernarg_segment_align: 8
    .kernarg_segment_size: 320
    .language:       OpenCL C
    .language_version:
      - 2
      - 0
    .max_flat_workgroup_size: 64
    .name:           _ZN2at6native12_GLOBAL__N_135GammaBetaBackwardCUDAKernelTemplateIffLj64ELj1ELj32ELb1ELb0ELb1EEEvllPKT_S5_PKT0_S8_PS3_S9_
    .private_segment_fixed_size: 0
    .sgpr_count:     44
    .sgpr_spill_count: 0
    .symbol:         _ZN2at6native12_GLOBAL__N_135GammaBetaBackwardCUDAKernelTemplateIffLj64ELj1ELj32ELb1ELb0ELb1EEEvllPKT_S5_PKT0_S8_PS3_S9_.kd
    .uniform_work_group_size: 1
    .uses_dynamic_stack: false
    .vgpr_count:     357
    .vgpr_spill_count: 48
    .wavefront_size: 64
  - .agpr_count:     0
    .args:
      - .offset:         0
        .size:           8
        .value_kind:     by_value
      - .offset:         8
        .size:           8
        .value_kind:     by_value
      - .actual_access:  read_only
        .address_space:  global
        .offset:         16
        .size:           8
        .value_kind:     global_buffer
      - .actual_access:  read_only
        .address_space:  global
        .offset:         24
        .size:           8
        .value_kind:     global_buffer
      - .actual_access:  read_only
        .address_space:  global
        .offset:         32
        .size:           8
        .value_kind:     global_buffer
      - .actual_access:  read_only
        .address_space:  global
        .offset:         40
        .size:           8
        .value_kind:     global_buffer
      - .actual_access:  write_only
        .address_space:  global
        .offset:         48
        .size:           8
        .value_kind:     global_buffer
      - .actual_access:  read_only
        .address_space:  global
        .offset:         56
        .size:           8
        .value_kind:     global_buffer
      - .offset:         64
        .size:           4
        .value_kind:     hidden_block_count_x
      - .offset:         68
        .size:           4
        .value_kind:     hidden_block_count_y
      - .offset:         72
        .size:           4
        .value_kind:     hidden_block_count_z
      - .offset:         76
        .size:           2
        .value_kind:     hidden_group_size_x
      - .offset:         78
        .size:           2
        .value_kind:     hidden_group_size_y
      - .offset:         80
        .size:           2
        .value_kind:     hidden_group_size_z
      - .offset:         82
        .size:           2
        .value_kind:     hidden_remainder_x
      - .offset:         84
        .size:           2
        .value_kind:     hidden_remainder_y
      - .offset:         86
        .size:           2
        .value_kind:     hidden_remainder_z
      - .offset:         104
        .size:           8
        .value_kind:     hidden_global_offset_x
      - .offset:         112
        .size:           8
        .value_kind:     hidden_global_offset_y
      - .offset:         120
        .size:           8
        .value_kind:     hidden_global_offset_z
      - .offset:         128
        .size:           2
        .value_kind:     hidden_grid_dims
    .group_segment_fixed_size: 0
    .kernarg_segment_align: 8
    .kernarg_segment_size: 320
    .language:       OpenCL C
    .language_version:
      - 2
      - 0
    .max_flat_workgroup_size: 64
    .name:           _ZN2at6native12_GLOBAL__N_135GammaBetaBackwardCUDAKernelTemplateIffLj64ELj1ELj8ELb1ELb1ELb1EEEvllPKT_S5_PKT0_S8_PS3_S9_
    .private_segment_fixed_size: 0
    .sgpr_count:     38
    .sgpr_spill_count: 0
    .symbol:         _ZN2at6native12_GLOBAL__N_135GammaBetaBackwardCUDAKernelTemplateIffLj64ELj1ELj8ELb1ELb1ELb1EEEvllPKT_S5_PKT0_S8_PS3_S9_.kd
    .uniform_work_group_size: 1
    .uses_dynamic_stack: false
    .vgpr_count:     44
    .vgpr_spill_count: 0
    .wavefront_size: 64
  - .agpr_count:     0
    .args:
      - .offset:         0
        .size:           8
        .value_kind:     by_value
      - .offset:         8
        .size:           8
        .value_kind:     by_value
      - .actual_access:  read_only
        .address_space:  global
        .offset:         16
        .size:           8
        .value_kind:     global_buffer
      - .actual_access:  read_only
        .address_space:  global
        .offset:         24
        .size:           8
        .value_kind:     global_buffer
      - .actual_access:  read_only
        .address_space:  global
        .offset:         32
        .size:           8
        .value_kind:     global_buffer
      - .actual_access:  read_only
        .address_space:  global
        .offset:         40
        .size:           8
        .value_kind:     global_buffer
      - .actual_access:  write_only
        .address_space:  global
        .offset:         48
        .size:           8
        .value_kind:     global_buffer
      - .actual_access:  read_only
        .address_space:  global
        .offset:         56
        .size:           8
        .value_kind:     global_buffer
      - .offset:         64
        .size:           4
        .value_kind:     hidden_block_count_x
      - .offset:         68
        .size:           4
        .value_kind:     hidden_block_count_y
      - .offset:         72
        .size:           4
        .value_kind:     hidden_block_count_z
      - .offset:         76
        .size:           2
        .value_kind:     hidden_group_size_x
      - .offset:         78
        .size:           2
        .value_kind:     hidden_group_size_y
      - .offset:         80
        .size:           2
        .value_kind:     hidden_group_size_z
      - .offset:         82
        .size:           2
        .value_kind:     hidden_remainder_x
      - .offset:         84
        .size:           2
        .value_kind:     hidden_remainder_y
      - .offset:         86
        .size:           2
        .value_kind:     hidden_remainder_z
      - .offset:         104
        .size:           8
        .value_kind:     hidden_global_offset_x
      - .offset:         112
        .size:           8
        .value_kind:     hidden_global_offset_y
      - .offset:         120
        .size:           8
        .value_kind:     hidden_global_offset_z
      - .offset:         128
        .size:           2
        .value_kind:     hidden_grid_dims
    .group_segment_fixed_size: 0
    .kernarg_segment_align: 8
    .kernarg_segment_size: 320
    .language:       OpenCL C
    .language_version:
      - 2
      - 0
    .max_flat_workgroup_size: 64
    .name:           _ZN2at6native12_GLOBAL__N_135GammaBetaBackwardCUDAKernelTemplateIffLj64ELj1ELj8ELb1ELb0ELb1EEEvllPKT_S5_PKT0_S8_PS3_S9_
    .private_segment_fixed_size: 0
    .sgpr_count:     50
    .sgpr_spill_count: 0
    .symbol:         _ZN2at6native12_GLOBAL__N_135GammaBetaBackwardCUDAKernelTemplateIffLj64ELj1ELj8ELb1ELb0ELb1EEEvllPKT_S5_PKT0_S8_PS3_S9_.kd
    .uniform_work_group_size: 1
    .uses_dynamic_stack: false
    .vgpr_count:     98
    .vgpr_spill_count: 0
    .wavefront_size: 64
  - .agpr_count:     0
    .args:
      - .offset:         0
        .size:           8
        .value_kind:     by_value
      - .offset:         8
        .size:           8
        .value_kind:     by_value
      - .actual_access:  read_only
        .address_space:  global
        .offset:         16
        .size:           8
        .value_kind:     global_buffer
      - .actual_access:  read_only
        .address_space:  global
        .offset:         24
        .size:           8
        .value_kind:     global_buffer
      - .actual_access:  read_only
        .address_space:  global
        .offset:         32
        .size:           8
        .value_kind:     global_buffer
      - .actual_access:  read_only
        .address_space:  global
        .offset:         40
        .size:           8
        .value_kind:     global_buffer
      - .actual_access:  write_only
        .address_space:  global
        .offset:         48
        .size:           8
        .value_kind:     global_buffer
      - .actual_access:  read_only
        .address_space:  global
        .offset:         56
        .size:           8
        .value_kind:     global_buffer
      - .offset:         64
        .size:           4
        .value_kind:     hidden_block_count_x
      - .offset:         68
        .size:           4
        .value_kind:     hidden_block_count_y
      - .offset:         72
        .size:           4
        .value_kind:     hidden_block_count_z
      - .offset:         76
        .size:           2
        .value_kind:     hidden_group_size_x
      - .offset:         78
        .size:           2
        .value_kind:     hidden_group_size_y
      - .offset:         80
        .size:           2
        .value_kind:     hidden_group_size_z
      - .offset:         82
        .size:           2
        .value_kind:     hidden_remainder_x
      - .offset:         84
        .size:           2
        .value_kind:     hidden_remainder_y
      - .offset:         86
        .size:           2
        .value_kind:     hidden_remainder_z
      - .offset:         104
        .size:           8
        .value_kind:     hidden_global_offset_x
      - .offset:         112
        .size:           8
        .value_kind:     hidden_global_offset_y
      - .offset:         120
        .size:           8
        .value_kind:     hidden_global_offset_z
      - .offset:         128
        .size:           2
        .value_kind:     hidden_grid_dims
      - .offset:         184
        .size:           4
        .value_kind:     hidden_dynamic_lds_size
    .group_segment_fixed_size: 0
    .kernarg_segment_align: 8
    .kernarg_segment_size: 320
    .language:       OpenCL C
    .language_version:
      - 2
      - 0
    .max_flat_workgroup_size: 512
    .name:           _ZN2at6native12_GLOBAL__N_135GammaBetaBackwardCUDAKernelTemplateIffLj64ELj8ELj64ELb0ELb1ELb1EEEvllPKT_S5_PKT0_S8_PS3_S9_
    .private_segment_fixed_size: 0
    .sgpr_count:     32
    .sgpr_spill_count: 0
    .symbol:         _ZN2at6native12_GLOBAL__N_135GammaBetaBackwardCUDAKernelTemplateIffLj64ELj8ELj64ELb0ELb1ELb1EEEvllPKT_S5_PKT0_S8_PS3_S9_.kd
    .uniform_work_group_size: 1
    .uses_dynamic_stack: false
    .vgpr_count:     46
    .vgpr_spill_count: 0
    .wavefront_size: 64
  - .agpr_count:     0
    .args:
      - .offset:         0
        .size:           8
        .value_kind:     by_value
      - .offset:         8
        .size:           8
        .value_kind:     by_value
      - .actual_access:  read_only
        .address_space:  global
        .offset:         16
        .size:           8
        .value_kind:     global_buffer
      - .actual_access:  read_only
        .address_space:  global
        .offset:         24
        .size:           8
        .value_kind:     global_buffer
      - .actual_access:  read_only
        .address_space:  global
        .offset:         32
        .size:           8
        .value_kind:     global_buffer
      - .actual_access:  read_only
        .address_space:  global
        .offset:         40
        .size:           8
        .value_kind:     global_buffer
      - .actual_access:  write_only
        .address_space:  global
        .offset:         48
        .size:           8
        .value_kind:     global_buffer
      - .actual_access:  read_only
        .address_space:  global
        .offset:         56
        .size:           8
        .value_kind:     global_buffer
      - .offset:         64
        .size:           4
        .value_kind:     hidden_block_count_x
      - .offset:         68
        .size:           4
        .value_kind:     hidden_block_count_y
      - .offset:         72
        .size:           4
        .value_kind:     hidden_block_count_z
      - .offset:         76
        .size:           2
        .value_kind:     hidden_group_size_x
      - .offset:         78
        .size:           2
        .value_kind:     hidden_group_size_y
      - .offset:         80
        .size:           2
        .value_kind:     hidden_group_size_z
      - .offset:         82
        .size:           2
        .value_kind:     hidden_remainder_x
      - .offset:         84
        .size:           2
        .value_kind:     hidden_remainder_y
      - .offset:         86
        .size:           2
        .value_kind:     hidden_remainder_z
      - .offset:         104
        .size:           8
        .value_kind:     hidden_global_offset_x
      - .offset:         112
        .size:           8
        .value_kind:     hidden_global_offset_y
      - .offset:         120
        .size:           8
        .value_kind:     hidden_global_offset_z
      - .offset:         128
        .size:           2
        .value_kind:     hidden_grid_dims
      - .offset:         184
        .size:           4
        .value_kind:     hidden_dynamic_lds_size
    .group_segment_fixed_size: 0
    .kernarg_segment_align: 8
    .kernarg_segment_size: 320
    .language:       OpenCL C
    .language_version:
      - 2
      - 0
    .max_flat_workgroup_size: 512
    .name:           _ZN2at6native12_GLOBAL__N_135GammaBetaBackwardCUDAKernelTemplateIffLj64ELj8ELj64ELb0ELb0ELb1EEEvllPKT_S5_PKT0_S8_PS3_S9_
    .private_segment_fixed_size: 0
    .sgpr_count:     62
    .sgpr_spill_count: 0
    .symbol:         _ZN2at6native12_GLOBAL__N_135GammaBetaBackwardCUDAKernelTemplateIffLj64ELj8ELj64ELb0ELb0ELb1EEEvllPKT_S5_PKT0_S8_PS3_S9_.kd
    .uniform_work_group_size: 1
    .uses_dynamic_stack: false
    .vgpr_count:     98
    .vgpr_spill_count: 0
    .wavefront_size: 64
  - .agpr_count:     0
    .args:
      - .offset:         0
        .size:           8
        .value_kind:     by_value
      - .offset:         8
        .size:           8
        .value_kind:     by_value
      - .actual_access:  read_only
        .address_space:  global
        .offset:         16
        .size:           8
        .value_kind:     global_buffer
      - .actual_access:  read_only
        .address_space:  global
        .offset:         24
        .size:           8
        .value_kind:     global_buffer
      - .actual_access:  read_only
        .address_space:  global
        .offset:         32
        .size:           8
        .value_kind:     global_buffer
      - .actual_access:  read_only
        .address_space:  global
        .offset:         40
        .size:           8
        .value_kind:     global_buffer
      - .actual_access:  write_only
        .address_space:  global
        .offset:         48
        .size:           8
        .value_kind:     global_buffer
      - .actual_access:  read_only
        .address_space:  global
        .offset:         56
        .size:           8
        .value_kind:     global_buffer
      - .offset:         64
        .size:           4
        .value_kind:     hidden_block_count_x
      - .offset:         68
        .size:           4
        .value_kind:     hidden_block_count_y
      - .offset:         72
        .size:           4
        .value_kind:     hidden_block_count_z
      - .offset:         76
        .size:           2
        .value_kind:     hidden_group_size_x
      - .offset:         78
        .size:           2
        .value_kind:     hidden_group_size_y
      - .offset:         80
        .size:           2
        .value_kind:     hidden_group_size_z
      - .offset:         82
        .size:           2
        .value_kind:     hidden_remainder_x
      - .offset:         84
        .size:           2
        .value_kind:     hidden_remainder_y
      - .offset:         86
        .size:           2
        .value_kind:     hidden_remainder_z
      - .offset:         104
        .size:           8
        .value_kind:     hidden_global_offset_x
      - .offset:         112
        .size:           8
        .value_kind:     hidden_global_offset_y
      - .offset:         120
        .size:           8
        .value_kind:     hidden_global_offset_z
      - .offset:         128
        .size:           2
        .value_kind:     hidden_grid_dims
      - .offset:         184
        .size:           4
        .value_kind:     hidden_dynamic_lds_size
    .group_segment_fixed_size: 0
    .kernarg_segment_align: 8
    .kernarg_segment_size: 320
    .language:       OpenCL C
    .language_version:
      - 2
      - 0
    .max_flat_workgroup_size: 1024
    .name:           _ZN2at6native12_GLOBAL__N_135GammaBetaBackwardCUDAKernelTemplateIffLj64ELj16ELj128ELb0ELb1ELb1EEEvllPKT_S5_PKT0_S8_PS3_S9_
    .private_segment_fixed_size: 0
    .sgpr_count:     32
    .sgpr_spill_count: 0
    .symbol:         _ZN2at6native12_GLOBAL__N_135GammaBetaBackwardCUDAKernelTemplateIffLj64ELj16ELj128ELb0ELb1ELb1EEEvllPKT_S5_PKT0_S8_PS3_S9_.kd
    .uniform_work_group_size: 1
    .uses_dynamic_stack: false
    .vgpr_count:     46
    .vgpr_spill_count: 0
    .wavefront_size: 64
  - .agpr_count:     0
    .args:
      - .offset:         0
        .size:           8
        .value_kind:     by_value
      - .offset:         8
        .size:           8
        .value_kind:     by_value
      - .actual_access:  read_only
        .address_space:  global
        .offset:         16
        .size:           8
        .value_kind:     global_buffer
      - .actual_access:  read_only
        .address_space:  global
        .offset:         24
        .size:           8
        .value_kind:     global_buffer
      - .actual_access:  read_only
        .address_space:  global
        .offset:         32
        .size:           8
        .value_kind:     global_buffer
      - .actual_access:  read_only
        .address_space:  global
        .offset:         40
        .size:           8
        .value_kind:     global_buffer
      - .actual_access:  write_only
        .address_space:  global
        .offset:         48
        .size:           8
        .value_kind:     global_buffer
      - .actual_access:  read_only
        .address_space:  global
        .offset:         56
        .size:           8
        .value_kind:     global_buffer
      - .offset:         64
        .size:           4
        .value_kind:     hidden_block_count_x
      - .offset:         68
        .size:           4
        .value_kind:     hidden_block_count_y
      - .offset:         72
        .size:           4
        .value_kind:     hidden_block_count_z
      - .offset:         76
        .size:           2
        .value_kind:     hidden_group_size_x
      - .offset:         78
        .size:           2
        .value_kind:     hidden_group_size_y
      - .offset:         80
        .size:           2
        .value_kind:     hidden_group_size_z
      - .offset:         82
        .size:           2
        .value_kind:     hidden_remainder_x
      - .offset:         84
        .size:           2
        .value_kind:     hidden_remainder_y
      - .offset:         86
        .size:           2
        .value_kind:     hidden_remainder_z
      - .offset:         104
        .size:           8
        .value_kind:     hidden_global_offset_x
      - .offset:         112
        .size:           8
        .value_kind:     hidden_global_offset_y
      - .offset:         120
        .size:           8
        .value_kind:     hidden_global_offset_z
      - .offset:         128
        .size:           2
        .value_kind:     hidden_grid_dims
      - .offset:         184
        .size:           4
        .value_kind:     hidden_dynamic_lds_size
    .group_segment_fixed_size: 0
    .kernarg_segment_align: 8
    .kernarg_segment_size: 320
    .language:       OpenCL C
    .language_version:
      - 2
      - 0
    .max_flat_workgroup_size: 1024
    .name:           _ZN2at6native12_GLOBAL__N_135GammaBetaBackwardCUDAKernelTemplateIffLj64ELj16ELj128ELb0ELb0ELb1EEEvllPKT_S5_PKT0_S8_PS3_S9_
    .private_segment_fixed_size: 0
    .sgpr_count:     62
    .sgpr_spill_count: 0
    .symbol:         _ZN2at6native12_GLOBAL__N_135GammaBetaBackwardCUDAKernelTemplateIffLj64ELj16ELj128ELb0ELb0ELb1EEEvllPKT_S5_PKT0_S8_PS3_S9_.kd
    .uniform_work_group_size: 1
    .uses_dynamic_stack: false
    .vgpr_count:     98
    .vgpr_spill_count: 0
    .wavefront_size: 64
  - .agpr_count:     0
    .args:
      - .offset:         0
        .size:           8
        .value_kind:     by_value
      - .offset:         8
        .size:           8
        .value_kind:     by_value
      - .actual_access:  read_only
        .address_space:  global
        .offset:         16
        .size:           8
        .value_kind:     global_buffer
      - .actual_access:  read_only
        .address_space:  global
        .offset:         24
        .size:           8
        .value_kind:     global_buffer
      - .actual_access:  read_only
        .address_space:  global
        .offset:         32
        .size:           8
        .value_kind:     global_buffer
      - .actual_access:  read_only
        .address_space:  global
        .offset:         40
        .size:           8
        .value_kind:     global_buffer
      - .actual_access:  write_only
        .address_space:  global
        .offset:         48
        .size:           8
        .value_kind:     global_buffer
      - .actual_access:  read_only
        .address_space:  global
        .offset:         56
        .size:           8
        .value_kind:     global_buffer
      - .offset:         64
        .size:           4
        .value_kind:     hidden_block_count_x
      - .offset:         68
        .size:           4
        .value_kind:     hidden_block_count_y
      - .offset:         72
        .size:           4
        .value_kind:     hidden_block_count_z
      - .offset:         76
        .size:           2
        .value_kind:     hidden_group_size_x
      - .offset:         78
        .size:           2
        .value_kind:     hidden_group_size_y
      - .offset:         80
        .size:           2
        .value_kind:     hidden_group_size_z
      - .offset:         82
        .size:           2
        .value_kind:     hidden_remainder_x
      - .offset:         84
        .size:           2
        .value_kind:     hidden_remainder_y
      - .offset:         86
        .size:           2
        .value_kind:     hidden_remainder_z
      - .offset:         104
        .size:           8
        .value_kind:     hidden_global_offset_x
      - .offset:         112
        .size:           8
        .value_kind:     hidden_global_offset_y
      - .offset:         120
        .size:           8
        .value_kind:     hidden_global_offset_z
      - .offset:         128
        .size:           2
        .value_kind:     hidden_grid_dims
      - .offset:         184
        .size:           4
        .value_kind:     hidden_dynamic_lds_size
    .group_segment_fixed_size: 0
    .kernarg_segment_align: 8
    .kernarg_segment_size: 320
    .language:       OpenCL C
    .language_version:
      - 2
      - 0
    .max_flat_workgroup_size: 1024
    .name:           _ZN2at6native12_GLOBAL__N_135GammaBetaBackwardCUDAKernelTemplateIffLj64ELj16ELj256ELb0ELb1ELb1EEEvllPKT_S5_PKT0_S8_PS3_S9_
    .private_segment_fixed_size: 0
    .sgpr_count:     32
    .sgpr_spill_count: 0
    .symbol:         _ZN2at6native12_GLOBAL__N_135GammaBetaBackwardCUDAKernelTemplateIffLj64ELj16ELj256ELb0ELb1ELb1EEEvllPKT_S5_PKT0_S8_PS3_S9_.kd
    .uniform_work_group_size: 1
    .uses_dynamic_stack: false
    .vgpr_count:     71
    .vgpr_spill_count: 0
    .wavefront_size: 64
  - .agpr_count:     0
    .args:
      - .offset:         0
        .size:           8
        .value_kind:     by_value
      - .offset:         8
        .size:           8
        .value_kind:     by_value
      - .actual_access:  read_only
        .address_space:  global
        .offset:         16
        .size:           8
        .value_kind:     global_buffer
      - .actual_access:  read_only
        .address_space:  global
        .offset:         24
        .size:           8
        .value_kind:     global_buffer
      - .actual_access:  read_only
        .address_space:  global
        .offset:         32
        .size:           8
        .value_kind:     global_buffer
      - .actual_access:  read_only
        .address_space:  global
        .offset:         40
        .size:           8
        .value_kind:     global_buffer
      - .actual_access:  write_only
        .address_space:  global
        .offset:         48
        .size:           8
        .value_kind:     global_buffer
      - .actual_access:  read_only
        .address_space:  global
        .offset:         56
        .size:           8
        .value_kind:     global_buffer
      - .offset:         64
        .size:           4
        .value_kind:     hidden_block_count_x
      - .offset:         68
        .size:           4
        .value_kind:     hidden_block_count_y
      - .offset:         72
        .size:           4
        .value_kind:     hidden_block_count_z
      - .offset:         76
        .size:           2
        .value_kind:     hidden_group_size_x
      - .offset:         78
        .size:           2
        .value_kind:     hidden_group_size_y
      - .offset:         80
        .size:           2
        .value_kind:     hidden_group_size_z
      - .offset:         82
        .size:           2
        .value_kind:     hidden_remainder_x
      - .offset:         84
        .size:           2
        .value_kind:     hidden_remainder_y
      - .offset:         86
        .size:           2
        .value_kind:     hidden_remainder_z
      - .offset:         104
        .size:           8
        .value_kind:     hidden_global_offset_x
      - .offset:         112
        .size:           8
        .value_kind:     hidden_global_offset_y
      - .offset:         120
        .size:           8
        .value_kind:     hidden_global_offset_z
      - .offset:         128
        .size:           2
        .value_kind:     hidden_grid_dims
      - .offset:         184
        .size:           4
        .value_kind:     hidden_dynamic_lds_size
    .group_segment_fixed_size: 0
    .kernarg_segment_align: 8
    .kernarg_segment_size: 320
    .language:       OpenCL C
    .language_version:
      - 2
      - 0
    .max_flat_workgroup_size: 1024
    .name:           _ZN2at6native12_GLOBAL__N_135GammaBetaBackwardCUDAKernelTemplateIffLj64ELj16ELj256ELb0ELb0ELb1EEEvllPKT_S5_PKT0_S8_PS3_S9_
    .private_segment_fixed_size: 224
    .sgpr_count:     86
    .sgpr_spill_count: 0
    .symbol:         _ZN2at6native12_GLOBAL__N_135GammaBetaBackwardCUDAKernelTemplateIffLj64ELj16ELj256ELb0ELb0ELb1EEEvllPKT_S5_PKT0_S8_PS3_S9_.kd
    .uniform_work_group_size: 1
    .uses_dynamic_stack: false
    .vgpr_count:     128
    .vgpr_spill_count: 107
    .wavefront_size: 64
  - .agpr_count:     0
    .args:
      - .offset:         0
        .size:           8
        .value_kind:     by_value
      - .offset:         8
        .size:           8
        .value_kind:     by_value
      - .actual_access:  read_only
        .address_space:  global
        .offset:         16
        .size:           8
        .value_kind:     global_buffer
      - .actual_access:  read_only
        .address_space:  global
        .offset:         24
        .size:           8
        .value_kind:     global_buffer
      - .actual_access:  read_only
        .address_space:  global
        .offset:         32
        .size:           8
        .value_kind:     global_buffer
      - .actual_access:  read_only
        .address_space:  global
        .offset:         40
        .size:           8
        .value_kind:     global_buffer
      - .actual_access:  write_only
        .address_space:  global
        .offset:         48
        .size:           8
        .value_kind:     global_buffer
      - .actual_access:  read_only
        .address_space:  global
        .offset:         56
        .size:           8
        .value_kind:     global_buffer
      - .offset:         64
        .size:           4
        .value_kind:     hidden_block_count_x
      - .offset:         68
        .size:           4
        .value_kind:     hidden_block_count_y
      - .offset:         72
        .size:           4
        .value_kind:     hidden_block_count_z
      - .offset:         76
        .size:           2
        .value_kind:     hidden_group_size_x
      - .offset:         78
        .size:           2
        .value_kind:     hidden_group_size_y
      - .offset:         80
        .size:           2
        .value_kind:     hidden_group_size_z
      - .offset:         82
        .size:           2
        .value_kind:     hidden_remainder_x
      - .offset:         84
        .size:           2
        .value_kind:     hidden_remainder_y
      - .offset:         86
        .size:           2
        .value_kind:     hidden_remainder_z
      - .offset:         104
        .size:           8
        .value_kind:     hidden_global_offset_x
      - .offset:         112
        .size:           8
        .value_kind:     hidden_global_offset_y
      - .offset:         120
        .size:           8
        .value_kind:     hidden_global_offset_z
      - .offset:         128
        .size:           2
        .value_kind:     hidden_grid_dims
    .group_segment_fixed_size: 0
    .kernarg_segment_align: 8
    .kernarg_segment_size: 320
    .language:       OpenCL C
    .language_version:
      - 2
      - 0
    .max_flat_workgroup_size: 32
    .name:           _ZN2at6native12_GLOBAL__N_135GammaBetaBackwardCUDAKernelTemplateIffLj32ELj1ELj32ELb1ELb1ELb1EEEvllPKT_S5_PKT0_S8_PS3_S9_
    .private_segment_fixed_size: 0
    .sgpr_count:     38
    .sgpr_spill_count: 0
    .symbol:         _ZN2at6native12_GLOBAL__N_135GammaBetaBackwardCUDAKernelTemplateIffLj32ELj1ELj32ELb1ELb1ELb1EEEvllPKT_S5_PKT0_S8_PS3_S9_.kd
    .uniform_work_group_size: 1
    .uses_dynamic_stack: false
    .vgpr_count:     113
    .vgpr_spill_count: 0
    .wavefront_size: 64
  - .agpr_count:     101
    .args:
      - .offset:         0
        .size:           8
        .value_kind:     by_value
      - .offset:         8
        .size:           8
        .value_kind:     by_value
      - .actual_access:  read_only
        .address_space:  global
        .offset:         16
        .size:           8
        .value_kind:     global_buffer
      - .actual_access:  read_only
        .address_space:  global
        .offset:         24
        .size:           8
        .value_kind:     global_buffer
      - .actual_access:  read_only
        .address_space:  global
        .offset:         32
        .size:           8
        .value_kind:     global_buffer
      - .actual_access:  read_only
        .address_space:  global
        .offset:         40
        .size:           8
        .value_kind:     global_buffer
      - .actual_access:  write_only
        .address_space:  global
        .offset:         48
        .size:           8
        .value_kind:     global_buffer
      - .actual_access:  read_only
        .address_space:  global
        .offset:         56
        .size:           8
        .value_kind:     global_buffer
      - .offset:         64
        .size:           4
        .value_kind:     hidden_block_count_x
      - .offset:         68
        .size:           4
        .value_kind:     hidden_block_count_y
      - .offset:         72
        .size:           4
        .value_kind:     hidden_block_count_z
      - .offset:         76
        .size:           2
        .value_kind:     hidden_group_size_x
      - .offset:         78
        .size:           2
        .value_kind:     hidden_group_size_y
      - .offset:         80
        .size:           2
        .value_kind:     hidden_group_size_z
      - .offset:         82
        .size:           2
        .value_kind:     hidden_remainder_x
      - .offset:         84
        .size:           2
        .value_kind:     hidden_remainder_y
      - .offset:         86
        .size:           2
        .value_kind:     hidden_remainder_z
      - .offset:         104
        .size:           8
        .value_kind:     hidden_global_offset_x
      - .offset:         112
        .size:           8
        .value_kind:     hidden_global_offset_y
      - .offset:         120
        .size:           8
        .value_kind:     hidden_global_offset_z
      - .offset:         128
        .size:           2
        .value_kind:     hidden_grid_dims
    .group_segment_fixed_size: 0
    .kernarg_segment_align: 8
    .kernarg_segment_size: 320
    .language:       OpenCL C
    .language_version:
      - 2
      - 0
    .max_flat_workgroup_size: 32
    .name:           _ZN2at6native12_GLOBAL__N_135GammaBetaBackwardCUDAKernelTemplateIffLj32ELj1ELj32ELb1ELb0ELb1EEEvllPKT_S5_PKT0_S8_PS3_S9_
    .private_segment_fixed_size: 0
    .sgpr_count:     44
    .sgpr_spill_count: 0
    .symbol:         _ZN2at6native12_GLOBAL__N_135GammaBetaBackwardCUDAKernelTemplateIffLj32ELj1ELj32ELb1ELb0ELb1EEEvllPKT_S5_PKT0_S8_PS3_S9_.kd
    .uniform_work_group_size: 1
    .uses_dynamic_stack: false
    .vgpr_count:     357
    .vgpr_spill_count: 48
    .wavefront_size: 64
  - .agpr_count:     0
    .args:
      - .offset:         0
        .size:           8
        .value_kind:     by_value
      - .offset:         8
        .size:           8
        .value_kind:     by_value
      - .actual_access:  read_only
        .address_space:  global
        .offset:         16
        .size:           8
        .value_kind:     global_buffer
      - .actual_access:  read_only
        .address_space:  global
        .offset:         24
        .size:           8
        .value_kind:     global_buffer
      - .actual_access:  read_only
        .address_space:  global
        .offset:         32
        .size:           8
        .value_kind:     global_buffer
      - .actual_access:  read_only
        .address_space:  global
        .offset:         40
        .size:           8
        .value_kind:     global_buffer
      - .actual_access:  write_only
        .address_space:  global
        .offset:         48
        .size:           8
        .value_kind:     global_buffer
      - .actual_access:  read_only
        .address_space:  global
        .offset:         56
        .size:           8
        .value_kind:     global_buffer
      - .offset:         64
        .size:           4
        .value_kind:     hidden_block_count_x
      - .offset:         68
        .size:           4
        .value_kind:     hidden_block_count_y
      - .offset:         72
        .size:           4
        .value_kind:     hidden_block_count_z
      - .offset:         76
        .size:           2
        .value_kind:     hidden_group_size_x
      - .offset:         78
        .size:           2
        .value_kind:     hidden_group_size_y
      - .offset:         80
        .size:           2
        .value_kind:     hidden_group_size_z
      - .offset:         82
        .size:           2
        .value_kind:     hidden_remainder_x
      - .offset:         84
        .size:           2
        .value_kind:     hidden_remainder_y
      - .offset:         86
        .size:           2
        .value_kind:     hidden_remainder_z
      - .offset:         104
        .size:           8
        .value_kind:     hidden_global_offset_x
      - .offset:         112
        .size:           8
        .value_kind:     hidden_global_offset_y
      - .offset:         120
        .size:           8
        .value_kind:     hidden_global_offset_z
      - .offset:         128
        .size:           2
        .value_kind:     hidden_grid_dims
    .group_segment_fixed_size: 0
    .kernarg_segment_align: 8
    .kernarg_segment_size: 320
    .language:       OpenCL C
    .language_version:
      - 2
      - 0
    .max_flat_workgroup_size: 32
    .name:           _ZN2at6native12_GLOBAL__N_135GammaBetaBackwardCUDAKernelTemplateIffLj32ELj1ELj8ELb1ELb1ELb1EEEvllPKT_S5_PKT0_S8_PS3_S9_
    .private_segment_fixed_size: 0
    .sgpr_count:     38
    .sgpr_spill_count: 0
    .symbol:         _ZN2at6native12_GLOBAL__N_135GammaBetaBackwardCUDAKernelTemplateIffLj32ELj1ELj8ELb1ELb1ELb1EEEvllPKT_S5_PKT0_S8_PS3_S9_.kd
    .uniform_work_group_size: 1
    .uses_dynamic_stack: false
    .vgpr_count:     44
    .vgpr_spill_count: 0
    .wavefront_size: 64
  - .agpr_count:     0
    .args:
      - .offset:         0
        .size:           8
        .value_kind:     by_value
      - .offset:         8
        .size:           8
        .value_kind:     by_value
      - .actual_access:  read_only
        .address_space:  global
        .offset:         16
        .size:           8
        .value_kind:     global_buffer
      - .actual_access:  read_only
        .address_space:  global
        .offset:         24
        .size:           8
        .value_kind:     global_buffer
      - .actual_access:  read_only
        .address_space:  global
        .offset:         32
        .size:           8
        .value_kind:     global_buffer
      - .actual_access:  read_only
        .address_space:  global
        .offset:         40
        .size:           8
        .value_kind:     global_buffer
      - .actual_access:  write_only
        .address_space:  global
        .offset:         48
        .size:           8
        .value_kind:     global_buffer
      - .actual_access:  read_only
        .address_space:  global
        .offset:         56
        .size:           8
        .value_kind:     global_buffer
      - .offset:         64
        .size:           4
        .value_kind:     hidden_block_count_x
      - .offset:         68
        .size:           4
        .value_kind:     hidden_block_count_y
      - .offset:         72
        .size:           4
        .value_kind:     hidden_block_count_z
      - .offset:         76
        .size:           2
        .value_kind:     hidden_group_size_x
      - .offset:         78
        .size:           2
        .value_kind:     hidden_group_size_y
      - .offset:         80
        .size:           2
        .value_kind:     hidden_group_size_z
      - .offset:         82
        .size:           2
        .value_kind:     hidden_remainder_x
      - .offset:         84
        .size:           2
        .value_kind:     hidden_remainder_y
      - .offset:         86
        .size:           2
        .value_kind:     hidden_remainder_z
      - .offset:         104
        .size:           8
        .value_kind:     hidden_global_offset_x
      - .offset:         112
        .size:           8
        .value_kind:     hidden_global_offset_y
      - .offset:         120
        .size:           8
        .value_kind:     hidden_global_offset_z
      - .offset:         128
        .size:           2
        .value_kind:     hidden_grid_dims
    .group_segment_fixed_size: 0
    .kernarg_segment_align: 8
    .kernarg_segment_size: 320
    .language:       OpenCL C
    .language_version:
      - 2
      - 0
    .max_flat_workgroup_size: 32
    .name:           _ZN2at6native12_GLOBAL__N_135GammaBetaBackwardCUDAKernelTemplateIffLj32ELj1ELj8ELb1ELb0ELb1EEEvllPKT_S5_PKT0_S8_PS3_S9_
    .private_segment_fixed_size: 0
    .sgpr_count:     50
    .sgpr_spill_count: 0
    .symbol:         _ZN2at6native12_GLOBAL__N_135GammaBetaBackwardCUDAKernelTemplateIffLj32ELj1ELj8ELb1ELb0ELb1EEEvllPKT_S5_PKT0_S8_PS3_S9_.kd
    .uniform_work_group_size: 1
    .uses_dynamic_stack: false
    .vgpr_count:     98
    .vgpr_spill_count: 0
    .wavefront_size: 64
  - .agpr_count:     0
    .args:
      - .offset:         0
        .size:           8
        .value_kind:     by_value
      - .offset:         8
        .size:           8
        .value_kind:     by_value
      - .actual_access:  read_only
        .address_space:  global
        .offset:         16
        .size:           8
        .value_kind:     global_buffer
      - .actual_access:  read_only
        .address_space:  global
        .offset:         24
        .size:           8
        .value_kind:     global_buffer
      - .actual_access:  read_only
        .address_space:  global
        .offset:         32
        .size:           8
        .value_kind:     global_buffer
      - .actual_access:  read_only
        .address_space:  global
        .offset:         40
        .size:           8
        .value_kind:     global_buffer
      - .actual_access:  write_only
        .address_space:  global
        .offset:         48
        .size:           8
        .value_kind:     global_buffer
      - .actual_access:  read_only
        .address_space:  global
        .offset:         56
        .size:           8
        .value_kind:     global_buffer
      - .offset:         64
        .size:           4
        .value_kind:     hidden_block_count_x
      - .offset:         68
        .size:           4
        .value_kind:     hidden_block_count_y
      - .offset:         72
        .size:           4
        .value_kind:     hidden_block_count_z
      - .offset:         76
        .size:           2
        .value_kind:     hidden_group_size_x
      - .offset:         78
        .size:           2
        .value_kind:     hidden_group_size_y
      - .offset:         80
        .size:           2
        .value_kind:     hidden_group_size_z
      - .offset:         82
        .size:           2
        .value_kind:     hidden_remainder_x
      - .offset:         84
        .size:           2
        .value_kind:     hidden_remainder_y
      - .offset:         86
        .size:           2
        .value_kind:     hidden_remainder_z
      - .offset:         104
        .size:           8
        .value_kind:     hidden_global_offset_x
      - .offset:         112
        .size:           8
        .value_kind:     hidden_global_offset_y
      - .offset:         120
        .size:           8
        .value_kind:     hidden_global_offset_z
      - .offset:         128
        .size:           2
        .value_kind:     hidden_grid_dims
      - .offset:         184
        .size:           4
        .value_kind:     hidden_dynamic_lds_size
    .group_segment_fixed_size: 0
    .kernarg_segment_align: 8
    .kernarg_segment_size: 320
    .language:       OpenCL C
    .language_version:
      - 2
      - 0
    .max_flat_workgroup_size: 256
    .name:           _ZN2at6native12_GLOBAL__N_135GammaBetaBackwardCUDAKernelTemplateIffLj32ELj8ELj64ELb0ELb1ELb1EEEvllPKT_S5_PKT0_S8_PS3_S9_
    .private_segment_fixed_size: 0
    .sgpr_count:     32
    .sgpr_spill_count: 0
    .symbol:         _ZN2at6native12_GLOBAL__N_135GammaBetaBackwardCUDAKernelTemplateIffLj32ELj8ELj64ELb0ELb1ELb1EEEvllPKT_S5_PKT0_S8_PS3_S9_.kd
    .uniform_work_group_size: 1
    .uses_dynamic_stack: false
    .vgpr_count:     46
    .vgpr_spill_count: 0
    .wavefront_size: 64
  - .agpr_count:     0
    .args:
      - .offset:         0
        .size:           8
        .value_kind:     by_value
      - .offset:         8
        .size:           8
        .value_kind:     by_value
      - .actual_access:  read_only
        .address_space:  global
        .offset:         16
        .size:           8
        .value_kind:     global_buffer
      - .actual_access:  read_only
        .address_space:  global
        .offset:         24
        .size:           8
        .value_kind:     global_buffer
      - .actual_access:  read_only
        .address_space:  global
        .offset:         32
        .size:           8
        .value_kind:     global_buffer
      - .actual_access:  read_only
        .address_space:  global
        .offset:         40
        .size:           8
        .value_kind:     global_buffer
      - .actual_access:  write_only
        .address_space:  global
        .offset:         48
        .size:           8
        .value_kind:     global_buffer
      - .actual_access:  read_only
        .address_space:  global
        .offset:         56
        .size:           8
        .value_kind:     global_buffer
      - .offset:         64
        .size:           4
        .value_kind:     hidden_block_count_x
      - .offset:         68
        .size:           4
        .value_kind:     hidden_block_count_y
      - .offset:         72
        .size:           4
        .value_kind:     hidden_block_count_z
      - .offset:         76
        .size:           2
        .value_kind:     hidden_group_size_x
      - .offset:         78
        .size:           2
        .value_kind:     hidden_group_size_y
      - .offset:         80
        .size:           2
        .value_kind:     hidden_group_size_z
      - .offset:         82
        .size:           2
        .value_kind:     hidden_remainder_x
      - .offset:         84
        .size:           2
        .value_kind:     hidden_remainder_y
      - .offset:         86
        .size:           2
        .value_kind:     hidden_remainder_z
      - .offset:         104
        .size:           8
        .value_kind:     hidden_global_offset_x
      - .offset:         112
        .size:           8
        .value_kind:     hidden_global_offset_y
      - .offset:         120
        .size:           8
        .value_kind:     hidden_global_offset_z
      - .offset:         128
        .size:           2
        .value_kind:     hidden_grid_dims
      - .offset:         184
        .size:           4
        .value_kind:     hidden_dynamic_lds_size
    .group_segment_fixed_size: 0
    .kernarg_segment_align: 8
    .kernarg_segment_size: 320
    .language:       OpenCL C
    .language_version:
      - 2
      - 0
    .max_flat_workgroup_size: 256
    .name:           _ZN2at6native12_GLOBAL__N_135GammaBetaBackwardCUDAKernelTemplateIffLj32ELj8ELj64ELb0ELb0ELb1EEEvllPKT_S5_PKT0_S8_PS3_S9_
    .private_segment_fixed_size: 0
    .sgpr_count:     62
    .sgpr_spill_count: 0
    .symbol:         _ZN2at6native12_GLOBAL__N_135GammaBetaBackwardCUDAKernelTemplateIffLj32ELj8ELj64ELb0ELb0ELb1EEEvllPKT_S5_PKT0_S8_PS3_S9_.kd
    .uniform_work_group_size: 1
    .uses_dynamic_stack: false
    .vgpr_count:     98
    .vgpr_spill_count: 0
    .wavefront_size: 64
  - .agpr_count:     0
    .args:
      - .offset:         0
        .size:           8
        .value_kind:     by_value
      - .offset:         8
        .size:           8
        .value_kind:     by_value
      - .actual_access:  read_only
        .address_space:  global
        .offset:         16
        .size:           8
        .value_kind:     global_buffer
      - .actual_access:  read_only
        .address_space:  global
        .offset:         24
        .size:           8
        .value_kind:     global_buffer
      - .actual_access:  read_only
        .address_space:  global
        .offset:         32
        .size:           8
        .value_kind:     global_buffer
      - .actual_access:  read_only
        .address_space:  global
        .offset:         40
        .size:           8
        .value_kind:     global_buffer
      - .actual_access:  write_only
        .address_space:  global
        .offset:         48
        .size:           8
        .value_kind:     global_buffer
      - .actual_access:  read_only
        .address_space:  global
        .offset:         56
        .size:           8
        .value_kind:     global_buffer
      - .offset:         64
        .size:           4
        .value_kind:     hidden_block_count_x
      - .offset:         68
        .size:           4
        .value_kind:     hidden_block_count_y
      - .offset:         72
        .size:           4
        .value_kind:     hidden_block_count_z
      - .offset:         76
        .size:           2
        .value_kind:     hidden_group_size_x
      - .offset:         78
        .size:           2
        .value_kind:     hidden_group_size_y
      - .offset:         80
        .size:           2
        .value_kind:     hidden_group_size_z
      - .offset:         82
        .size:           2
        .value_kind:     hidden_remainder_x
      - .offset:         84
        .size:           2
        .value_kind:     hidden_remainder_y
      - .offset:         86
        .size:           2
        .value_kind:     hidden_remainder_z
      - .offset:         104
        .size:           8
        .value_kind:     hidden_global_offset_x
      - .offset:         112
        .size:           8
        .value_kind:     hidden_global_offset_y
      - .offset:         120
        .size:           8
        .value_kind:     hidden_global_offset_z
      - .offset:         128
        .size:           2
        .value_kind:     hidden_grid_dims
      - .offset:         184
        .size:           4
        .value_kind:     hidden_dynamic_lds_size
    .group_segment_fixed_size: 0
    .kernarg_segment_align: 8
    .kernarg_segment_size: 320
    .language:       OpenCL C
    .language_version:
      - 2
      - 0
    .max_flat_workgroup_size: 512
    .name:           _ZN2at6native12_GLOBAL__N_135GammaBetaBackwardCUDAKernelTemplateIffLj32ELj16ELj128ELb0ELb1ELb1EEEvllPKT_S5_PKT0_S8_PS3_S9_
    .private_segment_fixed_size: 0
    .sgpr_count:     32
    .sgpr_spill_count: 0
    .symbol:         _ZN2at6native12_GLOBAL__N_135GammaBetaBackwardCUDAKernelTemplateIffLj32ELj16ELj128ELb0ELb1ELb1EEEvllPKT_S5_PKT0_S8_PS3_S9_.kd
    .uniform_work_group_size: 1
    .uses_dynamic_stack: false
    .vgpr_count:     46
    .vgpr_spill_count: 0
    .wavefront_size: 64
  - .agpr_count:     0
    .args:
      - .offset:         0
        .size:           8
        .value_kind:     by_value
      - .offset:         8
        .size:           8
        .value_kind:     by_value
      - .actual_access:  read_only
        .address_space:  global
        .offset:         16
        .size:           8
        .value_kind:     global_buffer
      - .actual_access:  read_only
        .address_space:  global
        .offset:         24
        .size:           8
        .value_kind:     global_buffer
      - .actual_access:  read_only
        .address_space:  global
        .offset:         32
        .size:           8
        .value_kind:     global_buffer
      - .actual_access:  read_only
        .address_space:  global
        .offset:         40
        .size:           8
        .value_kind:     global_buffer
      - .actual_access:  write_only
        .address_space:  global
        .offset:         48
        .size:           8
        .value_kind:     global_buffer
      - .actual_access:  read_only
        .address_space:  global
        .offset:         56
        .size:           8
        .value_kind:     global_buffer
      - .offset:         64
        .size:           4
        .value_kind:     hidden_block_count_x
      - .offset:         68
        .size:           4
        .value_kind:     hidden_block_count_y
      - .offset:         72
        .size:           4
        .value_kind:     hidden_block_count_z
      - .offset:         76
        .size:           2
        .value_kind:     hidden_group_size_x
      - .offset:         78
        .size:           2
        .value_kind:     hidden_group_size_y
      - .offset:         80
        .size:           2
        .value_kind:     hidden_group_size_z
      - .offset:         82
        .size:           2
        .value_kind:     hidden_remainder_x
      - .offset:         84
        .size:           2
        .value_kind:     hidden_remainder_y
      - .offset:         86
        .size:           2
        .value_kind:     hidden_remainder_z
      - .offset:         104
        .size:           8
        .value_kind:     hidden_global_offset_x
      - .offset:         112
        .size:           8
        .value_kind:     hidden_global_offset_y
      - .offset:         120
        .size:           8
        .value_kind:     hidden_global_offset_z
      - .offset:         128
        .size:           2
        .value_kind:     hidden_grid_dims
      - .offset:         184
        .size:           4
        .value_kind:     hidden_dynamic_lds_size
    .group_segment_fixed_size: 0
    .kernarg_segment_align: 8
    .kernarg_segment_size: 320
    .language:       OpenCL C
    .language_version:
      - 2
      - 0
    .max_flat_workgroup_size: 512
    .name:           _ZN2at6native12_GLOBAL__N_135GammaBetaBackwardCUDAKernelTemplateIffLj32ELj16ELj128ELb0ELb0ELb1EEEvllPKT_S5_PKT0_S8_PS3_S9_
    .private_segment_fixed_size: 0
    .sgpr_count:     62
    .sgpr_spill_count: 0
    .symbol:         _ZN2at6native12_GLOBAL__N_135GammaBetaBackwardCUDAKernelTemplateIffLj32ELj16ELj128ELb0ELb0ELb1EEEvllPKT_S5_PKT0_S8_PS3_S9_.kd
    .uniform_work_group_size: 1
    .uses_dynamic_stack: false
    .vgpr_count:     98
    .vgpr_spill_count: 0
    .wavefront_size: 64
  - .agpr_count:     0
    .args:
      - .offset:         0
        .size:           8
        .value_kind:     by_value
      - .offset:         8
        .size:           8
        .value_kind:     by_value
      - .actual_access:  read_only
        .address_space:  global
        .offset:         16
        .size:           8
        .value_kind:     global_buffer
      - .actual_access:  read_only
        .address_space:  global
        .offset:         24
        .size:           8
        .value_kind:     global_buffer
      - .actual_access:  read_only
        .address_space:  global
        .offset:         32
        .size:           8
        .value_kind:     global_buffer
      - .actual_access:  read_only
        .address_space:  global
        .offset:         40
        .size:           8
        .value_kind:     global_buffer
      - .actual_access:  write_only
        .address_space:  global
        .offset:         48
        .size:           8
        .value_kind:     global_buffer
      - .actual_access:  read_only
        .address_space:  global
        .offset:         56
        .size:           8
        .value_kind:     global_buffer
      - .offset:         64
        .size:           4
        .value_kind:     hidden_block_count_x
      - .offset:         68
        .size:           4
        .value_kind:     hidden_block_count_y
      - .offset:         72
        .size:           4
        .value_kind:     hidden_block_count_z
      - .offset:         76
        .size:           2
        .value_kind:     hidden_group_size_x
      - .offset:         78
        .size:           2
        .value_kind:     hidden_group_size_y
      - .offset:         80
        .size:           2
        .value_kind:     hidden_group_size_z
      - .offset:         82
        .size:           2
        .value_kind:     hidden_remainder_x
      - .offset:         84
        .size:           2
        .value_kind:     hidden_remainder_y
      - .offset:         86
        .size:           2
        .value_kind:     hidden_remainder_z
      - .offset:         104
        .size:           8
        .value_kind:     hidden_global_offset_x
      - .offset:         112
        .size:           8
        .value_kind:     hidden_global_offset_y
      - .offset:         120
        .size:           8
        .value_kind:     hidden_global_offset_z
      - .offset:         128
        .size:           2
        .value_kind:     hidden_grid_dims
      - .offset:         184
        .size:           4
        .value_kind:     hidden_dynamic_lds_size
    .group_segment_fixed_size: 0
    .kernarg_segment_align: 8
    .kernarg_segment_size: 320
    .language:       OpenCL C
    .language_version:
      - 2
      - 0
    .max_flat_workgroup_size: 1024
    .name:           _ZN2at6native12_GLOBAL__N_135GammaBetaBackwardCUDAKernelTemplateIffLj32ELj32ELj256ELb0ELb1ELb1EEEvllPKT_S5_PKT0_S8_PS3_S9_
    .private_segment_fixed_size: 0
    .sgpr_count:     32
    .sgpr_spill_count: 0
    .symbol:         _ZN2at6native12_GLOBAL__N_135GammaBetaBackwardCUDAKernelTemplateIffLj32ELj32ELj256ELb0ELb1ELb1EEEvllPKT_S5_PKT0_S8_PS3_S9_.kd
    .uniform_work_group_size: 1
    .uses_dynamic_stack: false
    .vgpr_count:     46
    .vgpr_spill_count: 0
    .wavefront_size: 64
  - .agpr_count:     0
    .args:
      - .offset:         0
        .size:           8
        .value_kind:     by_value
      - .offset:         8
        .size:           8
        .value_kind:     by_value
      - .actual_access:  read_only
        .address_space:  global
        .offset:         16
        .size:           8
        .value_kind:     global_buffer
      - .actual_access:  read_only
        .address_space:  global
        .offset:         24
        .size:           8
        .value_kind:     global_buffer
      - .actual_access:  read_only
        .address_space:  global
        .offset:         32
        .size:           8
        .value_kind:     global_buffer
      - .actual_access:  read_only
        .address_space:  global
        .offset:         40
        .size:           8
        .value_kind:     global_buffer
      - .actual_access:  write_only
        .address_space:  global
        .offset:         48
        .size:           8
        .value_kind:     global_buffer
      - .actual_access:  read_only
        .address_space:  global
        .offset:         56
        .size:           8
        .value_kind:     global_buffer
      - .offset:         64
        .size:           4
        .value_kind:     hidden_block_count_x
      - .offset:         68
        .size:           4
        .value_kind:     hidden_block_count_y
      - .offset:         72
        .size:           4
        .value_kind:     hidden_block_count_z
      - .offset:         76
        .size:           2
        .value_kind:     hidden_group_size_x
      - .offset:         78
        .size:           2
        .value_kind:     hidden_group_size_y
      - .offset:         80
        .size:           2
        .value_kind:     hidden_group_size_z
      - .offset:         82
        .size:           2
        .value_kind:     hidden_remainder_x
      - .offset:         84
        .size:           2
        .value_kind:     hidden_remainder_y
      - .offset:         86
        .size:           2
        .value_kind:     hidden_remainder_z
      - .offset:         104
        .size:           8
        .value_kind:     hidden_global_offset_x
      - .offset:         112
        .size:           8
        .value_kind:     hidden_global_offset_y
      - .offset:         120
        .size:           8
        .value_kind:     hidden_global_offset_z
      - .offset:         128
        .size:           2
        .value_kind:     hidden_grid_dims
      - .offset:         184
        .size:           4
        .value_kind:     hidden_dynamic_lds_size
    .group_segment_fixed_size: 0
    .kernarg_segment_align: 8
    .kernarg_segment_size: 320
    .language:       OpenCL C
    .language_version:
      - 2
      - 0
    .max_flat_workgroup_size: 1024
    .name:           _ZN2at6native12_GLOBAL__N_135GammaBetaBackwardCUDAKernelTemplateIffLj32ELj32ELj256ELb0ELb0ELb1EEEvllPKT_S5_PKT0_S8_PS3_S9_
    .private_segment_fixed_size: 0
    .sgpr_count:     62
    .sgpr_spill_count: 0
    .symbol:         _ZN2at6native12_GLOBAL__N_135GammaBetaBackwardCUDAKernelTemplateIffLj32ELj32ELj256ELb0ELb0ELb1EEEvllPKT_S5_PKT0_S8_PS3_S9_.kd
    .uniform_work_group_size: 1
    .uses_dynamic_stack: false
    .vgpr_count:     98
    .vgpr_spill_count: 0
    .wavefront_size: 64
  - .agpr_count:     0
    .args:
      - .actual_access:  read_only
        .address_space:  global
        .offset:         0
        .size:           8
        .value_kind:     global_buffer
      - .actual_access:  read_only
        .address_space:  global
        .offset:         8
        .size:           8
        .value_kind:     global_buffer
      - .offset:         16
        .size:           8
        .value_kind:     by_value
      - .offset:         24
        .size:           8
        .value_kind:     by_value
      - .actual_access:  read_only
        .address_space:  global
        .offset:         32
        .size:           8
        .value_kind:     global_buffer
      - .actual_access:  read_only
        .address_space:  global
        .offset:         40
        .size:           8
        .value_kind:     global_buffer
      - .address_space:  global
        .offset:         48
        .size:           8
        .value_kind:     global_buffer
      - .address_space:  global
        .offset:         56
        .size:           8
        .value_kind:     global_buffer
      - .offset:         64
        .size:           4
        .value_kind:     hidden_block_count_x
      - .offset:         68
        .size:           4
        .value_kind:     hidden_block_count_y
      - .offset:         72
        .size:           4
        .value_kind:     hidden_block_count_z
      - .offset:         76
        .size:           2
        .value_kind:     hidden_group_size_x
      - .offset:         78
        .size:           2
        .value_kind:     hidden_group_size_y
      - .offset:         80
        .size:           2
        .value_kind:     hidden_group_size_z
      - .offset:         82
        .size:           2
        .value_kind:     hidden_remainder_x
      - .offset:         84
        .size:           2
        .value_kind:     hidden_remainder_y
      - .offset:         86
        .size:           2
        .value_kind:     hidden_remainder_z
      - .offset:         104
        .size:           8
        .value_kind:     hidden_global_offset_x
      - .offset:         112
        .size:           8
        .value_kind:     hidden_global_offset_y
      - .offset:         120
        .size:           8
        .value_kind:     hidden_global_offset_z
      - .offset:         128
        .size:           2
        .value_kind:     hidden_grid_dims
      - .offset:         184
        .size:           4
        .value_kind:     hidden_dynamic_lds_size
    .group_segment_fixed_size: 0
    .kernarg_segment_align: 8
    .kernarg_segment_size: 320
    .language:       OpenCL C
    .language_version:
      - 2
      - 0
    .max_flat_workgroup_size: 1024
    .name:           _ZN2at6native12_GLOBAL__N_118cuComputeGradInputIN3c104HalfEfLb1EEEvPKT_S7_llPKT0_SA_S7_PS5_
    .private_segment_fixed_size: 0
    .sgpr_count:     54
    .sgpr_spill_count: 0
    .symbol:         _ZN2at6native12_GLOBAL__N_118cuComputeGradInputIN3c104HalfEfLb1EEEvPKT_S7_llPKT0_SA_S7_PS5_.kd
    .uniform_work_group_size: 1
    .uses_dynamic_stack: false
    .vgpr_count:     28
    .vgpr_spill_count: 0
    .wavefront_size: 64
  - .agpr_count:     0
    .args:
      - .actual_access:  read_only
        .address_space:  global
        .offset:         0
        .size:           8
        .value_kind:     global_buffer
      - .actual_access:  read_only
        .address_space:  global
        .offset:         8
        .size:           8
        .value_kind:     global_buffer
      - .actual_access:  read_only
        .address_space:  global
        .offset:         16
        .size:           8
        .value_kind:     global_buffer
      - .actual_access:  read_only
        .address_space:  global
        .offset:         24
        .size:           8
        .value_kind:     global_buffer
      - .actual_access:  read_only
        .address_space:  global
        .offset:         32
        .size:           8
        .value_kind:     global_buffer
      - .address_space:  global
        .offset:         40
        .size:           8
        .value_kind:     global_buffer
      - .offset:         48
        .size:           4
        .value_kind:     by_value
      - .offset:         56
        .size:           4
        .value_kind:     hidden_block_count_x
      - .offset:         60
        .size:           4
        .value_kind:     hidden_block_count_y
      - .offset:         64
        .size:           4
        .value_kind:     hidden_block_count_z
      - .offset:         68
        .size:           2
        .value_kind:     hidden_group_size_x
      - .offset:         70
        .size:           2
        .value_kind:     hidden_group_size_y
      - .offset:         72
        .size:           2
        .value_kind:     hidden_group_size_z
      - .offset:         74
        .size:           2
        .value_kind:     hidden_remainder_x
      - .offset:         76
        .size:           2
        .value_kind:     hidden_remainder_y
      - .offset:         78
        .size:           2
        .value_kind:     hidden_remainder_z
      - .offset:         96
        .size:           8
        .value_kind:     hidden_global_offset_x
      - .offset:         104
        .size:           8
        .value_kind:     hidden_global_offset_y
      - .offset:         112
        .size:           8
        .value_kind:     hidden_global_offset_z
      - .offset:         120
        .size:           2
        .value_kind:     hidden_grid_dims
      - .offset:         176
        .size:           4
        .value_kind:     hidden_dynamic_lds_size
    .group_segment_fixed_size: 0
    .kernarg_segment_align: 8
    .kernarg_segment_size: 312
    .language:       OpenCL C
    .language_version:
      - 2
      - 0
    .max_flat_workgroup_size: 1024
    .name:           _ZN2at6native12_GLOBAL__N_128layer_norm_grad_input_kernelIN3c104HalfEfLb1EEEvPKT_S7_PKT0_SA_S7_PS5_i
    .private_segment_fixed_size: 0
    .sgpr_count:     40
    .sgpr_spill_count: 0
    .symbol:         _ZN2at6native12_GLOBAL__N_128layer_norm_grad_input_kernelIN3c104HalfEfLb1EEEvPKT_S7_PKT0_SA_S7_PS5_i.kd
    .uniform_work_group_size: 1
    .uses_dynamic_stack: false
    .vgpr_count:     20
    .vgpr_spill_count: 0
    .wavefront_size: 64
  - .agpr_count:     0
    .args:
      - .offset:         0
        .size:           8
        .value_kind:     by_value
      - .offset:         8
        .size:           8
        .value_kind:     by_value
      - .address_space:  global
        .offset:         16
        .size:           8
        .value_kind:     global_buffer
      - .address_space:  global
        .offset:         24
        .size:           8
        .value_kind:     global_buffer
      - .address_space:  global
        .offset:         32
        .size:           8
        .value_kind:     global_buffer
      - .address_space:  global
        .offset:         40
        .size:           8
        .value_kind:     global_buffer
      - .address_space:  global
        .offset:         48
        .size:           8
        .value_kind:     global_buffer
      - .address_space:  global
        .offset:         56
        .size:           8
        .value_kind:     global_buffer
      - .offset:         64
        .size:           4
        .value_kind:     hidden_block_count_x
      - .offset:         68
        .size:           4
        .value_kind:     hidden_block_count_y
      - .offset:         72
        .size:           4
        .value_kind:     hidden_block_count_z
      - .offset:         76
        .size:           2
        .value_kind:     hidden_group_size_x
      - .offset:         78
        .size:           2
        .value_kind:     hidden_group_size_y
      - .offset:         80
        .size:           2
        .value_kind:     hidden_group_size_z
      - .offset:         82
        .size:           2
        .value_kind:     hidden_remainder_x
      - .offset:         84
        .size:           2
        .value_kind:     hidden_remainder_y
      - .offset:         86
        .size:           2
        .value_kind:     hidden_remainder_z
      - .offset:         104
        .size:           8
        .value_kind:     hidden_global_offset_x
      - .offset:         112
        .size:           8
        .value_kind:     hidden_global_offset_y
      - .offset:         120
        .size:           8
        .value_kind:     hidden_global_offset_z
      - .offset:         128
        .size:           2
        .value_kind:     hidden_grid_dims
    .group_segment_fixed_size: 0
    .kernarg_segment_align: 8
    .kernarg_segment_size: 320
    .language:       OpenCL C
    .language_version:
      - 2
      - 0
    .max_flat_workgroup_size: 1024
    .name:           _ZN2at6native12_GLOBAL__N_133GammaBetaBackwardSimpleCUDAKernelIN3c104HalfEfLb1EEEvllPKT_S7_PKT0_SA_PS5_SB_
    .private_segment_fixed_size: 0
    .sgpr_count:     22
    .sgpr_spill_count: 0
    .symbol:         _ZN2at6native12_GLOBAL__N_133GammaBetaBackwardSimpleCUDAKernelIN3c104HalfEfLb1EEEvllPKT_S7_PKT0_SA_PS5_SB_.kd
    .uniform_work_group_size: 1
    .uses_dynamic_stack: false
    .vgpr_count:     8
    .vgpr_spill_count: 0
    .wavefront_size: 64
  - .agpr_count:     0
    .args:
      - .offset:         0
        .size:           8
        .value_kind:     by_value
      - .offset:         8
        .size:           8
        .value_kind:     by_value
      - .actual_access:  read_only
        .address_space:  global
        .offset:         16
        .size:           8
        .value_kind:     global_buffer
      - .actual_access:  read_only
        .address_space:  global
        .offset:         24
        .size:           8
        .value_kind:     global_buffer
      - .actual_access:  read_only
        .address_space:  global
        .offset:         32
        .size:           8
        .value_kind:     global_buffer
      - .actual_access:  read_only
        .address_space:  global
        .offset:         40
        .size:           8
        .value_kind:     global_buffer
      - .actual_access:  write_only
        .address_space:  global
        .offset:         48
        .size:           8
        .value_kind:     global_buffer
      - .actual_access:  read_only
        .address_space:  global
        .offset:         56
        .size:           8
        .value_kind:     global_buffer
      - .offset:         64
        .size:           4
        .value_kind:     hidden_block_count_x
      - .offset:         68
        .size:           4
        .value_kind:     hidden_block_count_y
      - .offset:         72
        .size:           4
        .value_kind:     hidden_block_count_z
      - .offset:         76
        .size:           2
        .value_kind:     hidden_group_size_x
      - .offset:         78
        .size:           2
        .value_kind:     hidden_group_size_y
      - .offset:         80
        .size:           2
        .value_kind:     hidden_group_size_z
      - .offset:         82
        .size:           2
        .value_kind:     hidden_remainder_x
      - .offset:         84
        .size:           2
        .value_kind:     hidden_remainder_y
      - .offset:         86
        .size:           2
        .value_kind:     hidden_remainder_z
      - .offset:         104
        .size:           8
        .value_kind:     hidden_global_offset_x
      - .offset:         112
        .size:           8
        .value_kind:     hidden_global_offset_y
      - .offset:         120
        .size:           8
        .value_kind:     hidden_global_offset_z
      - .offset:         128
        .size:           2
        .value_kind:     hidden_grid_dims
    .group_segment_fixed_size: 0
    .kernarg_segment_align: 8
    .kernarg_segment_size: 320
    .language:       OpenCL C
    .language_version:
      - 2
      - 0
    .max_flat_workgroup_size: 64
    .name:           _ZN2at6native12_GLOBAL__N_135GammaBetaBackwardCUDAKernelTemplateIN3c104HalfEfLj64ELj1ELj32ELb1ELb1ELb1EEEvllPKT_S7_PKT0_SA_PS5_SB_
    .private_segment_fixed_size: 0
    .sgpr_count:     38
    .sgpr_spill_count: 0
    .symbol:         _ZN2at6native12_GLOBAL__N_135GammaBetaBackwardCUDAKernelTemplateIN3c104HalfEfLj64ELj1ELj32ELb1ELb1ELb1EEEvllPKT_S7_PKT0_SA_PS5_SB_.kd
    .uniform_work_group_size: 1
    .uses_dynamic_stack: false
    .vgpr_count:     63
    .vgpr_spill_count: 0
    .wavefront_size: 64
  - .agpr_count:     83
    .args:
      - .offset:         0
        .size:           8
        .value_kind:     by_value
      - .offset:         8
        .size:           8
        .value_kind:     by_value
      - .actual_access:  read_only
        .address_space:  global
        .offset:         16
        .size:           8
        .value_kind:     global_buffer
      - .actual_access:  read_only
        .address_space:  global
        .offset:         24
        .size:           8
        .value_kind:     global_buffer
      - .actual_access:  read_only
        .address_space:  global
        .offset:         32
        .size:           8
        .value_kind:     global_buffer
      - .actual_access:  read_only
        .address_space:  global
        .offset:         40
        .size:           8
        .value_kind:     global_buffer
      - .actual_access:  write_only
        .address_space:  global
        .offset:         48
        .size:           8
        .value_kind:     global_buffer
      - .actual_access:  read_only
        .address_space:  global
        .offset:         56
        .size:           8
        .value_kind:     global_buffer
      - .offset:         64
        .size:           4
        .value_kind:     hidden_block_count_x
      - .offset:         68
        .size:           4
        .value_kind:     hidden_block_count_y
      - .offset:         72
        .size:           4
        .value_kind:     hidden_block_count_z
      - .offset:         76
        .size:           2
        .value_kind:     hidden_group_size_x
      - .offset:         78
        .size:           2
        .value_kind:     hidden_group_size_y
      - .offset:         80
        .size:           2
        .value_kind:     hidden_group_size_z
      - .offset:         82
        .size:           2
        .value_kind:     hidden_remainder_x
      - .offset:         84
        .size:           2
        .value_kind:     hidden_remainder_y
      - .offset:         86
        .size:           2
        .value_kind:     hidden_remainder_z
      - .offset:         104
        .size:           8
        .value_kind:     hidden_global_offset_x
      - .offset:         112
        .size:           8
        .value_kind:     hidden_global_offset_y
      - .offset:         120
        .size:           8
        .value_kind:     hidden_global_offset_z
      - .offset:         128
        .size:           2
        .value_kind:     hidden_grid_dims
    .group_segment_fixed_size: 0
    .kernarg_segment_align: 8
    .kernarg_segment_size: 320
    .language:       OpenCL C
    .language_version:
      - 2
      - 0
    .max_flat_workgroup_size: 64
    .name:           _ZN2at6native12_GLOBAL__N_135GammaBetaBackwardCUDAKernelTemplateIN3c104HalfEfLj64ELj1ELj32ELb1ELb0ELb1EEEvllPKT_S7_PKT0_SA_PS5_SB_
    .private_segment_fixed_size: 0
    .sgpr_count:     44
    .sgpr_spill_count: 0
    .symbol:         _ZN2at6native12_GLOBAL__N_135GammaBetaBackwardCUDAKernelTemplateIN3c104HalfEfLj64ELj1ELj32ELb1ELb0ELb1EEEvllPKT_S7_PKT0_SA_PS5_SB_.kd
    .uniform_work_group_size: 1
    .uses_dynamic_stack: false
    .vgpr_count:     339
    .vgpr_spill_count: 22
    .wavefront_size: 64
  - .agpr_count:     0
    .args:
      - .offset:         0
        .size:           8
        .value_kind:     by_value
      - .offset:         8
        .size:           8
        .value_kind:     by_value
      - .actual_access:  read_only
        .address_space:  global
        .offset:         16
        .size:           8
        .value_kind:     global_buffer
      - .actual_access:  read_only
        .address_space:  global
        .offset:         24
        .size:           8
        .value_kind:     global_buffer
      - .actual_access:  read_only
        .address_space:  global
        .offset:         32
        .size:           8
        .value_kind:     global_buffer
      - .actual_access:  read_only
        .address_space:  global
        .offset:         40
        .size:           8
        .value_kind:     global_buffer
      - .actual_access:  write_only
        .address_space:  global
        .offset:         48
        .size:           8
        .value_kind:     global_buffer
      - .actual_access:  read_only
        .address_space:  global
        .offset:         56
        .size:           8
        .value_kind:     global_buffer
      - .offset:         64
        .size:           4
        .value_kind:     hidden_block_count_x
      - .offset:         68
        .size:           4
        .value_kind:     hidden_block_count_y
      - .offset:         72
        .size:           4
        .value_kind:     hidden_block_count_z
      - .offset:         76
        .size:           2
        .value_kind:     hidden_group_size_x
      - .offset:         78
        .size:           2
        .value_kind:     hidden_group_size_y
      - .offset:         80
        .size:           2
        .value_kind:     hidden_group_size_z
      - .offset:         82
        .size:           2
        .value_kind:     hidden_remainder_x
      - .offset:         84
        .size:           2
        .value_kind:     hidden_remainder_y
      - .offset:         86
        .size:           2
        .value_kind:     hidden_remainder_z
      - .offset:         104
        .size:           8
        .value_kind:     hidden_global_offset_x
      - .offset:         112
        .size:           8
        .value_kind:     hidden_global_offset_y
      - .offset:         120
        .size:           8
        .value_kind:     hidden_global_offset_z
      - .offset:         128
        .size:           2
        .value_kind:     hidden_grid_dims
    .group_segment_fixed_size: 0
    .kernarg_segment_align: 8
    .kernarg_segment_size: 320
    .language:       OpenCL C
    .language_version:
      - 2
      - 0
    .max_flat_workgroup_size: 64
    .name:           _ZN2at6native12_GLOBAL__N_135GammaBetaBackwardCUDAKernelTemplateIN3c104HalfEfLj64ELj1ELj8ELb1ELb1ELb1EEEvllPKT_S7_PKT0_SA_PS5_SB_
    .private_segment_fixed_size: 0
    .sgpr_count:     38
    .sgpr_spill_count: 0
    .symbol:         _ZN2at6native12_GLOBAL__N_135GammaBetaBackwardCUDAKernelTemplateIN3c104HalfEfLj64ELj1ELj8ELb1ELb1ELb1EEEvllPKT_S7_PKT0_SA_PS5_SB_.kd
    .uniform_work_group_size: 1
    .uses_dynamic_stack: false
    .vgpr_count:     43
    .vgpr_spill_count: 0
    .wavefront_size: 64
  - .agpr_count:     0
    .args:
      - .offset:         0
        .size:           8
        .value_kind:     by_value
      - .offset:         8
        .size:           8
        .value_kind:     by_value
      - .actual_access:  read_only
        .address_space:  global
        .offset:         16
        .size:           8
        .value_kind:     global_buffer
      - .actual_access:  read_only
        .address_space:  global
        .offset:         24
        .size:           8
        .value_kind:     global_buffer
      - .actual_access:  read_only
        .address_space:  global
        .offset:         32
        .size:           8
        .value_kind:     global_buffer
      - .actual_access:  read_only
        .address_space:  global
        .offset:         40
        .size:           8
        .value_kind:     global_buffer
      - .actual_access:  write_only
        .address_space:  global
        .offset:         48
        .size:           8
        .value_kind:     global_buffer
      - .actual_access:  read_only
        .address_space:  global
        .offset:         56
        .size:           8
        .value_kind:     global_buffer
      - .offset:         64
        .size:           4
        .value_kind:     hidden_block_count_x
      - .offset:         68
        .size:           4
        .value_kind:     hidden_block_count_y
      - .offset:         72
        .size:           4
        .value_kind:     hidden_block_count_z
      - .offset:         76
        .size:           2
        .value_kind:     hidden_group_size_x
      - .offset:         78
        .size:           2
        .value_kind:     hidden_group_size_y
      - .offset:         80
        .size:           2
        .value_kind:     hidden_group_size_z
      - .offset:         82
        .size:           2
        .value_kind:     hidden_remainder_x
      - .offset:         84
        .size:           2
        .value_kind:     hidden_remainder_y
      - .offset:         86
        .size:           2
        .value_kind:     hidden_remainder_z
      - .offset:         104
        .size:           8
        .value_kind:     hidden_global_offset_x
      - .offset:         112
        .size:           8
        .value_kind:     hidden_global_offset_y
      - .offset:         120
        .size:           8
        .value_kind:     hidden_global_offset_z
      - .offset:         128
        .size:           2
        .value_kind:     hidden_grid_dims
    .group_segment_fixed_size: 0
    .kernarg_segment_align: 8
    .kernarg_segment_size: 320
    .language:       OpenCL C
    .language_version:
      - 2
      - 0
    .max_flat_workgroup_size: 64
    .name:           _ZN2at6native12_GLOBAL__N_135GammaBetaBackwardCUDAKernelTemplateIN3c104HalfEfLj64ELj1ELj8ELb1ELb0ELb1EEEvllPKT_S7_PKT0_SA_PS5_SB_
    .private_segment_fixed_size: 0
    .sgpr_count:     50
    .sgpr_spill_count: 0
    .symbol:         _ZN2at6native12_GLOBAL__N_135GammaBetaBackwardCUDAKernelTemplateIN3c104HalfEfLj64ELj1ELj8ELb1ELb0ELb1EEEvllPKT_S7_PKT0_SA_PS5_SB_.kd
    .uniform_work_group_size: 1
    .uses_dynamic_stack: false
    .vgpr_count:     96
    .vgpr_spill_count: 0
    .wavefront_size: 64
  - .agpr_count:     0
    .args:
      - .offset:         0
        .size:           8
        .value_kind:     by_value
      - .offset:         8
        .size:           8
        .value_kind:     by_value
      - .actual_access:  read_only
        .address_space:  global
        .offset:         16
        .size:           8
        .value_kind:     global_buffer
      - .actual_access:  read_only
        .address_space:  global
        .offset:         24
        .size:           8
        .value_kind:     global_buffer
      - .actual_access:  read_only
        .address_space:  global
        .offset:         32
        .size:           8
        .value_kind:     global_buffer
      - .actual_access:  read_only
        .address_space:  global
        .offset:         40
        .size:           8
        .value_kind:     global_buffer
      - .actual_access:  write_only
        .address_space:  global
        .offset:         48
        .size:           8
        .value_kind:     global_buffer
      - .actual_access:  read_only
        .address_space:  global
        .offset:         56
        .size:           8
        .value_kind:     global_buffer
      - .offset:         64
        .size:           4
        .value_kind:     hidden_block_count_x
      - .offset:         68
        .size:           4
        .value_kind:     hidden_block_count_y
      - .offset:         72
        .size:           4
        .value_kind:     hidden_block_count_z
      - .offset:         76
        .size:           2
        .value_kind:     hidden_group_size_x
      - .offset:         78
        .size:           2
        .value_kind:     hidden_group_size_y
      - .offset:         80
        .size:           2
        .value_kind:     hidden_group_size_z
      - .offset:         82
        .size:           2
        .value_kind:     hidden_remainder_x
      - .offset:         84
        .size:           2
        .value_kind:     hidden_remainder_y
      - .offset:         86
        .size:           2
        .value_kind:     hidden_remainder_z
      - .offset:         104
        .size:           8
        .value_kind:     hidden_global_offset_x
      - .offset:         112
        .size:           8
        .value_kind:     hidden_global_offset_y
      - .offset:         120
        .size:           8
        .value_kind:     hidden_global_offset_z
      - .offset:         128
        .size:           2
        .value_kind:     hidden_grid_dims
      - .offset:         184
        .size:           4
        .value_kind:     hidden_dynamic_lds_size
    .group_segment_fixed_size: 0
    .kernarg_segment_align: 8
    .kernarg_segment_size: 320
    .language:       OpenCL C
    .language_version:
      - 2
      - 0
    .max_flat_workgroup_size: 512
    .name:           _ZN2at6native12_GLOBAL__N_135GammaBetaBackwardCUDAKernelTemplateIN3c104HalfEfLj64ELj8ELj64ELb0ELb1ELb1EEEvllPKT_S7_PKT0_SA_PS5_SB_
    .private_segment_fixed_size: 0
    .sgpr_count:     32
    .sgpr_spill_count: 0
    .symbol:         _ZN2at6native12_GLOBAL__N_135GammaBetaBackwardCUDAKernelTemplateIN3c104HalfEfLj64ELj8ELj64ELb0ELb1ELb1EEEvllPKT_S7_PKT0_SA_PS5_SB_.kd
    .uniform_work_group_size: 1
    .uses_dynamic_stack: false
    .vgpr_count:     44
    .vgpr_spill_count: 0
    .wavefront_size: 64
  - .agpr_count:     0
    .args:
      - .offset:         0
        .size:           8
        .value_kind:     by_value
      - .offset:         8
        .size:           8
        .value_kind:     by_value
      - .actual_access:  read_only
        .address_space:  global
        .offset:         16
        .size:           8
        .value_kind:     global_buffer
      - .actual_access:  read_only
        .address_space:  global
        .offset:         24
        .size:           8
        .value_kind:     global_buffer
      - .actual_access:  read_only
        .address_space:  global
        .offset:         32
        .size:           8
        .value_kind:     global_buffer
      - .actual_access:  read_only
        .address_space:  global
        .offset:         40
        .size:           8
        .value_kind:     global_buffer
      - .actual_access:  write_only
        .address_space:  global
        .offset:         48
        .size:           8
        .value_kind:     global_buffer
      - .actual_access:  read_only
        .address_space:  global
        .offset:         56
        .size:           8
        .value_kind:     global_buffer
      - .offset:         64
        .size:           4
        .value_kind:     hidden_block_count_x
      - .offset:         68
        .size:           4
        .value_kind:     hidden_block_count_y
      - .offset:         72
        .size:           4
        .value_kind:     hidden_block_count_z
      - .offset:         76
        .size:           2
        .value_kind:     hidden_group_size_x
      - .offset:         78
        .size:           2
        .value_kind:     hidden_group_size_y
      - .offset:         80
        .size:           2
        .value_kind:     hidden_group_size_z
      - .offset:         82
        .size:           2
        .value_kind:     hidden_remainder_x
      - .offset:         84
        .size:           2
        .value_kind:     hidden_remainder_y
      - .offset:         86
        .size:           2
        .value_kind:     hidden_remainder_z
      - .offset:         104
        .size:           8
        .value_kind:     hidden_global_offset_x
      - .offset:         112
        .size:           8
        .value_kind:     hidden_global_offset_y
      - .offset:         120
        .size:           8
        .value_kind:     hidden_global_offset_z
      - .offset:         128
        .size:           2
        .value_kind:     hidden_grid_dims
      - .offset:         184
        .size:           4
        .value_kind:     hidden_dynamic_lds_size
    .group_segment_fixed_size: 0
    .kernarg_segment_align: 8
    .kernarg_segment_size: 320
    .language:       OpenCL C
    .language_version:
      - 2
      - 0
    .max_flat_workgroup_size: 512
    .name:           _ZN2at6native12_GLOBAL__N_135GammaBetaBackwardCUDAKernelTemplateIN3c104HalfEfLj64ELj8ELj64ELb0ELb0ELb1EEEvllPKT_S7_PKT0_SA_PS5_SB_
    .private_segment_fixed_size: 0
    .sgpr_count:     62
    .sgpr_spill_count: 0
    .symbol:         _ZN2at6native12_GLOBAL__N_135GammaBetaBackwardCUDAKernelTemplateIN3c104HalfEfLj64ELj8ELj64ELb0ELb0ELb1EEEvllPKT_S7_PKT0_SA_PS5_SB_.kd
    .uniform_work_group_size: 1
    .uses_dynamic_stack: false
    .vgpr_count:     96
    .vgpr_spill_count: 0
    .wavefront_size: 64
  - .agpr_count:     0
    .args:
      - .offset:         0
        .size:           8
        .value_kind:     by_value
      - .offset:         8
        .size:           8
        .value_kind:     by_value
      - .actual_access:  read_only
        .address_space:  global
        .offset:         16
        .size:           8
        .value_kind:     global_buffer
      - .actual_access:  read_only
        .address_space:  global
        .offset:         24
        .size:           8
        .value_kind:     global_buffer
      - .actual_access:  read_only
        .address_space:  global
        .offset:         32
        .size:           8
        .value_kind:     global_buffer
      - .actual_access:  read_only
        .address_space:  global
        .offset:         40
        .size:           8
        .value_kind:     global_buffer
      - .actual_access:  write_only
        .address_space:  global
        .offset:         48
        .size:           8
        .value_kind:     global_buffer
      - .actual_access:  read_only
        .address_space:  global
        .offset:         56
        .size:           8
        .value_kind:     global_buffer
      - .offset:         64
        .size:           4
        .value_kind:     hidden_block_count_x
      - .offset:         68
        .size:           4
        .value_kind:     hidden_block_count_y
      - .offset:         72
        .size:           4
        .value_kind:     hidden_block_count_z
      - .offset:         76
        .size:           2
        .value_kind:     hidden_group_size_x
      - .offset:         78
        .size:           2
        .value_kind:     hidden_group_size_y
      - .offset:         80
        .size:           2
        .value_kind:     hidden_group_size_z
      - .offset:         82
        .size:           2
        .value_kind:     hidden_remainder_x
      - .offset:         84
        .size:           2
        .value_kind:     hidden_remainder_y
      - .offset:         86
        .size:           2
        .value_kind:     hidden_remainder_z
      - .offset:         104
        .size:           8
        .value_kind:     hidden_global_offset_x
      - .offset:         112
        .size:           8
        .value_kind:     hidden_global_offset_y
      - .offset:         120
        .size:           8
        .value_kind:     hidden_global_offset_z
      - .offset:         128
        .size:           2
        .value_kind:     hidden_grid_dims
      - .offset:         184
        .size:           4
        .value_kind:     hidden_dynamic_lds_size
    .group_segment_fixed_size: 0
    .kernarg_segment_align: 8
    .kernarg_segment_size: 320
    .language:       OpenCL C
    .language_version:
      - 2
      - 0
    .max_flat_workgroup_size: 1024
    .name:           _ZN2at6native12_GLOBAL__N_135GammaBetaBackwardCUDAKernelTemplateIN3c104HalfEfLj64ELj16ELj128ELb0ELb1ELb1EEEvllPKT_S7_PKT0_SA_PS5_SB_
    .private_segment_fixed_size: 0
    .sgpr_count:     32
    .sgpr_spill_count: 0
    .symbol:         _ZN2at6native12_GLOBAL__N_135GammaBetaBackwardCUDAKernelTemplateIN3c104HalfEfLj64ELj16ELj128ELb0ELb1ELb1EEEvllPKT_S7_PKT0_SA_PS5_SB_.kd
    .uniform_work_group_size: 1
    .uses_dynamic_stack: false
    .vgpr_count:     44
    .vgpr_spill_count: 0
    .wavefront_size: 64
  - .agpr_count:     0
    .args:
      - .offset:         0
        .size:           8
        .value_kind:     by_value
      - .offset:         8
        .size:           8
        .value_kind:     by_value
      - .actual_access:  read_only
        .address_space:  global
        .offset:         16
        .size:           8
        .value_kind:     global_buffer
      - .actual_access:  read_only
        .address_space:  global
        .offset:         24
        .size:           8
        .value_kind:     global_buffer
      - .actual_access:  read_only
        .address_space:  global
        .offset:         32
        .size:           8
        .value_kind:     global_buffer
      - .actual_access:  read_only
        .address_space:  global
        .offset:         40
        .size:           8
        .value_kind:     global_buffer
      - .actual_access:  write_only
        .address_space:  global
        .offset:         48
        .size:           8
        .value_kind:     global_buffer
      - .actual_access:  read_only
        .address_space:  global
        .offset:         56
        .size:           8
        .value_kind:     global_buffer
      - .offset:         64
        .size:           4
        .value_kind:     hidden_block_count_x
      - .offset:         68
        .size:           4
        .value_kind:     hidden_block_count_y
      - .offset:         72
        .size:           4
        .value_kind:     hidden_block_count_z
      - .offset:         76
        .size:           2
        .value_kind:     hidden_group_size_x
      - .offset:         78
        .size:           2
        .value_kind:     hidden_group_size_y
      - .offset:         80
        .size:           2
        .value_kind:     hidden_group_size_z
      - .offset:         82
        .size:           2
        .value_kind:     hidden_remainder_x
      - .offset:         84
        .size:           2
        .value_kind:     hidden_remainder_y
      - .offset:         86
        .size:           2
        .value_kind:     hidden_remainder_z
      - .offset:         104
        .size:           8
        .value_kind:     hidden_global_offset_x
      - .offset:         112
        .size:           8
        .value_kind:     hidden_global_offset_y
      - .offset:         120
        .size:           8
        .value_kind:     hidden_global_offset_z
      - .offset:         128
        .size:           2
        .value_kind:     hidden_grid_dims
      - .offset:         184
        .size:           4
        .value_kind:     hidden_dynamic_lds_size
    .group_segment_fixed_size: 0
    .kernarg_segment_align: 8
    .kernarg_segment_size: 320
    .language:       OpenCL C
    .language_version:
      - 2
      - 0
    .max_flat_workgroup_size: 1024
    .name:           _ZN2at6native12_GLOBAL__N_135GammaBetaBackwardCUDAKernelTemplateIN3c104HalfEfLj64ELj16ELj128ELb0ELb0ELb1EEEvllPKT_S7_PKT0_SA_PS5_SB_
    .private_segment_fixed_size: 0
    .sgpr_count:     62
    .sgpr_spill_count: 0
    .symbol:         _ZN2at6native12_GLOBAL__N_135GammaBetaBackwardCUDAKernelTemplateIN3c104HalfEfLj64ELj16ELj128ELb0ELb0ELb1EEEvllPKT_S7_PKT0_SA_PS5_SB_.kd
    .uniform_work_group_size: 1
    .uses_dynamic_stack: false
    .vgpr_count:     96
    .vgpr_spill_count: 0
    .wavefront_size: 64
  - .agpr_count:     0
    .args:
      - .offset:         0
        .size:           8
        .value_kind:     by_value
      - .offset:         8
        .size:           8
        .value_kind:     by_value
      - .actual_access:  read_only
        .address_space:  global
        .offset:         16
        .size:           8
        .value_kind:     global_buffer
      - .actual_access:  read_only
        .address_space:  global
        .offset:         24
        .size:           8
        .value_kind:     global_buffer
      - .actual_access:  read_only
        .address_space:  global
        .offset:         32
        .size:           8
        .value_kind:     global_buffer
      - .actual_access:  read_only
        .address_space:  global
        .offset:         40
        .size:           8
        .value_kind:     global_buffer
      - .actual_access:  write_only
        .address_space:  global
        .offset:         48
        .size:           8
        .value_kind:     global_buffer
      - .actual_access:  read_only
        .address_space:  global
        .offset:         56
        .size:           8
        .value_kind:     global_buffer
      - .offset:         64
        .size:           4
        .value_kind:     hidden_block_count_x
      - .offset:         68
        .size:           4
        .value_kind:     hidden_block_count_y
      - .offset:         72
        .size:           4
        .value_kind:     hidden_block_count_z
      - .offset:         76
        .size:           2
        .value_kind:     hidden_group_size_x
      - .offset:         78
        .size:           2
        .value_kind:     hidden_group_size_y
      - .offset:         80
        .size:           2
        .value_kind:     hidden_group_size_z
      - .offset:         82
        .size:           2
        .value_kind:     hidden_remainder_x
      - .offset:         84
        .size:           2
        .value_kind:     hidden_remainder_y
      - .offset:         86
        .size:           2
        .value_kind:     hidden_remainder_z
      - .offset:         104
        .size:           8
        .value_kind:     hidden_global_offset_x
      - .offset:         112
        .size:           8
        .value_kind:     hidden_global_offset_y
      - .offset:         120
        .size:           8
        .value_kind:     hidden_global_offset_z
      - .offset:         128
        .size:           2
        .value_kind:     hidden_grid_dims
      - .offset:         184
        .size:           4
        .value_kind:     hidden_dynamic_lds_size
    .group_segment_fixed_size: 0
    .kernarg_segment_align: 8
    .kernarg_segment_size: 320
    .language:       OpenCL C
    .language_version:
      - 2
      - 0
    .max_flat_workgroup_size: 1024
    .name:           _ZN2at6native12_GLOBAL__N_135GammaBetaBackwardCUDAKernelTemplateIN3c104HalfEfLj64ELj16ELj256ELb0ELb1ELb1EEEvllPKT_S7_PKT0_SA_PS5_SB_
    .private_segment_fixed_size: 0
    .sgpr_count:     32
    .sgpr_spill_count: 0
    .symbol:         _ZN2at6native12_GLOBAL__N_135GammaBetaBackwardCUDAKernelTemplateIN3c104HalfEfLj64ELj16ELj256ELb0ELb1ELb1EEEvllPKT_S7_PKT0_SA_PS5_SB_.kd
    .uniform_work_group_size: 1
    .uses_dynamic_stack: false
    .vgpr_count:     64
    .vgpr_spill_count: 0
    .wavefront_size: 64
  - .agpr_count:     0
    .args:
      - .offset:         0
        .size:           8
        .value_kind:     by_value
      - .offset:         8
        .size:           8
        .value_kind:     by_value
      - .actual_access:  read_only
        .address_space:  global
        .offset:         16
        .size:           8
        .value_kind:     global_buffer
      - .actual_access:  read_only
        .address_space:  global
        .offset:         24
        .size:           8
        .value_kind:     global_buffer
      - .actual_access:  read_only
        .address_space:  global
        .offset:         32
        .size:           8
        .value_kind:     global_buffer
      - .actual_access:  read_only
        .address_space:  global
        .offset:         40
        .size:           8
        .value_kind:     global_buffer
      - .actual_access:  write_only
        .address_space:  global
        .offset:         48
        .size:           8
        .value_kind:     global_buffer
      - .actual_access:  read_only
        .address_space:  global
        .offset:         56
        .size:           8
        .value_kind:     global_buffer
      - .offset:         64
        .size:           4
        .value_kind:     hidden_block_count_x
      - .offset:         68
        .size:           4
        .value_kind:     hidden_block_count_y
      - .offset:         72
        .size:           4
        .value_kind:     hidden_block_count_z
      - .offset:         76
        .size:           2
        .value_kind:     hidden_group_size_x
      - .offset:         78
        .size:           2
        .value_kind:     hidden_group_size_y
      - .offset:         80
        .size:           2
        .value_kind:     hidden_group_size_z
      - .offset:         82
        .size:           2
        .value_kind:     hidden_remainder_x
      - .offset:         84
        .size:           2
        .value_kind:     hidden_remainder_y
      - .offset:         86
        .size:           2
        .value_kind:     hidden_remainder_z
      - .offset:         104
        .size:           8
        .value_kind:     hidden_global_offset_x
      - .offset:         112
        .size:           8
        .value_kind:     hidden_global_offset_y
      - .offset:         120
        .size:           8
        .value_kind:     hidden_global_offset_z
      - .offset:         128
        .size:           2
        .value_kind:     hidden_grid_dims
      - .offset:         184
        .size:           4
        .value_kind:     hidden_dynamic_lds_size
    .group_segment_fixed_size: 0
    .kernarg_segment_align: 8
    .kernarg_segment_size: 320
    .language:       OpenCL C
    .language_version:
      - 2
      - 0
    .max_flat_workgroup_size: 1024
    .name:           _ZN2at6native12_GLOBAL__N_135GammaBetaBackwardCUDAKernelTemplateIN3c104HalfEfLj64ELj16ELj256ELb0ELb0ELb1EEEvllPKT_S7_PKT0_SA_PS5_SB_
    .private_segment_fixed_size: 224
    .sgpr_count:     86
    .sgpr_spill_count: 0
    .symbol:         _ZN2at6native12_GLOBAL__N_135GammaBetaBackwardCUDAKernelTemplateIN3c104HalfEfLj64ELj16ELj256ELb0ELb0ELb1EEEvllPKT_S7_PKT0_SA_PS5_SB_.kd
    .uniform_work_group_size: 1
    .uses_dynamic_stack: false
    .vgpr_count:     128
    .vgpr_spill_count: 107
    .wavefront_size: 64
  - .agpr_count:     0
    .args:
      - .offset:         0
        .size:           8
        .value_kind:     by_value
      - .offset:         8
        .size:           8
        .value_kind:     by_value
      - .actual_access:  read_only
        .address_space:  global
        .offset:         16
        .size:           8
        .value_kind:     global_buffer
      - .actual_access:  read_only
        .address_space:  global
        .offset:         24
        .size:           8
        .value_kind:     global_buffer
      - .actual_access:  read_only
        .address_space:  global
        .offset:         32
        .size:           8
        .value_kind:     global_buffer
      - .actual_access:  read_only
        .address_space:  global
        .offset:         40
        .size:           8
        .value_kind:     global_buffer
      - .actual_access:  write_only
        .address_space:  global
        .offset:         48
        .size:           8
        .value_kind:     global_buffer
      - .actual_access:  read_only
        .address_space:  global
        .offset:         56
        .size:           8
        .value_kind:     global_buffer
      - .offset:         64
        .size:           4
        .value_kind:     hidden_block_count_x
      - .offset:         68
        .size:           4
        .value_kind:     hidden_block_count_y
      - .offset:         72
        .size:           4
        .value_kind:     hidden_block_count_z
      - .offset:         76
        .size:           2
        .value_kind:     hidden_group_size_x
      - .offset:         78
        .size:           2
        .value_kind:     hidden_group_size_y
      - .offset:         80
        .size:           2
        .value_kind:     hidden_group_size_z
      - .offset:         82
        .size:           2
        .value_kind:     hidden_remainder_x
      - .offset:         84
        .size:           2
        .value_kind:     hidden_remainder_y
      - .offset:         86
        .size:           2
        .value_kind:     hidden_remainder_z
      - .offset:         104
        .size:           8
        .value_kind:     hidden_global_offset_x
      - .offset:         112
        .size:           8
        .value_kind:     hidden_global_offset_y
      - .offset:         120
        .size:           8
        .value_kind:     hidden_global_offset_z
      - .offset:         128
        .size:           2
        .value_kind:     hidden_grid_dims
    .group_segment_fixed_size: 0
    .kernarg_segment_align: 8
    .kernarg_segment_size: 320
    .language:       OpenCL C
    .language_version:
      - 2
      - 0
    .max_flat_workgroup_size: 32
    .name:           _ZN2at6native12_GLOBAL__N_135GammaBetaBackwardCUDAKernelTemplateIN3c104HalfEfLj32ELj1ELj32ELb1ELb1ELb1EEEvllPKT_S7_PKT0_SA_PS5_SB_
    .private_segment_fixed_size: 0
    .sgpr_count:     38
    .sgpr_spill_count: 0
    .symbol:         _ZN2at6native12_GLOBAL__N_135GammaBetaBackwardCUDAKernelTemplateIN3c104HalfEfLj32ELj1ELj32ELb1ELb1ELb1EEEvllPKT_S7_PKT0_SA_PS5_SB_.kd
    .uniform_work_group_size: 1
    .uses_dynamic_stack: false
    .vgpr_count:     63
    .vgpr_spill_count: 0
    .wavefront_size: 64
  - .agpr_count:     83
    .args:
      - .offset:         0
        .size:           8
        .value_kind:     by_value
      - .offset:         8
        .size:           8
        .value_kind:     by_value
      - .actual_access:  read_only
        .address_space:  global
        .offset:         16
        .size:           8
        .value_kind:     global_buffer
      - .actual_access:  read_only
        .address_space:  global
        .offset:         24
        .size:           8
        .value_kind:     global_buffer
      - .actual_access:  read_only
        .address_space:  global
        .offset:         32
        .size:           8
        .value_kind:     global_buffer
      - .actual_access:  read_only
        .address_space:  global
        .offset:         40
        .size:           8
        .value_kind:     global_buffer
      - .actual_access:  write_only
        .address_space:  global
        .offset:         48
        .size:           8
        .value_kind:     global_buffer
      - .actual_access:  read_only
        .address_space:  global
        .offset:         56
        .size:           8
        .value_kind:     global_buffer
      - .offset:         64
        .size:           4
        .value_kind:     hidden_block_count_x
      - .offset:         68
        .size:           4
        .value_kind:     hidden_block_count_y
      - .offset:         72
        .size:           4
        .value_kind:     hidden_block_count_z
      - .offset:         76
        .size:           2
        .value_kind:     hidden_group_size_x
      - .offset:         78
        .size:           2
        .value_kind:     hidden_group_size_y
      - .offset:         80
        .size:           2
        .value_kind:     hidden_group_size_z
      - .offset:         82
        .size:           2
        .value_kind:     hidden_remainder_x
      - .offset:         84
        .size:           2
        .value_kind:     hidden_remainder_y
      - .offset:         86
        .size:           2
        .value_kind:     hidden_remainder_z
      - .offset:         104
        .size:           8
        .value_kind:     hidden_global_offset_x
      - .offset:         112
        .size:           8
        .value_kind:     hidden_global_offset_y
      - .offset:         120
        .size:           8
        .value_kind:     hidden_global_offset_z
      - .offset:         128
        .size:           2
        .value_kind:     hidden_grid_dims
    .group_segment_fixed_size: 0
    .kernarg_segment_align: 8
    .kernarg_segment_size: 320
    .language:       OpenCL C
    .language_version:
      - 2
      - 0
    .max_flat_workgroup_size: 32
    .name:           _ZN2at6native12_GLOBAL__N_135GammaBetaBackwardCUDAKernelTemplateIN3c104HalfEfLj32ELj1ELj32ELb1ELb0ELb1EEEvllPKT_S7_PKT0_SA_PS5_SB_
    .private_segment_fixed_size: 0
    .sgpr_count:     44
    .sgpr_spill_count: 0
    .symbol:         _ZN2at6native12_GLOBAL__N_135GammaBetaBackwardCUDAKernelTemplateIN3c104HalfEfLj32ELj1ELj32ELb1ELb0ELb1EEEvllPKT_S7_PKT0_SA_PS5_SB_.kd
    .uniform_work_group_size: 1
    .uses_dynamic_stack: false
    .vgpr_count:     339
    .vgpr_spill_count: 22
    .wavefront_size: 64
  - .agpr_count:     0
    .args:
      - .offset:         0
        .size:           8
        .value_kind:     by_value
      - .offset:         8
        .size:           8
        .value_kind:     by_value
      - .actual_access:  read_only
        .address_space:  global
        .offset:         16
        .size:           8
        .value_kind:     global_buffer
      - .actual_access:  read_only
        .address_space:  global
        .offset:         24
        .size:           8
        .value_kind:     global_buffer
      - .actual_access:  read_only
        .address_space:  global
        .offset:         32
        .size:           8
        .value_kind:     global_buffer
      - .actual_access:  read_only
        .address_space:  global
        .offset:         40
        .size:           8
        .value_kind:     global_buffer
      - .actual_access:  write_only
        .address_space:  global
        .offset:         48
        .size:           8
        .value_kind:     global_buffer
      - .actual_access:  read_only
        .address_space:  global
        .offset:         56
        .size:           8
        .value_kind:     global_buffer
      - .offset:         64
        .size:           4
        .value_kind:     hidden_block_count_x
      - .offset:         68
        .size:           4
        .value_kind:     hidden_block_count_y
      - .offset:         72
        .size:           4
        .value_kind:     hidden_block_count_z
      - .offset:         76
        .size:           2
        .value_kind:     hidden_group_size_x
      - .offset:         78
        .size:           2
        .value_kind:     hidden_group_size_y
      - .offset:         80
        .size:           2
        .value_kind:     hidden_group_size_z
      - .offset:         82
        .size:           2
        .value_kind:     hidden_remainder_x
      - .offset:         84
        .size:           2
        .value_kind:     hidden_remainder_y
      - .offset:         86
        .size:           2
        .value_kind:     hidden_remainder_z
      - .offset:         104
        .size:           8
        .value_kind:     hidden_global_offset_x
      - .offset:         112
        .size:           8
        .value_kind:     hidden_global_offset_y
      - .offset:         120
        .size:           8
        .value_kind:     hidden_global_offset_z
      - .offset:         128
        .size:           2
        .value_kind:     hidden_grid_dims
    .group_segment_fixed_size: 0
    .kernarg_segment_align: 8
    .kernarg_segment_size: 320
    .language:       OpenCL C
    .language_version:
      - 2
      - 0
    .max_flat_workgroup_size: 32
    .name:           _ZN2at6native12_GLOBAL__N_135GammaBetaBackwardCUDAKernelTemplateIN3c104HalfEfLj32ELj1ELj8ELb1ELb1ELb1EEEvllPKT_S7_PKT0_SA_PS5_SB_
    .private_segment_fixed_size: 0
    .sgpr_count:     38
    .sgpr_spill_count: 0
    .symbol:         _ZN2at6native12_GLOBAL__N_135GammaBetaBackwardCUDAKernelTemplateIN3c104HalfEfLj32ELj1ELj8ELb1ELb1ELb1EEEvllPKT_S7_PKT0_SA_PS5_SB_.kd
    .uniform_work_group_size: 1
    .uses_dynamic_stack: false
    .vgpr_count:     43
    .vgpr_spill_count: 0
    .wavefront_size: 64
  - .agpr_count:     0
    .args:
      - .offset:         0
        .size:           8
        .value_kind:     by_value
      - .offset:         8
        .size:           8
        .value_kind:     by_value
      - .actual_access:  read_only
        .address_space:  global
        .offset:         16
        .size:           8
        .value_kind:     global_buffer
      - .actual_access:  read_only
        .address_space:  global
        .offset:         24
        .size:           8
        .value_kind:     global_buffer
      - .actual_access:  read_only
        .address_space:  global
        .offset:         32
        .size:           8
        .value_kind:     global_buffer
      - .actual_access:  read_only
        .address_space:  global
        .offset:         40
        .size:           8
        .value_kind:     global_buffer
      - .actual_access:  write_only
        .address_space:  global
        .offset:         48
        .size:           8
        .value_kind:     global_buffer
      - .actual_access:  read_only
        .address_space:  global
        .offset:         56
        .size:           8
        .value_kind:     global_buffer
      - .offset:         64
        .size:           4
        .value_kind:     hidden_block_count_x
      - .offset:         68
        .size:           4
        .value_kind:     hidden_block_count_y
      - .offset:         72
        .size:           4
        .value_kind:     hidden_block_count_z
      - .offset:         76
        .size:           2
        .value_kind:     hidden_group_size_x
      - .offset:         78
        .size:           2
        .value_kind:     hidden_group_size_y
      - .offset:         80
        .size:           2
        .value_kind:     hidden_group_size_z
      - .offset:         82
        .size:           2
        .value_kind:     hidden_remainder_x
      - .offset:         84
        .size:           2
        .value_kind:     hidden_remainder_y
      - .offset:         86
        .size:           2
        .value_kind:     hidden_remainder_z
      - .offset:         104
        .size:           8
        .value_kind:     hidden_global_offset_x
      - .offset:         112
        .size:           8
        .value_kind:     hidden_global_offset_y
      - .offset:         120
        .size:           8
        .value_kind:     hidden_global_offset_z
      - .offset:         128
        .size:           2
        .value_kind:     hidden_grid_dims
    .group_segment_fixed_size: 0
    .kernarg_segment_align: 8
    .kernarg_segment_size: 320
    .language:       OpenCL C
    .language_version:
      - 2
      - 0
    .max_flat_workgroup_size: 32
    .name:           _ZN2at6native12_GLOBAL__N_135GammaBetaBackwardCUDAKernelTemplateIN3c104HalfEfLj32ELj1ELj8ELb1ELb0ELb1EEEvllPKT_S7_PKT0_SA_PS5_SB_
    .private_segment_fixed_size: 0
    .sgpr_count:     50
    .sgpr_spill_count: 0
    .symbol:         _ZN2at6native12_GLOBAL__N_135GammaBetaBackwardCUDAKernelTemplateIN3c104HalfEfLj32ELj1ELj8ELb1ELb0ELb1EEEvllPKT_S7_PKT0_SA_PS5_SB_.kd
    .uniform_work_group_size: 1
    .uses_dynamic_stack: false
    .vgpr_count:     96
    .vgpr_spill_count: 0
    .wavefront_size: 64
  - .agpr_count:     0
    .args:
      - .offset:         0
        .size:           8
        .value_kind:     by_value
      - .offset:         8
        .size:           8
        .value_kind:     by_value
      - .actual_access:  read_only
        .address_space:  global
        .offset:         16
        .size:           8
        .value_kind:     global_buffer
      - .actual_access:  read_only
        .address_space:  global
        .offset:         24
        .size:           8
        .value_kind:     global_buffer
      - .actual_access:  read_only
        .address_space:  global
        .offset:         32
        .size:           8
        .value_kind:     global_buffer
      - .actual_access:  read_only
        .address_space:  global
        .offset:         40
        .size:           8
        .value_kind:     global_buffer
      - .actual_access:  write_only
        .address_space:  global
        .offset:         48
        .size:           8
        .value_kind:     global_buffer
      - .actual_access:  read_only
        .address_space:  global
        .offset:         56
        .size:           8
        .value_kind:     global_buffer
      - .offset:         64
        .size:           4
        .value_kind:     hidden_block_count_x
      - .offset:         68
        .size:           4
        .value_kind:     hidden_block_count_y
      - .offset:         72
        .size:           4
        .value_kind:     hidden_block_count_z
      - .offset:         76
        .size:           2
        .value_kind:     hidden_group_size_x
      - .offset:         78
        .size:           2
        .value_kind:     hidden_group_size_y
      - .offset:         80
        .size:           2
        .value_kind:     hidden_group_size_z
      - .offset:         82
        .size:           2
        .value_kind:     hidden_remainder_x
      - .offset:         84
        .size:           2
        .value_kind:     hidden_remainder_y
      - .offset:         86
        .size:           2
        .value_kind:     hidden_remainder_z
      - .offset:         104
        .size:           8
        .value_kind:     hidden_global_offset_x
      - .offset:         112
        .size:           8
        .value_kind:     hidden_global_offset_y
      - .offset:         120
        .size:           8
        .value_kind:     hidden_global_offset_z
      - .offset:         128
        .size:           2
        .value_kind:     hidden_grid_dims
      - .offset:         184
        .size:           4
        .value_kind:     hidden_dynamic_lds_size
    .group_segment_fixed_size: 0
    .kernarg_segment_align: 8
    .kernarg_segment_size: 320
    .language:       OpenCL C
    .language_version:
      - 2
      - 0
    .max_flat_workgroup_size: 256
    .name:           _ZN2at6native12_GLOBAL__N_135GammaBetaBackwardCUDAKernelTemplateIN3c104HalfEfLj32ELj8ELj64ELb0ELb1ELb1EEEvllPKT_S7_PKT0_SA_PS5_SB_
    .private_segment_fixed_size: 0
    .sgpr_count:     32
    .sgpr_spill_count: 0
    .symbol:         _ZN2at6native12_GLOBAL__N_135GammaBetaBackwardCUDAKernelTemplateIN3c104HalfEfLj32ELj8ELj64ELb0ELb1ELb1EEEvllPKT_S7_PKT0_SA_PS5_SB_.kd
    .uniform_work_group_size: 1
    .uses_dynamic_stack: false
    .vgpr_count:     44
    .vgpr_spill_count: 0
    .wavefront_size: 64
  - .agpr_count:     0
    .args:
      - .offset:         0
        .size:           8
        .value_kind:     by_value
      - .offset:         8
        .size:           8
        .value_kind:     by_value
      - .actual_access:  read_only
        .address_space:  global
        .offset:         16
        .size:           8
        .value_kind:     global_buffer
      - .actual_access:  read_only
        .address_space:  global
        .offset:         24
        .size:           8
        .value_kind:     global_buffer
      - .actual_access:  read_only
        .address_space:  global
        .offset:         32
        .size:           8
        .value_kind:     global_buffer
      - .actual_access:  read_only
        .address_space:  global
        .offset:         40
        .size:           8
        .value_kind:     global_buffer
      - .actual_access:  write_only
        .address_space:  global
        .offset:         48
        .size:           8
        .value_kind:     global_buffer
      - .actual_access:  read_only
        .address_space:  global
        .offset:         56
        .size:           8
        .value_kind:     global_buffer
      - .offset:         64
        .size:           4
        .value_kind:     hidden_block_count_x
      - .offset:         68
        .size:           4
        .value_kind:     hidden_block_count_y
      - .offset:         72
        .size:           4
        .value_kind:     hidden_block_count_z
      - .offset:         76
        .size:           2
        .value_kind:     hidden_group_size_x
      - .offset:         78
        .size:           2
        .value_kind:     hidden_group_size_y
      - .offset:         80
        .size:           2
        .value_kind:     hidden_group_size_z
      - .offset:         82
        .size:           2
        .value_kind:     hidden_remainder_x
      - .offset:         84
        .size:           2
        .value_kind:     hidden_remainder_y
      - .offset:         86
        .size:           2
        .value_kind:     hidden_remainder_z
      - .offset:         104
        .size:           8
        .value_kind:     hidden_global_offset_x
      - .offset:         112
        .size:           8
        .value_kind:     hidden_global_offset_y
      - .offset:         120
        .size:           8
        .value_kind:     hidden_global_offset_z
      - .offset:         128
        .size:           2
        .value_kind:     hidden_grid_dims
      - .offset:         184
        .size:           4
        .value_kind:     hidden_dynamic_lds_size
    .group_segment_fixed_size: 0
    .kernarg_segment_align: 8
    .kernarg_segment_size: 320
    .language:       OpenCL C
    .language_version:
      - 2
      - 0
    .max_flat_workgroup_size: 256
    .name:           _ZN2at6native12_GLOBAL__N_135GammaBetaBackwardCUDAKernelTemplateIN3c104HalfEfLj32ELj8ELj64ELb0ELb0ELb1EEEvllPKT_S7_PKT0_SA_PS5_SB_
    .private_segment_fixed_size: 0
    .sgpr_count:     62
    .sgpr_spill_count: 0
    .symbol:         _ZN2at6native12_GLOBAL__N_135GammaBetaBackwardCUDAKernelTemplateIN3c104HalfEfLj32ELj8ELj64ELb0ELb0ELb1EEEvllPKT_S7_PKT0_SA_PS5_SB_.kd
    .uniform_work_group_size: 1
    .uses_dynamic_stack: false
    .vgpr_count:     96
    .vgpr_spill_count: 0
    .wavefront_size: 64
  - .agpr_count:     0
    .args:
      - .offset:         0
        .size:           8
        .value_kind:     by_value
      - .offset:         8
        .size:           8
        .value_kind:     by_value
      - .actual_access:  read_only
        .address_space:  global
        .offset:         16
        .size:           8
        .value_kind:     global_buffer
      - .actual_access:  read_only
        .address_space:  global
        .offset:         24
        .size:           8
        .value_kind:     global_buffer
      - .actual_access:  read_only
        .address_space:  global
        .offset:         32
        .size:           8
        .value_kind:     global_buffer
      - .actual_access:  read_only
        .address_space:  global
        .offset:         40
        .size:           8
        .value_kind:     global_buffer
      - .actual_access:  write_only
        .address_space:  global
        .offset:         48
        .size:           8
        .value_kind:     global_buffer
      - .actual_access:  read_only
        .address_space:  global
        .offset:         56
        .size:           8
        .value_kind:     global_buffer
      - .offset:         64
        .size:           4
        .value_kind:     hidden_block_count_x
      - .offset:         68
        .size:           4
        .value_kind:     hidden_block_count_y
      - .offset:         72
        .size:           4
        .value_kind:     hidden_block_count_z
      - .offset:         76
        .size:           2
        .value_kind:     hidden_group_size_x
      - .offset:         78
        .size:           2
        .value_kind:     hidden_group_size_y
      - .offset:         80
        .size:           2
        .value_kind:     hidden_group_size_z
      - .offset:         82
        .size:           2
        .value_kind:     hidden_remainder_x
      - .offset:         84
        .size:           2
        .value_kind:     hidden_remainder_y
      - .offset:         86
        .size:           2
        .value_kind:     hidden_remainder_z
      - .offset:         104
        .size:           8
        .value_kind:     hidden_global_offset_x
      - .offset:         112
        .size:           8
        .value_kind:     hidden_global_offset_y
      - .offset:         120
        .size:           8
        .value_kind:     hidden_global_offset_z
      - .offset:         128
        .size:           2
        .value_kind:     hidden_grid_dims
      - .offset:         184
        .size:           4
        .value_kind:     hidden_dynamic_lds_size
    .group_segment_fixed_size: 0
    .kernarg_segment_align: 8
    .kernarg_segment_size: 320
    .language:       OpenCL C
    .language_version:
      - 2
      - 0
    .max_flat_workgroup_size: 512
    .name:           _ZN2at6native12_GLOBAL__N_135GammaBetaBackwardCUDAKernelTemplateIN3c104HalfEfLj32ELj16ELj128ELb0ELb1ELb1EEEvllPKT_S7_PKT0_SA_PS5_SB_
    .private_segment_fixed_size: 0
    .sgpr_count:     32
    .sgpr_spill_count: 0
    .symbol:         _ZN2at6native12_GLOBAL__N_135GammaBetaBackwardCUDAKernelTemplateIN3c104HalfEfLj32ELj16ELj128ELb0ELb1ELb1EEEvllPKT_S7_PKT0_SA_PS5_SB_.kd
    .uniform_work_group_size: 1
    .uses_dynamic_stack: false
    .vgpr_count:     44
    .vgpr_spill_count: 0
    .wavefront_size: 64
  - .agpr_count:     0
    .args:
      - .offset:         0
        .size:           8
        .value_kind:     by_value
      - .offset:         8
        .size:           8
        .value_kind:     by_value
      - .actual_access:  read_only
        .address_space:  global
        .offset:         16
        .size:           8
        .value_kind:     global_buffer
      - .actual_access:  read_only
        .address_space:  global
        .offset:         24
        .size:           8
        .value_kind:     global_buffer
      - .actual_access:  read_only
        .address_space:  global
        .offset:         32
        .size:           8
        .value_kind:     global_buffer
      - .actual_access:  read_only
        .address_space:  global
        .offset:         40
        .size:           8
        .value_kind:     global_buffer
      - .actual_access:  write_only
        .address_space:  global
        .offset:         48
        .size:           8
        .value_kind:     global_buffer
      - .actual_access:  read_only
        .address_space:  global
        .offset:         56
        .size:           8
        .value_kind:     global_buffer
      - .offset:         64
        .size:           4
        .value_kind:     hidden_block_count_x
      - .offset:         68
        .size:           4
        .value_kind:     hidden_block_count_y
      - .offset:         72
        .size:           4
        .value_kind:     hidden_block_count_z
      - .offset:         76
        .size:           2
        .value_kind:     hidden_group_size_x
      - .offset:         78
        .size:           2
        .value_kind:     hidden_group_size_y
      - .offset:         80
        .size:           2
        .value_kind:     hidden_group_size_z
      - .offset:         82
        .size:           2
        .value_kind:     hidden_remainder_x
      - .offset:         84
        .size:           2
        .value_kind:     hidden_remainder_y
      - .offset:         86
        .size:           2
        .value_kind:     hidden_remainder_z
      - .offset:         104
        .size:           8
        .value_kind:     hidden_global_offset_x
      - .offset:         112
        .size:           8
        .value_kind:     hidden_global_offset_y
      - .offset:         120
        .size:           8
        .value_kind:     hidden_global_offset_z
      - .offset:         128
        .size:           2
        .value_kind:     hidden_grid_dims
      - .offset:         184
        .size:           4
        .value_kind:     hidden_dynamic_lds_size
    .group_segment_fixed_size: 0
    .kernarg_segment_align: 8
    .kernarg_segment_size: 320
    .language:       OpenCL C
    .language_version:
      - 2
      - 0
    .max_flat_workgroup_size: 512
    .name:           _ZN2at6native12_GLOBAL__N_135GammaBetaBackwardCUDAKernelTemplateIN3c104HalfEfLj32ELj16ELj128ELb0ELb0ELb1EEEvllPKT_S7_PKT0_SA_PS5_SB_
    .private_segment_fixed_size: 0
    .sgpr_count:     62
    .sgpr_spill_count: 0
    .symbol:         _ZN2at6native12_GLOBAL__N_135GammaBetaBackwardCUDAKernelTemplateIN3c104HalfEfLj32ELj16ELj128ELb0ELb0ELb1EEEvllPKT_S7_PKT0_SA_PS5_SB_.kd
    .uniform_work_group_size: 1
    .uses_dynamic_stack: false
    .vgpr_count:     96
    .vgpr_spill_count: 0
    .wavefront_size: 64
  - .agpr_count:     0
    .args:
      - .offset:         0
        .size:           8
        .value_kind:     by_value
      - .offset:         8
        .size:           8
        .value_kind:     by_value
      - .actual_access:  read_only
        .address_space:  global
        .offset:         16
        .size:           8
        .value_kind:     global_buffer
      - .actual_access:  read_only
        .address_space:  global
        .offset:         24
        .size:           8
        .value_kind:     global_buffer
      - .actual_access:  read_only
        .address_space:  global
        .offset:         32
        .size:           8
        .value_kind:     global_buffer
      - .actual_access:  read_only
        .address_space:  global
        .offset:         40
        .size:           8
        .value_kind:     global_buffer
      - .actual_access:  write_only
        .address_space:  global
        .offset:         48
        .size:           8
        .value_kind:     global_buffer
      - .actual_access:  read_only
        .address_space:  global
        .offset:         56
        .size:           8
        .value_kind:     global_buffer
      - .offset:         64
        .size:           4
        .value_kind:     hidden_block_count_x
      - .offset:         68
        .size:           4
        .value_kind:     hidden_block_count_y
      - .offset:         72
        .size:           4
        .value_kind:     hidden_block_count_z
      - .offset:         76
        .size:           2
        .value_kind:     hidden_group_size_x
      - .offset:         78
        .size:           2
        .value_kind:     hidden_group_size_y
      - .offset:         80
        .size:           2
        .value_kind:     hidden_group_size_z
      - .offset:         82
        .size:           2
        .value_kind:     hidden_remainder_x
      - .offset:         84
        .size:           2
        .value_kind:     hidden_remainder_y
      - .offset:         86
        .size:           2
        .value_kind:     hidden_remainder_z
      - .offset:         104
        .size:           8
        .value_kind:     hidden_global_offset_x
      - .offset:         112
        .size:           8
        .value_kind:     hidden_global_offset_y
      - .offset:         120
        .size:           8
        .value_kind:     hidden_global_offset_z
      - .offset:         128
        .size:           2
        .value_kind:     hidden_grid_dims
      - .offset:         184
        .size:           4
        .value_kind:     hidden_dynamic_lds_size
    .group_segment_fixed_size: 0
    .kernarg_segment_align: 8
    .kernarg_segment_size: 320
    .language:       OpenCL C
    .language_version:
      - 2
      - 0
    .max_flat_workgroup_size: 1024
    .name:           _ZN2at6native12_GLOBAL__N_135GammaBetaBackwardCUDAKernelTemplateIN3c104HalfEfLj32ELj32ELj256ELb0ELb1ELb1EEEvllPKT_S7_PKT0_SA_PS5_SB_
    .private_segment_fixed_size: 0
    .sgpr_count:     32
    .sgpr_spill_count: 0
    .symbol:         _ZN2at6native12_GLOBAL__N_135GammaBetaBackwardCUDAKernelTemplateIN3c104HalfEfLj32ELj32ELj256ELb0ELb1ELb1EEEvllPKT_S7_PKT0_SA_PS5_SB_.kd
    .uniform_work_group_size: 1
    .uses_dynamic_stack: false
    .vgpr_count:     44
    .vgpr_spill_count: 0
    .wavefront_size: 64
  - .agpr_count:     0
    .args:
      - .offset:         0
        .size:           8
        .value_kind:     by_value
      - .offset:         8
        .size:           8
        .value_kind:     by_value
      - .actual_access:  read_only
        .address_space:  global
        .offset:         16
        .size:           8
        .value_kind:     global_buffer
      - .actual_access:  read_only
        .address_space:  global
        .offset:         24
        .size:           8
        .value_kind:     global_buffer
      - .actual_access:  read_only
        .address_space:  global
        .offset:         32
        .size:           8
        .value_kind:     global_buffer
      - .actual_access:  read_only
        .address_space:  global
        .offset:         40
        .size:           8
        .value_kind:     global_buffer
      - .actual_access:  write_only
        .address_space:  global
        .offset:         48
        .size:           8
        .value_kind:     global_buffer
      - .actual_access:  read_only
        .address_space:  global
        .offset:         56
        .size:           8
        .value_kind:     global_buffer
      - .offset:         64
        .size:           4
        .value_kind:     hidden_block_count_x
      - .offset:         68
        .size:           4
        .value_kind:     hidden_block_count_y
      - .offset:         72
        .size:           4
        .value_kind:     hidden_block_count_z
      - .offset:         76
        .size:           2
        .value_kind:     hidden_group_size_x
      - .offset:         78
        .size:           2
        .value_kind:     hidden_group_size_y
      - .offset:         80
        .size:           2
        .value_kind:     hidden_group_size_z
      - .offset:         82
        .size:           2
        .value_kind:     hidden_remainder_x
      - .offset:         84
        .size:           2
        .value_kind:     hidden_remainder_y
      - .offset:         86
        .size:           2
        .value_kind:     hidden_remainder_z
      - .offset:         104
        .size:           8
        .value_kind:     hidden_global_offset_x
      - .offset:         112
        .size:           8
        .value_kind:     hidden_global_offset_y
      - .offset:         120
        .size:           8
        .value_kind:     hidden_global_offset_z
      - .offset:         128
        .size:           2
        .value_kind:     hidden_grid_dims
      - .offset:         184
        .size:           4
        .value_kind:     hidden_dynamic_lds_size
    .group_segment_fixed_size: 0
    .kernarg_segment_align: 8
    .kernarg_segment_size: 320
    .language:       OpenCL C
    .language_version:
      - 2
      - 0
    .max_flat_workgroup_size: 1024
    .name:           _ZN2at6native12_GLOBAL__N_135GammaBetaBackwardCUDAKernelTemplateIN3c104HalfEfLj32ELj32ELj256ELb0ELb0ELb1EEEvllPKT_S7_PKT0_SA_PS5_SB_
    .private_segment_fixed_size: 0
    .sgpr_count:     62
    .sgpr_spill_count: 0
    .symbol:         _ZN2at6native12_GLOBAL__N_135GammaBetaBackwardCUDAKernelTemplateIN3c104HalfEfLj32ELj32ELj256ELb0ELb0ELb1EEEvllPKT_S7_PKT0_SA_PS5_SB_.kd
    .uniform_work_group_size: 1
    .uses_dynamic_stack: false
    .vgpr_count:     96
    .vgpr_spill_count: 0
    .wavefront_size: 64
  - .agpr_count:     0
    .args:
      - .actual_access:  read_only
        .address_space:  global
        .offset:         0
        .size:           8
        .value_kind:     global_buffer
      - .actual_access:  read_only
        .address_space:  global
        .offset:         8
        .size:           8
        .value_kind:     global_buffer
      - .offset:         16
        .size:           8
        .value_kind:     by_value
      - .offset:         24
        .size:           8
        .value_kind:     by_value
      - .actual_access:  read_only
        .address_space:  global
        .offset:         32
        .size:           8
        .value_kind:     global_buffer
      - .actual_access:  read_only
        .address_space:  global
        .offset:         40
        .size:           8
        .value_kind:     global_buffer
      - .address_space:  global
        .offset:         48
        .size:           8
        .value_kind:     global_buffer
      - .address_space:  global
        .offset:         56
        .size:           8
        .value_kind:     global_buffer
      - .offset:         64
        .size:           4
        .value_kind:     hidden_block_count_x
      - .offset:         68
        .size:           4
        .value_kind:     hidden_block_count_y
      - .offset:         72
        .size:           4
        .value_kind:     hidden_block_count_z
      - .offset:         76
        .size:           2
        .value_kind:     hidden_group_size_x
      - .offset:         78
        .size:           2
        .value_kind:     hidden_group_size_y
      - .offset:         80
        .size:           2
        .value_kind:     hidden_group_size_z
      - .offset:         82
        .size:           2
        .value_kind:     hidden_remainder_x
      - .offset:         84
        .size:           2
        .value_kind:     hidden_remainder_y
      - .offset:         86
        .size:           2
        .value_kind:     hidden_remainder_z
      - .offset:         104
        .size:           8
        .value_kind:     hidden_global_offset_x
      - .offset:         112
        .size:           8
        .value_kind:     hidden_global_offset_y
      - .offset:         120
        .size:           8
        .value_kind:     hidden_global_offset_z
      - .offset:         128
        .size:           2
        .value_kind:     hidden_grid_dims
      - .offset:         184
        .size:           4
        .value_kind:     hidden_dynamic_lds_size
    .group_segment_fixed_size: 0
    .kernarg_segment_align: 8
    .kernarg_segment_size: 320
    .language:       OpenCL C
    .language_version:
      - 2
      - 0
    .max_flat_workgroup_size: 1024
    .name:           _ZN2at6native12_GLOBAL__N_118cuComputeGradInputIN3c108BFloat16EfLb1EEEvPKT_S7_llPKT0_SA_S7_PS5_
    .private_segment_fixed_size: 0
    .sgpr_count:     55
    .sgpr_spill_count: 0
    .symbol:         _ZN2at6native12_GLOBAL__N_118cuComputeGradInputIN3c108BFloat16EfLb1EEEvPKT_S7_llPKT0_SA_S7_PS5_.kd
    .uniform_work_group_size: 1
    .uses_dynamic_stack: false
    .vgpr_count:     33
    .vgpr_spill_count: 0
    .wavefront_size: 64
  - .agpr_count:     0
    .args:
      - .actual_access:  read_only
        .address_space:  global
        .offset:         0
        .size:           8
        .value_kind:     global_buffer
      - .actual_access:  read_only
        .address_space:  global
        .offset:         8
        .size:           8
        .value_kind:     global_buffer
      - .actual_access:  read_only
        .address_space:  global
        .offset:         16
        .size:           8
        .value_kind:     global_buffer
      - .actual_access:  read_only
        .address_space:  global
        .offset:         24
        .size:           8
        .value_kind:     global_buffer
      - .actual_access:  read_only
        .address_space:  global
        .offset:         32
        .size:           8
        .value_kind:     global_buffer
      - .address_space:  global
        .offset:         40
        .size:           8
        .value_kind:     global_buffer
      - .offset:         48
        .size:           4
        .value_kind:     by_value
      - .offset:         56
        .size:           4
        .value_kind:     hidden_block_count_x
      - .offset:         60
        .size:           4
        .value_kind:     hidden_block_count_y
      - .offset:         64
        .size:           4
        .value_kind:     hidden_block_count_z
      - .offset:         68
        .size:           2
        .value_kind:     hidden_group_size_x
      - .offset:         70
        .size:           2
        .value_kind:     hidden_group_size_y
      - .offset:         72
        .size:           2
        .value_kind:     hidden_group_size_z
      - .offset:         74
        .size:           2
        .value_kind:     hidden_remainder_x
      - .offset:         76
        .size:           2
        .value_kind:     hidden_remainder_y
      - .offset:         78
        .size:           2
        .value_kind:     hidden_remainder_z
      - .offset:         96
        .size:           8
        .value_kind:     hidden_global_offset_x
      - .offset:         104
        .size:           8
        .value_kind:     hidden_global_offset_y
      - .offset:         112
        .size:           8
        .value_kind:     hidden_global_offset_z
      - .offset:         120
        .size:           2
        .value_kind:     hidden_grid_dims
      - .offset:         176
        .size:           4
        .value_kind:     hidden_dynamic_lds_size
    .group_segment_fixed_size: 0
    .kernarg_segment_align: 8
    .kernarg_segment_size: 312
    .language:       OpenCL C
    .language_version:
      - 2
      - 0
    .max_flat_workgroup_size: 1024
    .name:           _ZN2at6native12_GLOBAL__N_128layer_norm_grad_input_kernelIN3c108BFloat16EfLb1EEEvPKT_S7_PKT0_SA_S7_PS5_i
    .private_segment_fixed_size: 0
    .sgpr_count:     40
    .sgpr_spill_count: 0
    .symbol:         _ZN2at6native12_GLOBAL__N_128layer_norm_grad_input_kernelIN3c108BFloat16EfLb1EEEvPKT_S7_PKT0_SA_S7_PS5_i.kd
    .uniform_work_group_size: 1
    .uses_dynamic_stack: false
    .vgpr_count:     20
    .vgpr_spill_count: 0
    .wavefront_size: 64
  - .agpr_count:     0
    .args:
      - .offset:         0
        .size:           8
        .value_kind:     by_value
      - .offset:         8
        .size:           8
        .value_kind:     by_value
      - .address_space:  global
        .offset:         16
        .size:           8
        .value_kind:     global_buffer
      - .address_space:  global
        .offset:         24
        .size:           8
        .value_kind:     global_buffer
      - .address_space:  global
        .offset:         32
        .size:           8
        .value_kind:     global_buffer
      - .address_space:  global
        .offset:         40
        .size:           8
        .value_kind:     global_buffer
      - .address_space:  global
        .offset:         48
        .size:           8
        .value_kind:     global_buffer
      - .address_space:  global
        .offset:         56
        .size:           8
        .value_kind:     global_buffer
      - .offset:         64
        .size:           4
        .value_kind:     hidden_block_count_x
      - .offset:         68
        .size:           4
        .value_kind:     hidden_block_count_y
      - .offset:         72
        .size:           4
        .value_kind:     hidden_block_count_z
      - .offset:         76
        .size:           2
        .value_kind:     hidden_group_size_x
      - .offset:         78
        .size:           2
        .value_kind:     hidden_group_size_y
      - .offset:         80
        .size:           2
        .value_kind:     hidden_group_size_z
      - .offset:         82
        .size:           2
        .value_kind:     hidden_remainder_x
      - .offset:         84
        .size:           2
        .value_kind:     hidden_remainder_y
      - .offset:         86
        .size:           2
        .value_kind:     hidden_remainder_z
      - .offset:         104
        .size:           8
        .value_kind:     hidden_global_offset_x
      - .offset:         112
        .size:           8
        .value_kind:     hidden_global_offset_y
      - .offset:         120
        .size:           8
        .value_kind:     hidden_global_offset_z
      - .offset:         128
        .size:           2
        .value_kind:     hidden_grid_dims
    .group_segment_fixed_size: 0
    .kernarg_segment_align: 8
    .kernarg_segment_size: 320
    .language:       OpenCL C
    .language_version:
      - 2
      - 0
    .max_flat_workgroup_size: 1024
    .name:           _ZN2at6native12_GLOBAL__N_133GammaBetaBackwardSimpleCUDAKernelIN3c108BFloat16EfLb1EEEvllPKT_S7_PKT0_SA_PS5_SB_
    .private_segment_fixed_size: 0
    .sgpr_count:     22
    .sgpr_spill_count: 0
    .symbol:         _ZN2at6native12_GLOBAL__N_133GammaBetaBackwardSimpleCUDAKernelIN3c108BFloat16EfLb1EEEvllPKT_S7_PKT0_SA_PS5_SB_.kd
    .uniform_work_group_size: 1
    .uses_dynamic_stack: false
    .vgpr_count:     11
    .vgpr_spill_count: 0
    .wavefront_size: 64
  - .agpr_count:     0
    .args:
      - .offset:         0
        .size:           8
        .value_kind:     by_value
      - .offset:         8
        .size:           8
        .value_kind:     by_value
      - .actual_access:  read_only
        .address_space:  global
        .offset:         16
        .size:           8
        .value_kind:     global_buffer
      - .actual_access:  read_only
        .address_space:  global
        .offset:         24
        .size:           8
        .value_kind:     global_buffer
      - .actual_access:  read_only
        .address_space:  global
        .offset:         32
        .size:           8
        .value_kind:     global_buffer
      - .actual_access:  read_only
        .address_space:  global
        .offset:         40
        .size:           8
        .value_kind:     global_buffer
      - .actual_access:  write_only
        .address_space:  global
        .offset:         48
        .size:           8
        .value_kind:     global_buffer
      - .actual_access:  read_only
        .address_space:  global
        .offset:         56
        .size:           8
        .value_kind:     global_buffer
      - .offset:         64
        .size:           4
        .value_kind:     hidden_block_count_x
      - .offset:         68
        .size:           4
        .value_kind:     hidden_block_count_y
      - .offset:         72
        .size:           4
        .value_kind:     hidden_block_count_z
      - .offset:         76
        .size:           2
        .value_kind:     hidden_group_size_x
      - .offset:         78
        .size:           2
        .value_kind:     hidden_group_size_y
      - .offset:         80
        .size:           2
        .value_kind:     hidden_group_size_z
      - .offset:         82
        .size:           2
        .value_kind:     hidden_remainder_x
      - .offset:         84
        .size:           2
        .value_kind:     hidden_remainder_y
      - .offset:         86
        .size:           2
        .value_kind:     hidden_remainder_z
      - .offset:         104
        .size:           8
        .value_kind:     hidden_global_offset_x
      - .offset:         112
        .size:           8
        .value_kind:     hidden_global_offset_y
      - .offset:         120
        .size:           8
        .value_kind:     hidden_global_offset_z
      - .offset:         128
        .size:           2
        .value_kind:     hidden_grid_dims
    .group_segment_fixed_size: 0
    .kernarg_segment_align: 8
    .kernarg_segment_size: 320
    .language:       OpenCL C
    .language_version:
      - 2
      - 0
    .max_flat_workgroup_size: 64
    .name:           _ZN2at6native12_GLOBAL__N_135GammaBetaBackwardCUDAKernelTemplateIN3c108BFloat16EfLj64ELj1ELj32ELb1ELb1ELb1EEEvllPKT_S7_PKT0_SA_PS5_SB_
    .private_segment_fixed_size: 0
    .sgpr_count:     38
    .sgpr_spill_count: 0
    .symbol:         _ZN2at6native12_GLOBAL__N_135GammaBetaBackwardCUDAKernelTemplateIN3c108BFloat16EfLj64ELj1ELj32ELb1ELb1ELb1EEEvllPKT_S7_PKT0_SA_PS5_SB_.kd
    .uniform_work_group_size: 1
    .uses_dynamic_stack: false
    .vgpr_count:     66
    .vgpr_spill_count: 0
    .wavefront_size: 64
  - .agpr_count:     127
    .args:
      - .offset:         0
        .size:           8
        .value_kind:     by_value
      - .offset:         8
        .size:           8
        .value_kind:     by_value
      - .actual_access:  read_only
        .address_space:  global
        .offset:         16
        .size:           8
        .value_kind:     global_buffer
      - .actual_access:  read_only
        .address_space:  global
        .offset:         24
        .size:           8
        .value_kind:     global_buffer
      - .actual_access:  read_only
        .address_space:  global
        .offset:         32
        .size:           8
        .value_kind:     global_buffer
      - .actual_access:  read_only
        .address_space:  global
        .offset:         40
        .size:           8
        .value_kind:     global_buffer
      - .actual_access:  write_only
        .address_space:  global
        .offset:         48
        .size:           8
        .value_kind:     global_buffer
      - .actual_access:  read_only
        .address_space:  global
        .offset:         56
        .size:           8
        .value_kind:     global_buffer
      - .offset:         64
        .size:           4
        .value_kind:     hidden_block_count_x
      - .offset:         68
        .size:           4
        .value_kind:     hidden_block_count_y
      - .offset:         72
        .size:           4
        .value_kind:     hidden_block_count_z
      - .offset:         76
        .size:           2
        .value_kind:     hidden_group_size_x
      - .offset:         78
        .size:           2
        .value_kind:     hidden_group_size_y
      - .offset:         80
        .size:           2
        .value_kind:     hidden_group_size_z
      - .offset:         82
        .size:           2
        .value_kind:     hidden_remainder_x
      - .offset:         84
        .size:           2
        .value_kind:     hidden_remainder_y
      - .offset:         86
        .size:           2
        .value_kind:     hidden_remainder_z
      - .offset:         104
        .size:           8
        .value_kind:     hidden_global_offset_x
      - .offset:         112
        .size:           8
        .value_kind:     hidden_global_offset_y
      - .offset:         120
        .size:           8
        .value_kind:     hidden_global_offset_z
      - .offset:         128
        .size:           2
        .value_kind:     hidden_grid_dims
    .group_segment_fixed_size: 0
    .kernarg_segment_align: 8
    .kernarg_segment_size: 320
    .language:       OpenCL C
    .language_version:
      - 2
      - 0
    .max_flat_workgroup_size: 64
    .name:           _ZN2at6native12_GLOBAL__N_135GammaBetaBackwardCUDAKernelTemplateIN3c108BFloat16EfLj64ELj1ELj32ELb1ELb0ELb1EEEvllPKT_S7_PKT0_SA_PS5_SB_
    .private_segment_fixed_size: 0
    .sgpr_count:     44
    .sgpr_spill_count: 0
    .symbol:         _ZN2at6native12_GLOBAL__N_135GammaBetaBackwardCUDAKernelTemplateIN3c108BFloat16EfLj64ELj1ELj32ELb1ELb0ELb1EEEvllPKT_S7_PKT0_SA_PS5_SB_.kd
    .uniform_work_group_size: 1
    .uses_dynamic_stack: false
    .vgpr_count:     383
    .vgpr_spill_count: 62
    .wavefront_size: 64
  - .agpr_count:     0
    .args:
      - .offset:         0
        .size:           8
        .value_kind:     by_value
      - .offset:         8
        .size:           8
        .value_kind:     by_value
      - .actual_access:  read_only
        .address_space:  global
        .offset:         16
        .size:           8
        .value_kind:     global_buffer
      - .actual_access:  read_only
        .address_space:  global
        .offset:         24
        .size:           8
        .value_kind:     global_buffer
      - .actual_access:  read_only
        .address_space:  global
        .offset:         32
        .size:           8
        .value_kind:     global_buffer
      - .actual_access:  read_only
        .address_space:  global
        .offset:         40
        .size:           8
        .value_kind:     global_buffer
      - .actual_access:  write_only
        .address_space:  global
        .offset:         48
        .size:           8
        .value_kind:     global_buffer
      - .actual_access:  read_only
        .address_space:  global
        .offset:         56
        .size:           8
        .value_kind:     global_buffer
      - .offset:         64
        .size:           4
        .value_kind:     hidden_block_count_x
      - .offset:         68
        .size:           4
        .value_kind:     hidden_block_count_y
      - .offset:         72
        .size:           4
        .value_kind:     hidden_block_count_z
      - .offset:         76
        .size:           2
        .value_kind:     hidden_group_size_x
      - .offset:         78
        .size:           2
        .value_kind:     hidden_group_size_y
      - .offset:         80
        .size:           2
        .value_kind:     hidden_group_size_z
      - .offset:         82
        .size:           2
        .value_kind:     hidden_remainder_x
      - .offset:         84
        .size:           2
        .value_kind:     hidden_remainder_y
      - .offset:         86
        .size:           2
        .value_kind:     hidden_remainder_z
      - .offset:         104
        .size:           8
        .value_kind:     hidden_global_offset_x
      - .offset:         112
        .size:           8
        .value_kind:     hidden_global_offset_y
      - .offset:         120
        .size:           8
        .value_kind:     hidden_global_offset_z
      - .offset:         128
        .size:           2
        .value_kind:     hidden_grid_dims
    .group_segment_fixed_size: 0
    .kernarg_segment_align: 8
    .kernarg_segment_size: 320
    .language:       OpenCL C
    .language_version:
      - 2
      - 0
    .max_flat_workgroup_size: 64
    .name:           _ZN2at6native12_GLOBAL__N_135GammaBetaBackwardCUDAKernelTemplateIN3c108BFloat16EfLj64ELj1ELj8ELb1ELb1ELb1EEEvllPKT_S7_PKT0_SA_PS5_SB_
    .private_segment_fixed_size: 0
    .sgpr_count:     38
    .sgpr_spill_count: 0
    .symbol:         _ZN2at6native12_GLOBAL__N_135GammaBetaBackwardCUDAKernelTemplateIN3c108BFloat16EfLj64ELj1ELj8ELb1ELb1ELb1EEEvllPKT_S7_PKT0_SA_PS5_SB_.kd
    .uniform_work_group_size: 1
    .uses_dynamic_stack: false
    .vgpr_count:     48
    .vgpr_spill_count: 0
    .wavefront_size: 64
  - .agpr_count:     0
    .args:
      - .offset:         0
        .size:           8
        .value_kind:     by_value
      - .offset:         8
        .size:           8
        .value_kind:     by_value
      - .actual_access:  read_only
        .address_space:  global
        .offset:         16
        .size:           8
        .value_kind:     global_buffer
      - .actual_access:  read_only
        .address_space:  global
        .offset:         24
        .size:           8
        .value_kind:     global_buffer
      - .actual_access:  read_only
        .address_space:  global
        .offset:         32
        .size:           8
        .value_kind:     global_buffer
      - .actual_access:  read_only
        .address_space:  global
        .offset:         40
        .size:           8
        .value_kind:     global_buffer
      - .actual_access:  write_only
        .address_space:  global
        .offset:         48
        .size:           8
        .value_kind:     global_buffer
      - .actual_access:  read_only
        .address_space:  global
        .offset:         56
        .size:           8
        .value_kind:     global_buffer
      - .offset:         64
        .size:           4
        .value_kind:     hidden_block_count_x
      - .offset:         68
        .size:           4
        .value_kind:     hidden_block_count_y
      - .offset:         72
        .size:           4
        .value_kind:     hidden_block_count_z
      - .offset:         76
        .size:           2
        .value_kind:     hidden_group_size_x
      - .offset:         78
        .size:           2
        .value_kind:     hidden_group_size_y
      - .offset:         80
        .size:           2
        .value_kind:     hidden_group_size_z
      - .offset:         82
        .size:           2
        .value_kind:     hidden_remainder_x
      - .offset:         84
        .size:           2
        .value_kind:     hidden_remainder_y
      - .offset:         86
        .size:           2
        .value_kind:     hidden_remainder_z
      - .offset:         104
        .size:           8
        .value_kind:     hidden_global_offset_x
      - .offset:         112
        .size:           8
        .value_kind:     hidden_global_offset_y
      - .offset:         120
        .size:           8
        .value_kind:     hidden_global_offset_z
      - .offset:         128
        .size:           2
        .value_kind:     hidden_grid_dims
    .group_segment_fixed_size: 0
    .kernarg_segment_align: 8
    .kernarg_segment_size: 320
    .language:       OpenCL C
    .language_version:
      - 2
      - 0
    .max_flat_workgroup_size: 64
    .name:           _ZN2at6native12_GLOBAL__N_135GammaBetaBackwardCUDAKernelTemplateIN3c108BFloat16EfLj64ELj1ELj8ELb1ELb0ELb1EEEvllPKT_S7_PKT0_SA_PS5_SB_
    .private_segment_fixed_size: 0
    .sgpr_count:     50
    .sgpr_spill_count: 0
    .symbol:         _ZN2at6native12_GLOBAL__N_135GammaBetaBackwardCUDAKernelTemplateIN3c108BFloat16EfLj64ELj1ELj8ELb1ELb0ELb1EEEvllPKT_S7_PKT0_SA_PS5_SB_.kd
    .uniform_work_group_size: 1
    .uses_dynamic_stack: false
    .vgpr_count:     119
    .vgpr_spill_count: 0
    .wavefront_size: 64
  - .agpr_count:     0
    .args:
      - .offset:         0
        .size:           8
        .value_kind:     by_value
      - .offset:         8
        .size:           8
        .value_kind:     by_value
      - .actual_access:  read_only
        .address_space:  global
        .offset:         16
        .size:           8
        .value_kind:     global_buffer
      - .actual_access:  read_only
        .address_space:  global
        .offset:         24
        .size:           8
        .value_kind:     global_buffer
      - .actual_access:  read_only
        .address_space:  global
        .offset:         32
        .size:           8
        .value_kind:     global_buffer
      - .actual_access:  read_only
        .address_space:  global
        .offset:         40
        .size:           8
        .value_kind:     global_buffer
      - .actual_access:  write_only
        .address_space:  global
        .offset:         48
        .size:           8
        .value_kind:     global_buffer
      - .actual_access:  read_only
        .address_space:  global
        .offset:         56
        .size:           8
        .value_kind:     global_buffer
      - .offset:         64
        .size:           4
        .value_kind:     hidden_block_count_x
      - .offset:         68
        .size:           4
        .value_kind:     hidden_block_count_y
      - .offset:         72
        .size:           4
        .value_kind:     hidden_block_count_z
      - .offset:         76
        .size:           2
        .value_kind:     hidden_group_size_x
      - .offset:         78
        .size:           2
        .value_kind:     hidden_group_size_y
      - .offset:         80
        .size:           2
        .value_kind:     hidden_group_size_z
      - .offset:         82
        .size:           2
        .value_kind:     hidden_remainder_x
      - .offset:         84
        .size:           2
        .value_kind:     hidden_remainder_y
      - .offset:         86
        .size:           2
        .value_kind:     hidden_remainder_z
      - .offset:         104
        .size:           8
        .value_kind:     hidden_global_offset_x
      - .offset:         112
        .size:           8
        .value_kind:     hidden_global_offset_y
      - .offset:         120
        .size:           8
        .value_kind:     hidden_global_offset_z
      - .offset:         128
        .size:           2
        .value_kind:     hidden_grid_dims
      - .offset:         184
        .size:           4
        .value_kind:     hidden_dynamic_lds_size
    .group_segment_fixed_size: 0
    .kernarg_segment_align: 8
    .kernarg_segment_size: 320
    .language:       OpenCL C
    .language_version:
      - 2
      - 0
    .max_flat_workgroup_size: 512
    .name:           _ZN2at6native12_GLOBAL__N_135GammaBetaBackwardCUDAKernelTemplateIN3c108BFloat16EfLj64ELj8ELj64ELb0ELb1ELb1EEEvllPKT_S7_PKT0_SA_PS5_SB_
    .private_segment_fixed_size: 0
    .sgpr_count:     32
    .sgpr_spill_count: 0
    .symbol:         _ZN2at6native12_GLOBAL__N_135GammaBetaBackwardCUDAKernelTemplateIN3c108BFloat16EfLj64ELj8ELj64ELb0ELb1ELb1EEEvllPKT_S7_PKT0_SA_PS5_SB_.kd
    .uniform_work_group_size: 1
    .uses_dynamic_stack: false
    .vgpr_count:     49
    .vgpr_spill_count: 0
    .wavefront_size: 64
  - .agpr_count:     0
    .args:
      - .offset:         0
        .size:           8
        .value_kind:     by_value
      - .offset:         8
        .size:           8
        .value_kind:     by_value
      - .actual_access:  read_only
        .address_space:  global
        .offset:         16
        .size:           8
        .value_kind:     global_buffer
      - .actual_access:  read_only
        .address_space:  global
        .offset:         24
        .size:           8
        .value_kind:     global_buffer
      - .actual_access:  read_only
        .address_space:  global
        .offset:         32
        .size:           8
        .value_kind:     global_buffer
      - .actual_access:  read_only
        .address_space:  global
        .offset:         40
        .size:           8
        .value_kind:     global_buffer
      - .actual_access:  write_only
        .address_space:  global
        .offset:         48
        .size:           8
        .value_kind:     global_buffer
      - .actual_access:  read_only
        .address_space:  global
        .offset:         56
        .size:           8
        .value_kind:     global_buffer
      - .offset:         64
        .size:           4
        .value_kind:     hidden_block_count_x
      - .offset:         68
        .size:           4
        .value_kind:     hidden_block_count_y
      - .offset:         72
        .size:           4
        .value_kind:     hidden_block_count_z
      - .offset:         76
        .size:           2
        .value_kind:     hidden_group_size_x
      - .offset:         78
        .size:           2
        .value_kind:     hidden_group_size_y
      - .offset:         80
        .size:           2
        .value_kind:     hidden_group_size_z
      - .offset:         82
        .size:           2
        .value_kind:     hidden_remainder_x
      - .offset:         84
        .size:           2
        .value_kind:     hidden_remainder_y
      - .offset:         86
        .size:           2
        .value_kind:     hidden_remainder_z
      - .offset:         104
        .size:           8
        .value_kind:     hidden_global_offset_x
      - .offset:         112
        .size:           8
        .value_kind:     hidden_global_offset_y
      - .offset:         120
        .size:           8
        .value_kind:     hidden_global_offset_z
      - .offset:         128
        .size:           2
        .value_kind:     hidden_grid_dims
      - .offset:         184
        .size:           4
        .value_kind:     hidden_dynamic_lds_size
    .group_segment_fixed_size: 0
    .kernarg_segment_align: 8
    .kernarg_segment_size: 320
    .language:       OpenCL C
    .language_version:
      - 2
      - 0
    .max_flat_workgroup_size: 512
    .name:           _ZN2at6native12_GLOBAL__N_135GammaBetaBackwardCUDAKernelTemplateIN3c108BFloat16EfLj64ELj8ELj64ELb0ELb0ELb1EEEvllPKT_S7_PKT0_SA_PS5_SB_
    .private_segment_fixed_size: 0
    .sgpr_count:     62
    .sgpr_spill_count: 0
    .symbol:         _ZN2at6native12_GLOBAL__N_135GammaBetaBackwardCUDAKernelTemplateIN3c108BFloat16EfLj64ELj8ELj64ELb0ELb0ELb1EEEvllPKT_S7_PKT0_SA_PS5_SB_.kd
    .uniform_work_group_size: 1
    .uses_dynamic_stack: false
    .vgpr_count:     119
    .vgpr_spill_count: 0
    .wavefront_size: 64
  - .agpr_count:     0
    .args:
      - .offset:         0
        .size:           8
        .value_kind:     by_value
      - .offset:         8
        .size:           8
        .value_kind:     by_value
      - .actual_access:  read_only
        .address_space:  global
        .offset:         16
        .size:           8
        .value_kind:     global_buffer
      - .actual_access:  read_only
        .address_space:  global
        .offset:         24
        .size:           8
        .value_kind:     global_buffer
      - .actual_access:  read_only
        .address_space:  global
        .offset:         32
        .size:           8
        .value_kind:     global_buffer
      - .actual_access:  read_only
        .address_space:  global
        .offset:         40
        .size:           8
        .value_kind:     global_buffer
      - .actual_access:  write_only
        .address_space:  global
        .offset:         48
        .size:           8
        .value_kind:     global_buffer
      - .actual_access:  read_only
        .address_space:  global
        .offset:         56
        .size:           8
        .value_kind:     global_buffer
      - .offset:         64
        .size:           4
        .value_kind:     hidden_block_count_x
      - .offset:         68
        .size:           4
        .value_kind:     hidden_block_count_y
      - .offset:         72
        .size:           4
        .value_kind:     hidden_block_count_z
      - .offset:         76
        .size:           2
        .value_kind:     hidden_group_size_x
      - .offset:         78
        .size:           2
        .value_kind:     hidden_group_size_y
      - .offset:         80
        .size:           2
        .value_kind:     hidden_group_size_z
      - .offset:         82
        .size:           2
        .value_kind:     hidden_remainder_x
      - .offset:         84
        .size:           2
        .value_kind:     hidden_remainder_y
      - .offset:         86
        .size:           2
        .value_kind:     hidden_remainder_z
      - .offset:         104
        .size:           8
        .value_kind:     hidden_global_offset_x
      - .offset:         112
        .size:           8
        .value_kind:     hidden_global_offset_y
      - .offset:         120
        .size:           8
        .value_kind:     hidden_global_offset_z
      - .offset:         128
        .size:           2
        .value_kind:     hidden_grid_dims
      - .offset:         184
        .size:           4
        .value_kind:     hidden_dynamic_lds_size
    .group_segment_fixed_size: 0
    .kernarg_segment_align: 8
    .kernarg_segment_size: 320
    .language:       OpenCL C
    .language_version:
      - 2
      - 0
    .max_flat_workgroup_size: 1024
    .name:           _ZN2at6native12_GLOBAL__N_135GammaBetaBackwardCUDAKernelTemplateIN3c108BFloat16EfLj64ELj16ELj128ELb0ELb1ELb1EEEvllPKT_S7_PKT0_SA_PS5_SB_
    .private_segment_fixed_size: 0
    .sgpr_count:     32
    .sgpr_spill_count: 0
    .symbol:         _ZN2at6native12_GLOBAL__N_135GammaBetaBackwardCUDAKernelTemplateIN3c108BFloat16EfLj64ELj16ELj128ELb0ELb1ELb1EEEvllPKT_S7_PKT0_SA_PS5_SB_.kd
    .uniform_work_group_size: 1
    .uses_dynamic_stack: false
    .vgpr_count:     49
    .vgpr_spill_count: 0
    .wavefront_size: 64
  - .agpr_count:     0
    .args:
      - .offset:         0
        .size:           8
        .value_kind:     by_value
      - .offset:         8
        .size:           8
        .value_kind:     by_value
      - .actual_access:  read_only
        .address_space:  global
        .offset:         16
        .size:           8
        .value_kind:     global_buffer
      - .actual_access:  read_only
        .address_space:  global
        .offset:         24
        .size:           8
        .value_kind:     global_buffer
      - .actual_access:  read_only
        .address_space:  global
        .offset:         32
        .size:           8
        .value_kind:     global_buffer
      - .actual_access:  read_only
        .address_space:  global
        .offset:         40
        .size:           8
        .value_kind:     global_buffer
      - .actual_access:  write_only
        .address_space:  global
        .offset:         48
        .size:           8
        .value_kind:     global_buffer
      - .actual_access:  read_only
        .address_space:  global
        .offset:         56
        .size:           8
        .value_kind:     global_buffer
      - .offset:         64
        .size:           4
        .value_kind:     hidden_block_count_x
      - .offset:         68
        .size:           4
        .value_kind:     hidden_block_count_y
      - .offset:         72
        .size:           4
        .value_kind:     hidden_block_count_z
      - .offset:         76
        .size:           2
        .value_kind:     hidden_group_size_x
      - .offset:         78
        .size:           2
        .value_kind:     hidden_group_size_y
      - .offset:         80
        .size:           2
        .value_kind:     hidden_group_size_z
      - .offset:         82
        .size:           2
        .value_kind:     hidden_remainder_x
      - .offset:         84
        .size:           2
        .value_kind:     hidden_remainder_y
      - .offset:         86
        .size:           2
        .value_kind:     hidden_remainder_z
      - .offset:         104
        .size:           8
        .value_kind:     hidden_global_offset_x
      - .offset:         112
        .size:           8
        .value_kind:     hidden_global_offset_y
      - .offset:         120
        .size:           8
        .value_kind:     hidden_global_offset_z
      - .offset:         128
        .size:           2
        .value_kind:     hidden_grid_dims
      - .offset:         184
        .size:           4
        .value_kind:     hidden_dynamic_lds_size
    .group_segment_fixed_size: 0
    .kernarg_segment_align: 8
    .kernarg_segment_size: 320
    .language:       OpenCL C
    .language_version:
      - 2
      - 0
    .max_flat_workgroup_size: 1024
    .name:           _ZN2at6native12_GLOBAL__N_135GammaBetaBackwardCUDAKernelTemplateIN3c108BFloat16EfLj64ELj16ELj128ELb0ELb0ELb1EEEvllPKT_S7_PKT0_SA_PS5_SB_
    .private_segment_fixed_size: 0
    .sgpr_count:     62
    .sgpr_spill_count: 0
    .symbol:         _ZN2at6native12_GLOBAL__N_135GammaBetaBackwardCUDAKernelTemplateIN3c108BFloat16EfLj64ELj16ELj128ELb0ELb0ELb1EEEvllPKT_S7_PKT0_SA_PS5_SB_.kd
    .uniform_work_group_size: 1
    .uses_dynamic_stack: false
    .vgpr_count:     108
    .vgpr_spill_count: 0
    .wavefront_size: 64
  - .agpr_count:     0
    .args:
      - .offset:         0
        .size:           8
        .value_kind:     by_value
      - .offset:         8
        .size:           8
        .value_kind:     by_value
      - .actual_access:  read_only
        .address_space:  global
        .offset:         16
        .size:           8
        .value_kind:     global_buffer
      - .actual_access:  read_only
        .address_space:  global
        .offset:         24
        .size:           8
        .value_kind:     global_buffer
      - .actual_access:  read_only
        .address_space:  global
        .offset:         32
        .size:           8
        .value_kind:     global_buffer
      - .actual_access:  read_only
        .address_space:  global
        .offset:         40
        .size:           8
        .value_kind:     global_buffer
      - .actual_access:  write_only
        .address_space:  global
        .offset:         48
        .size:           8
        .value_kind:     global_buffer
      - .actual_access:  read_only
        .address_space:  global
        .offset:         56
        .size:           8
        .value_kind:     global_buffer
      - .offset:         64
        .size:           4
        .value_kind:     hidden_block_count_x
      - .offset:         68
        .size:           4
        .value_kind:     hidden_block_count_y
      - .offset:         72
        .size:           4
        .value_kind:     hidden_block_count_z
      - .offset:         76
        .size:           2
        .value_kind:     hidden_group_size_x
      - .offset:         78
        .size:           2
        .value_kind:     hidden_group_size_y
      - .offset:         80
        .size:           2
        .value_kind:     hidden_group_size_z
      - .offset:         82
        .size:           2
        .value_kind:     hidden_remainder_x
      - .offset:         84
        .size:           2
        .value_kind:     hidden_remainder_y
      - .offset:         86
        .size:           2
        .value_kind:     hidden_remainder_z
      - .offset:         104
        .size:           8
        .value_kind:     hidden_global_offset_x
      - .offset:         112
        .size:           8
        .value_kind:     hidden_global_offset_y
      - .offset:         120
        .size:           8
        .value_kind:     hidden_global_offset_z
      - .offset:         128
        .size:           2
        .value_kind:     hidden_grid_dims
      - .offset:         184
        .size:           4
        .value_kind:     hidden_dynamic_lds_size
    .group_segment_fixed_size: 0
    .kernarg_segment_align: 8
    .kernarg_segment_size: 320
    .language:       OpenCL C
    .language_version:
      - 2
      - 0
    .max_flat_workgroup_size: 1024
    .name:           _ZN2at6native12_GLOBAL__N_135GammaBetaBackwardCUDAKernelTemplateIN3c108BFloat16EfLj64ELj16ELj256ELb0ELb1ELb1EEEvllPKT_S7_PKT0_SA_PS5_SB_
    .private_segment_fixed_size: 0
    .sgpr_count:     32
    .sgpr_spill_count: 0
    .symbol:         _ZN2at6native12_GLOBAL__N_135GammaBetaBackwardCUDAKernelTemplateIN3c108BFloat16EfLj64ELj16ELj256ELb0ELb1ELb1EEEvllPKT_S7_PKT0_SA_PS5_SB_.kd
    .uniform_work_group_size: 1
    .uses_dynamic_stack: false
    .vgpr_count:     67
    .vgpr_spill_count: 0
    .wavefront_size: 64
  - .agpr_count:     0
    .args:
      - .offset:         0
        .size:           8
        .value_kind:     by_value
      - .offset:         8
        .size:           8
        .value_kind:     by_value
      - .actual_access:  read_only
        .address_space:  global
        .offset:         16
        .size:           8
        .value_kind:     global_buffer
      - .actual_access:  read_only
        .address_space:  global
        .offset:         24
        .size:           8
        .value_kind:     global_buffer
      - .actual_access:  read_only
        .address_space:  global
        .offset:         32
        .size:           8
        .value_kind:     global_buffer
      - .actual_access:  read_only
        .address_space:  global
        .offset:         40
        .size:           8
        .value_kind:     global_buffer
      - .actual_access:  write_only
        .address_space:  global
        .offset:         48
        .size:           8
        .value_kind:     global_buffer
      - .actual_access:  read_only
        .address_space:  global
        .offset:         56
        .size:           8
        .value_kind:     global_buffer
      - .offset:         64
        .size:           4
        .value_kind:     hidden_block_count_x
      - .offset:         68
        .size:           4
        .value_kind:     hidden_block_count_y
      - .offset:         72
        .size:           4
        .value_kind:     hidden_block_count_z
      - .offset:         76
        .size:           2
        .value_kind:     hidden_group_size_x
      - .offset:         78
        .size:           2
        .value_kind:     hidden_group_size_y
      - .offset:         80
        .size:           2
        .value_kind:     hidden_group_size_z
      - .offset:         82
        .size:           2
        .value_kind:     hidden_remainder_x
      - .offset:         84
        .size:           2
        .value_kind:     hidden_remainder_y
      - .offset:         86
        .size:           2
        .value_kind:     hidden_remainder_z
      - .offset:         104
        .size:           8
        .value_kind:     hidden_global_offset_x
      - .offset:         112
        .size:           8
        .value_kind:     hidden_global_offset_y
      - .offset:         120
        .size:           8
        .value_kind:     hidden_global_offset_z
      - .offset:         128
        .size:           2
        .value_kind:     hidden_grid_dims
      - .offset:         184
        .size:           4
        .value_kind:     hidden_dynamic_lds_size
    .group_segment_fixed_size: 0
    .kernarg_segment_align: 8
    .kernarg_segment_size: 320
    .language:       OpenCL C
    .language_version:
      - 2
      - 0
    .max_flat_workgroup_size: 1024
    .name:           _ZN2at6native12_GLOBAL__N_135GammaBetaBackwardCUDAKernelTemplateIN3c108BFloat16EfLj64ELj16ELj256ELb0ELb0ELb1EEEvllPKT_S7_PKT0_SA_PS5_SB_
    .private_segment_fixed_size: 224
    .sgpr_count:     86
    .sgpr_spill_count: 0
    .symbol:         _ZN2at6native12_GLOBAL__N_135GammaBetaBackwardCUDAKernelTemplateIN3c108BFloat16EfLj64ELj16ELj256ELb0ELb0ELb1EEEvllPKT_S7_PKT0_SA_PS5_SB_.kd
    .uniform_work_group_size: 1
    .uses_dynamic_stack: false
    .vgpr_count:     128
    .vgpr_spill_count: 107
    .wavefront_size: 64
  - .agpr_count:     0
    .args:
      - .offset:         0
        .size:           8
        .value_kind:     by_value
      - .offset:         8
        .size:           8
        .value_kind:     by_value
      - .actual_access:  read_only
        .address_space:  global
        .offset:         16
        .size:           8
        .value_kind:     global_buffer
      - .actual_access:  read_only
        .address_space:  global
        .offset:         24
        .size:           8
        .value_kind:     global_buffer
      - .actual_access:  read_only
        .address_space:  global
        .offset:         32
        .size:           8
        .value_kind:     global_buffer
      - .actual_access:  read_only
        .address_space:  global
        .offset:         40
        .size:           8
        .value_kind:     global_buffer
      - .actual_access:  write_only
        .address_space:  global
        .offset:         48
        .size:           8
        .value_kind:     global_buffer
      - .actual_access:  read_only
        .address_space:  global
        .offset:         56
        .size:           8
        .value_kind:     global_buffer
      - .offset:         64
        .size:           4
        .value_kind:     hidden_block_count_x
      - .offset:         68
        .size:           4
        .value_kind:     hidden_block_count_y
      - .offset:         72
        .size:           4
        .value_kind:     hidden_block_count_z
      - .offset:         76
        .size:           2
        .value_kind:     hidden_group_size_x
      - .offset:         78
        .size:           2
        .value_kind:     hidden_group_size_y
      - .offset:         80
        .size:           2
        .value_kind:     hidden_group_size_z
      - .offset:         82
        .size:           2
        .value_kind:     hidden_remainder_x
      - .offset:         84
        .size:           2
        .value_kind:     hidden_remainder_y
      - .offset:         86
        .size:           2
        .value_kind:     hidden_remainder_z
      - .offset:         104
        .size:           8
        .value_kind:     hidden_global_offset_x
      - .offset:         112
        .size:           8
        .value_kind:     hidden_global_offset_y
      - .offset:         120
        .size:           8
        .value_kind:     hidden_global_offset_z
      - .offset:         128
        .size:           2
        .value_kind:     hidden_grid_dims
    .group_segment_fixed_size: 0
    .kernarg_segment_align: 8
    .kernarg_segment_size: 320
    .language:       OpenCL C
    .language_version:
      - 2
      - 0
    .max_flat_workgroup_size: 32
    .name:           _ZN2at6native12_GLOBAL__N_135GammaBetaBackwardCUDAKernelTemplateIN3c108BFloat16EfLj32ELj1ELj32ELb1ELb1ELb1EEEvllPKT_S7_PKT0_SA_PS5_SB_
    .private_segment_fixed_size: 0
    .sgpr_count:     38
    .sgpr_spill_count: 0
    .symbol:         _ZN2at6native12_GLOBAL__N_135GammaBetaBackwardCUDAKernelTemplateIN3c108BFloat16EfLj32ELj1ELj32ELb1ELb1ELb1EEEvllPKT_S7_PKT0_SA_PS5_SB_.kd
    .uniform_work_group_size: 1
    .uses_dynamic_stack: false
    .vgpr_count:     66
    .vgpr_spill_count: 0
    .wavefront_size: 64
  - .agpr_count:     127
    .args:
      - .offset:         0
        .size:           8
        .value_kind:     by_value
      - .offset:         8
        .size:           8
        .value_kind:     by_value
      - .actual_access:  read_only
        .address_space:  global
        .offset:         16
        .size:           8
        .value_kind:     global_buffer
      - .actual_access:  read_only
        .address_space:  global
        .offset:         24
        .size:           8
        .value_kind:     global_buffer
      - .actual_access:  read_only
        .address_space:  global
        .offset:         32
        .size:           8
        .value_kind:     global_buffer
      - .actual_access:  read_only
        .address_space:  global
        .offset:         40
        .size:           8
        .value_kind:     global_buffer
      - .actual_access:  write_only
        .address_space:  global
        .offset:         48
        .size:           8
        .value_kind:     global_buffer
      - .actual_access:  read_only
        .address_space:  global
        .offset:         56
        .size:           8
        .value_kind:     global_buffer
      - .offset:         64
        .size:           4
        .value_kind:     hidden_block_count_x
      - .offset:         68
        .size:           4
        .value_kind:     hidden_block_count_y
      - .offset:         72
        .size:           4
        .value_kind:     hidden_block_count_z
      - .offset:         76
        .size:           2
        .value_kind:     hidden_group_size_x
      - .offset:         78
        .size:           2
        .value_kind:     hidden_group_size_y
      - .offset:         80
        .size:           2
        .value_kind:     hidden_group_size_z
      - .offset:         82
        .size:           2
        .value_kind:     hidden_remainder_x
      - .offset:         84
        .size:           2
        .value_kind:     hidden_remainder_y
      - .offset:         86
        .size:           2
        .value_kind:     hidden_remainder_z
      - .offset:         104
        .size:           8
        .value_kind:     hidden_global_offset_x
      - .offset:         112
        .size:           8
        .value_kind:     hidden_global_offset_y
      - .offset:         120
        .size:           8
        .value_kind:     hidden_global_offset_z
      - .offset:         128
        .size:           2
        .value_kind:     hidden_grid_dims
    .group_segment_fixed_size: 0
    .kernarg_segment_align: 8
    .kernarg_segment_size: 320
    .language:       OpenCL C
    .language_version:
      - 2
      - 0
    .max_flat_workgroup_size: 32
    .name:           _ZN2at6native12_GLOBAL__N_135GammaBetaBackwardCUDAKernelTemplateIN3c108BFloat16EfLj32ELj1ELj32ELb1ELb0ELb1EEEvllPKT_S7_PKT0_SA_PS5_SB_
    .private_segment_fixed_size: 0
    .sgpr_count:     44
    .sgpr_spill_count: 0
    .symbol:         _ZN2at6native12_GLOBAL__N_135GammaBetaBackwardCUDAKernelTemplateIN3c108BFloat16EfLj32ELj1ELj32ELb1ELb0ELb1EEEvllPKT_S7_PKT0_SA_PS5_SB_.kd
    .uniform_work_group_size: 1
    .uses_dynamic_stack: false
    .vgpr_count:     383
    .vgpr_spill_count: 62
    .wavefront_size: 64
  - .agpr_count:     0
    .args:
      - .offset:         0
        .size:           8
        .value_kind:     by_value
      - .offset:         8
        .size:           8
        .value_kind:     by_value
      - .actual_access:  read_only
        .address_space:  global
        .offset:         16
        .size:           8
        .value_kind:     global_buffer
      - .actual_access:  read_only
        .address_space:  global
        .offset:         24
        .size:           8
        .value_kind:     global_buffer
      - .actual_access:  read_only
        .address_space:  global
        .offset:         32
        .size:           8
        .value_kind:     global_buffer
      - .actual_access:  read_only
        .address_space:  global
        .offset:         40
        .size:           8
        .value_kind:     global_buffer
      - .actual_access:  write_only
        .address_space:  global
        .offset:         48
        .size:           8
        .value_kind:     global_buffer
      - .actual_access:  read_only
        .address_space:  global
        .offset:         56
        .size:           8
        .value_kind:     global_buffer
      - .offset:         64
        .size:           4
        .value_kind:     hidden_block_count_x
      - .offset:         68
        .size:           4
        .value_kind:     hidden_block_count_y
      - .offset:         72
        .size:           4
        .value_kind:     hidden_block_count_z
      - .offset:         76
        .size:           2
        .value_kind:     hidden_group_size_x
      - .offset:         78
        .size:           2
        .value_kind:     hidden_group_size_y
      - .offset:         80
        .size:           2
        .value_kind:     hidden_group_size_z
      - .offset:         82
        .size:           2
        .value_kind:     hidden_remainder_x
      - .offset:         84
        .size:           2
        .value_kind:     hidden_remainder_y
      - .offset:         86
        .size:           2
        .value_kind:     hidden_remainder_z
      - .offset:         104
        .size:           8
        .value_kind:     hidden_global_offset_x
      - .offset:         112
        .size:           8
        .value_kind:     hidden_global_offset_y
      - .offset:         120
        .size:           8
        .value_kind:     hidden_global_offset_z
      - .offset:         128
        .size:           2
        .value_kind:     hidden_grid_dims
    .group_segment_fixed_size: 0
    .kernarg_segment_align: 8
    .kernarg_segment_size: 320
    .language:       OpenCL C
    .language_version:
      - 2
      - 0
    .max_flat_workgroup_size: 32
    .name:           _ZN2at6native12_GLOBAL__N_135GammaBetaBackwardCUDAKernelTemplateIN3c108BFloat16EfLj32ELj1ELj8ELb1ELb1ELb1EEEvllPKT_S7_PKT0_SA_PS5_SB_
    .private_segment_fixed_size: 0
    .sgpr_count:     38
    .sgpr_spill_count: 0
    .symbol:         _ZN2at6native12_GLOBAL__N_135GammaBetaBackwardCUDAKernelTemplateIN3c108BFloat16EfLj32ELj1ELj8ELb1ELb1ELb1EEEvllPKT_S7_PKT0_SA_PS5_SB_.kd
    .uniform_work_group_size: 1
    .uses_dynamic_stack: false
    .vgpr_count:     48
    .vgpr_spill_count: 0
    .wavefront_size: 64
  - .agpr_count:     0
    .args:
      - .offset:         0
        .size:           8
        .value_kind:     by_value
      - .offset:         8
        .size:           8
        .value_kind:     by_value
      - .actual_access:  read_only
        .address_space:  global
        .offset:         16
        .size:           8
        .value_kind:     global_buffer
      - .actual_access:  read_only
        .address_space:  global
        .offset:         24
        .size:           8
        .value_kind:     global_buffer
      - .actual_access:  read_only
        .address_space:  global
        .offset:         32
        .size:           8
        .value_kind:     global_buffer
      - .actual_access:  read_only
        .address_space:  global
        .offset:         40
        .size:           8
        .value_kind:     global_buffer
      - .actual_access:  write_only
        .address_space:  global
        .offset:         48
        .size:           8
        .value_kind:     global_buffer
      - .actual_access:  read_only
        .address_space:  global
        .offset:         56
        .size:           8
        .value_kind:     global_buffer
      - .offset:         64
        .size:           4
        .value_kind:     hidden_block_count_x
      - .offset:         68
        .size:           4
        .value_kind:     hidden_block_count_y
      - .offset:         72
        .size:           4
        .value_kind:     hidden_block_count_z
      - .offset:         76
        .size:           2
        .value_kind:     hidden_group_size_x
      - .offset:         78
        .size:           2
        .value_kind:     hidden_group_size_y
      - .offset:         80
        .size:           2
        .value_kind:     hidden_group_size_z
      - .offset:         82
        .size:           2
        .value_kind:     hidden_remainder_x
      - .offset:         84
        .size:           2
        .value_kind:     hidden_remainder_y
      - .offset:         86
        .size:           2
        .value_kind:     hidden_remainder_z
      - .offset:         104
        .size:           8
        .value_kind:     hidden_global_offset_x
      - .offset:         112
        .size:           8
        .value_kind:     hidden_global_offset_y
      - .offset:         120
        .size:           8
        .value_kind:     hidden_global_offset_z
      - .offset:         128
        .size:           2
        .value_kind:     hidden_grid_dims
    .group_segment_fixed_size: 0
    .kernarg_segment_align: 8
    .kernarg_segment_size: 320
    .language:       OpenCL C
    .language_version:
      - 2
      - 0
    .max_flat_workgroup_size: 32
    .name:           _ZN2at6native12_GLOBAL__N_135GammaBetaBackwardCUDAKernelTemplateIN3c108BFloat16EfLj32ELj1ELj8ELb1ELb0ELb1EEEvllPKT_S7_PKT0_SA_PS5_SB_
    .private_segment_fixed_size: 0
    .sgpr_count:     50
    .sgpr_spill_count: 0
    .symbol:         _ZN2at6native12_GLOBAL__N_135GammaBetaBackwardCUDAKernelTemplateIN3c108BFloat16EfLj32ELj1ELj8ELb1ELb0ELb1EEEvllPKT_S7_PKT0_SA_PS5_SB_.kd
    .uniform_work_group_size: 1
    .uses_dynamic_stack: false
    .vgpr_count:     119
    .vgpr_spill_count: 0
    .wavefront_size: 64
  - .agpr_count:     0
    .args:
      - .offset:         0
        .size:           8
        .value_kind:     by_value
      - .offset:         8
        .size:           8
        .value_kind:     by_value
      - .actual_access:  read_only
        .address_space:  global
        .offset:         16
        .size:           8
        .value_kind:     global_buffer
      - .actual_access:  read_only
        .address_space:  global
        .offset:         24
        .size:           8
        .value_kind:     global_buffer
      - .actual_access:  read_only
        .address_space:  global
        .offset:         32
        .size:           8
        .value_kind:     global_buffer
      - .actual_access:  read_only
        .address_space:  global
        .offset:         40
        .size:           8
        .value_kind:     global_buffer
      - .actual_access:  write_only
        .address_space:  global
        .offset:         48
        .size:           8
        .value_kind:     global_buffer
      - .actual_access:  read_only
        .address_space:  global
        .offset:         56
        .size:           8
        .value_kind:     global_buffer
      - .offset:         64
        .size:           4
        .value_kind:     hidden_block_count_x
      - .offset:         68
        .size:           4
        .value_kind:     hidden_block_count_y
      - .offset:         72
        .size:           4
        .value_kind:     hidden_block_count_z
      - .offset:         76
        .size:           2
        .value_kind:     hidden_group_size_x
      - .offset:         78
        .size:           2
        .value_kind:     hidden_group_size_y
      - .offset:         80
        .size:           2
        .value_kind:     hidden_group_size_z
      - .offset:         82
        .size:           2
        .value_kind:     hidden_remainder_x
      - .offset:         84
        .size:           2
        .value_kind:     hidden_remainder_y
      - .offset:         86
        .size:           2
        .value_kind:     hidden_remainder_z
      - .offset:         104
        .size:           8
        .value_kind:     hidden_global_offset_x
      - .offset:         112
        .size:           8
        .value_kind:     hidden_global_offset_y
      - .offset:         120
        .size:           8
        .value_kind:     hidden_global_offset_z
      - .offset:         128
        .size:           2
        .value_kind:     hidden_grid_dims
      - .offset:         184
        .size:           4
        .value_kind:     hidden_dynamic_lds_size
    .group_segment_fixed_size: 0
    .kernarg_segment_align: 8
    .kernarg_segment_size: 320
    .language:       OpenCL C
    .language_version:
      - 2
      - 0
    .max_flat_workgroup_size: 256
    .name:           _ZN2at6native12_GLOBAL__N_135GammaBetaBackwardCUDAKernelTemplateIN3c108BFloat16EfLj32ELj8ELj64ELb0ELb1ELb1EEEvllPKT_S7_PKT0_SA_PS5_SB_
    .private_segment_fixed_size: 0
    .sgpr_count:     32
    .sgpr_spill_count: 0
    .symbol:         _ZN2at6native12_GLOBAL__N_135GammaBetaBackwardCUDAKernelTemplateIN3c108BFloat16EfLj32ELj8ELj64ELb0ELb1ELb1EEEvllPKT_S7_PKT0_SA_PS5_SB_.kd
    .uniform_work_group_size: 1
    .uses_dynamic_stack: false
    .vgpr_count:     49
    .vgpr_spill_count: 0
    .wavefront_size: 64
  - .agpr_count:     0
    .args:
      - .offset:         0
        .size:           8
        .value_kind:     by_value
      - .offset:         8
        .size:           8
        .value_kind:     by_value
      - .actual_access:  read_only
        .address_space:  global
        .offset:         16
        .size:           8
        .value_kind:     global_buffer
      - .actual_access:  read_only
        .address_space:  global
        .offset:         24
        .size:           8
        .value_kind:     global_buffer
      - .actual_access:  read_only
        .address_space:  global
        .offset:         32
        .size:           8
        .value_kind:     global_buffer
      - .actual_access:  read_only
        .address_space:  global
        .offset:         40
        .size:           8
        .value_kind:     global_buffer
      - .actual_access:  write_only
        .address_space:  global
        .offset:         48
        .size:           8
        .value_kind:     global_buffer
      - .actual_access:  read_only
        .address_space:  global
        .offset:         56
        .size:           8
        .value_kind:     global_buffer
      - .offset:         64
        .size:           4
        .value_kind:     hidden_block_count_x
      - .offset:         68
        .size:           4
        .value_kind:     hidden_block_count_y
      - .offset:         72
        .size:           4
        .value_kind:     hidden_block_count_z
      - .offset:         76
        .size:           2
        .value_kind:     hidden_group_size_x
      - .offset:         78
        .size:           2
        .value_kind:     hidden_group_size_y
      - .offset:         80
        .size:           2
        .value_kind:     hidden_group_size_z
      - .offset:         82
        .size:           2
        .value_kind:     hidden_remainder_x
      - .offset:         84
        .size:           2
        .value_kind:     hidden_remainder_y
      - .offset:         86
        .size:           2
        .value_kind:     hidden_remainder_z
      - .offset:         104
        .size:           8
        .value_kind:     hidden_global_offset_x
      - .offset:         112
        .size:           8
        .value_kind:     hidden_global_offset_y
      - .offset:         120
        .size:           8
        .value_kind:     hidden_global_offset_z
      - .offset:         128
        .size:           2
        .value_kind:     hidden_grid_dims
      - .offset:         184
        .size:           4
        .value_kind:     hidden_dynamic_lds_size
    .group_segment_fixed_size: 0
    .kernarg_segment_align: 8
    .kernarg_segment_size: 320
    .language:       OpenCL C
    .language_version:
      - 2
      - 0
    .max_flat_workgroup_size: 256
    .name:           _ZN2at6native12_GLOBAL__N_135GammaBetaBackwardCUDAKernelTemplateIN3c108BFloat16EfLj32ELj8ELj64ELb0ELb0ELb1EEEvllPKT_S7_PKT0_SA_PS5_SB_
    .private_segment_fixed_size: 0
    .sgpr_count:     62
    .sgpr_spill_count: 0
    .symbol:         _ZN2at6native12_GLOBAL__N_135GammaBetaBackwardCUDAKernelTemplateIN3c108BFloat16EfLj32ELj8ELj64ELb0ELb0ELb1EEEvllPKT_S7_PKT0_SA_PS5_SB_.kd
    .uniform_work_group_size: 1
    .uses_dynamic_stack: false
    .vgpr_count:     119
    .vgpr_spill_count: 0
    .wavefront_size: 64
  - .agpr_count:     0
    .args:
      - .offset:         0
        .size:           8
        .value_kind:     by_value
      - .offset:         8
        .size:           8
        .value_kind:     by_value
      - .actual_access:  read_only
        .address_space:  global
        .offset:         16
        .size:           8
        .value_kind:     global_buffer
      - .actual_access:  read_only
        .address_space:  global
        .offset:         24
        .size:           8
        .value_kind:     global_buffer
      - .actual_access:  read_only
        .address_space:  global
        .offset:         32
        .size:           8
        .value_kind:     global_buffer
      - .actual_access:  read_only
        .address_space:  global
        .offset:         40
        .size:           8
        .value_kind:     global_buffer
      - .actual_access:  write_only
        .address_space:  global
        .offset:         48
        .size:           8
        .value_kind:     global_buffer
      - .actual_access:  read_only
        .address_space:  global
        .offset:         56
        .size:           8
        .value_kind:     global_buffer
      - .offset:         64
        .size:           4
        .value_kind:     hidden_block_count_x
      - .offset:         68
        .size:           4
        .value_kind:     hidden_block_count_y
      - .offset:         72
        .size:           4
        .value_kind:     hidden_block_count_z
      - .offset:         76
        .size:           2
        .value_kind:     hidden_group_size_x
      - .offset:         78
        .size:           2
        .value_kind:     hidden_group_size_y
      - .offset:         80
        .size:           2
        .value_kind:     hidden_group_size_z
      - .offset:         82
        .size:           2
        .value_kind:     hidden_remainder_x
      - .offset:         84
        .size:           2
        .value_kind:     hidden_remainder_y
      - .offset:         86
        .size:           2
        .value_kind:     hidden_remainder_z
      - .offset:         104
        .size:           8
        .value_kind:     hidden_global_offset_x
      - .offset:         112
        .size:           8
        .value_kind:     hidden_global_offset_y
      - .offset:         120
        .size:           8
        .value_kind:     hidden_global_offset_z
      - .offset:         128
        .size:           2
        .value_kind:     hidden_grid_dims
      - .offset:         184
        .size:           4
        .value_kind:     hidden_dynamic_lds_size
    .group_segment_fixed_size: 0
    .kernarg_segment_align: 8
    .kernarg_segment_size: 320
    .language:       OpenCL C
    .language_version:
      - 2
      - 0
    .max_flat_workgroup_size: 512
    .name:           _ZN2at6native12_GLOBAL__N_135GammaBetaBackwardCUDAKernelTemplateIN3c108BFloat16EfLj32ELj16ELj128ELb0ELb1ELb1EEEvllPKT_S7_PKT0_SA_PS5_SB_
    .private_segment_fixed_size: 0
    .sgpr_count:     32
    .sgpr_spill_count: 0
    .symbol:         _ZN2at6native12_GLOBAL__N_135GammaBetaBackwardCUDAKernelTemplateIN3c108BFloat16EfLj32ELj16ELj128ELb0ELb1ELb1EEEvllPKT_S7_PKT0_SA_PS5_SB_.kd
    .uniform_work_group_size: 1
    .uses_dynamic_stack: false
    .vgpr_count:     49
    .vgpr_spill_count: 0
    .wavefront_size: 64
  - .agpr_count:     0
    .args:
      - .offset:         0
        .size:           8
        .value_kind:     by_value
      - .offset:         8
        .size:           8
        .value_kind:     by_value
      - .actual_access:  read_only
        .address_space:  global
        .offset:         16
        .size:           8
        .value_kind:     global_buffer
      - .actual_access:  read_only
        .address_space:  global
        .offset:         24
        .size:           8
        .value_kind:     global_buffer
      - .actual_access:  read_only
        .address_space:  global
        .offset:         32
        .size:           8
        .value_kind:     global_buffer
      - .actual_access:  read_only
        .address_space:  global
        .offset:         40
        .size:           8
        .value_kind:     global_buffer
      - .actual_access:  write_only
        .address_space:  global
        .offset:         48
        .size:           8
        .value_kind:     global_buffer
      - .actual_access:  read_only
        .address_space:  global
        .offset:         56
        .size:           8
        .value_kind:     global_buffer
      - .offset:         64
        .size:           4
        .value_kind:     hidden_block_count_x
      - .offset:         68
        .size:           4
        .value_kind:     hidden_block_count_y
      - .offset:         72
        .size:           4
        .value_kind:     hidden_block_count_z
      - .offset:         76
        .size:           2
        .value_kind:     hidden_group_size_x
      - .offset:         78
        .size:           2
        .value_kind:     hidden_group_size_y
      - .offset:         80
        .size:           2
        .value_kind:     hidden_group_size_z
      - .offset:         82
        .size:           2
        .value_kind:     hidden_remainder_x
      - .offset:         84
        .size:           2
        .value_kind:     hidden_remainder_y
      - .offset:         86
        .size:           2
        .value_kind:     hidden_remainder_z
      - .offset:         104
        .size:           8
        .value_kind:     hidden_global_offset_x
      - .offset:         112
        .size:           8
        .value_kind:     hidden_global_offset_y
      - .offset:         120
        .size:           8
        .value_kind:     hidden_global_offset_z
      - .offset:         128
        .size:           2
        .value_kind:     hidden_grid_dims
      - .offset:         184
        .size:           4
        .value_kind:     hidden_dynamic_lds_size
    .group_segment_fixed_size: 0
    .kernarg_segment_align: 8
    .kernarg_segment_size: 320
    .language:       OpenCL C
    .language_version:
      - 2
      - 0
    .max_flat_workgroup_size: 512
    .name:           _ZN2at6native12_GLOBAL__N_135GammaBetaBackwardCUDAKernelTemplateIN3c108BFloat16EfLj32ELj16ELj128ELb0ELb0ELb1EEEvllPKT_S7_PKT0_SA_PS5_SB_
    .private_segment_fixed_size: 0
    .sgpr_count:     62
    .sgpr_spill_count: 0
    .symbol:         _ZN2at6native12_GLOBAL__N_135GammaBetaBackwardCUDAKernelTemplateIN3c108BFloat16EfLj32ELj16ELj128ELb0ELb0ELb1EEEvllPKT_S7_PKT0_SA_PS5_SB_.kd
    .uniform_work_group_size: 1
    .uses_dynamic_stack: false
    .vgpr_count:     119
    .vgpr_spill_count: 0
    .wavefront_size: 64
  - .agpr_count:     0
    .args:
      - .offset:         0
        .size:           8
        .value_kind:     by_value
      - .offset:         8
        .size:           8
        .value_kind:     by_value
      - .actual_access:  read_only
        .address_space:  global
        .offset:         16
        .size:           8
        .value_kind:     global_buffer
      - .actual_access:  read_only
        .address_space:  global
        .offset:         24
        .size:           8
        .value_kind:     global_buffer
      - .actual_access:  read_only
        .address_space:  global
        .offset:         32
        .size:           8
        .value_kind:     global_buffer
      - .actual_access:  read_only
        .address_space:  global
        .offset:         40
        .size:           8
        .value_kind:     global_buffer
      - .actual_access:  write_only
        .address_space:  global
        .offset:         48
        .size:           8
        .value_kind:     global_buffer
      - .actual_access:  read_only
        .address_space:  global
        .offset:         56
        .size:           8
        .value_kind:     global_buffer
      - .offset:         64
        .size:           4
        .value_kind:     hidden_block_count_x
      - .offset:         68
        .size:           4
        .value_kind:     hidden_block_count_y
      - .offset:         72
        .size:           4
        .value_kind:     hidden_block_count_z
      - .offset:         76
        .size:           2
        .value_kind:     hidden_group_size_x
      - .offset:         78
        .size:           2
        .value_kind:     hidden_group_size_y
      - .offset:         80
        .size:           2
        .value_kind:     hidden_group_size_z
      - .offset:         82
        .size:           2
        .value_kind:     hidden_remainder_x
      - .offset:         84
        .size:           2
        .value_kind:     hidden_remainder_y
      - .offset:         86
        .size:           2
        .value_kind:     hidden_remainder_z
      - .offset:         104
        .size:           8
        .value_kind:     hidden_global_offset_x
      - .offset:         112
        .size:           8
        .value_kind:     hidden_global_offset_y
      - .offset:         120
        .size:           8
        .value_kind:     hidden_global_offset_z
      - .offset:         128
        .size:           2
        .value_kind:     hidden_grid_dims
      - .offset:         184
        .size:           4
        .value_kind:     hidden_dynamic_lds_size
    .group_segment_fixed_size: 0
    .kernarg_segment_align: 8
    .kernarg_segment_size: 320
    .language:       OpenCL C
    .language_version:
      - 2
      - 0
    .max_flat_workgroup_size: 1024
    .name:           _ZN2at6native12_GLOBAL__N_135GammaBetaBackwardCUDAKernelTemplateIN3c108BFloat16EfLj32ELj32ELj256ELb0ELb1ELb1EEEvllPKT_S7_PKT0_SA_PS5_SB_
    .private_segment_fixed_size: 0
    .sgpr_count:     32
    .sgpr_spill_count: 0
    .symbol:         _ZN2at6native12_GLOBAL__N_135GammaBetaBackwardCUDAKernelTemplateIN3c108BFloat16EfLj32ELj32ELj256ELb0ELb1ELb1EEEvllPKT_S7_PKT0_SA_PS5_SB_.kd
    .uniform_work_group_size: 1
    .uses_dynamic_stack: false
    .vgpr_count:     49
    .vgpr_spill_count: 0
    .wavefront_size: 64
  - .agpr_count:     0
    .args:
      - .offset:         0
        .size:           8
        .value_kind:     by_value
      - .offset:         8
        .size:           8
        .value_kind:     by_value
      - .actual_access:  read_only
        .address_space:  global
        .offset:         16
        .size:           8
        .value_kind:     global_buffer
      - .actual_access:  read_only
        .address_space:  global
        .offset:         24
        .size:           8
        .value_kind:     global_buffer
      - .actual_access:  read_only
        .address_space:  global
        .offset:         32
        .size:           8
        .value_kind:     global_buffer
      - .actual_access:  read_only
        .address_space:  global
        .offset:         40
        .size:           8
        .value_kind:     global_buffer
      - .actual_access:  write_only
        .address_space:  global
        .offset:         48
        .size:           8
        .value_kind:     global_buffer
      - .actual_access:  read_only
        .address_space:  global
        .offset:         56
        .size:           8
        .value_kind:     global_buffer
      - .offset:         64
        .size:           4
        .value_kind:     hidden_block_count_x
      - .offset:         68
        .size:           4
        .value_kind:     hidden_block_count_y
      - .offset:         72
        .size:           4
        .value_kind:     hidden_block_count_z
      - .offset:         76
        .size:           2
        .value_kind:     hidden_group_size_x
      - .offset:         78
        .size:           2
        .value_kind:     hidden_group_size_y
      - .offset:         80
        .size:           2
        .value_kind:     hidden_group_size_z
      - .offset:         82
        .size:           2
        .value_kind:     hidden_remainder_x
      - .offset:         84
        .size:           2
        .value_kind:     hidden_remainder_y
      - .offset:         86
        .size:           2
        .value_kind:     hidden_remainder_z
      - .offset:         104
        .size:           8
        .value_kind:     hidden_global_offset_x
      - .offset:         112
        .size:           8
        .value_kind:     hidden_global_offset_y
      - .offset:         120
        .size:           8
        .value_kind:     hidden_global_offset_z
      - .offset:         128
        .size:           2
        .value_kind:     hidden_grid_dims
      - .offset:         184
        .size:           4
        .value_kind:     hidden_dynamic_lds_size
    .group_segment_fixed_size: 0
    .kernarg_segment_align: 8
    .kernarg_segment_size: 320
    .language:       OpenCL C
    .language_version:
      - 2
      - 0
    .max_flat_workgroup_size: 1024
    .name:           _ZN2at6native12_GLOBAL__N_135GammaBetaBackwardCUDAKernelTemplateIN3c108BFloat16EfLj32ELj32ELj256ELb0ELb0ELb1EEEvllPKT_S7_PKT0_SA_PS5_SB_
    .private_segment_fixed_size: 0
    .sgpr_count:     62
    .sgpr_spill_count: 0
    .symbol:         _ZN2at6native12_GLOBAL__N_135GammaBetaBackwardCUDAKernelTemplateIN3c108BFloat16EfLj32ELj32ELj256ELb0ELb0ELb1EEEvllPKT_S7_PKT0_SA_PS5_SB_.kd
    .uniform_work_group_size: 1
    .uses_dynamic_stack: false
    .vgpr_count:     108
    .vgpr_spill_count: 0
    .wavefront_size: 64
amdhsa.target:   amdgcn-amd-amdhsa--gfx942
amdhsa.version:
  - 1
  - 2
...

	.end_amdgpu_metadata
